;; amdgpu-corpus repo=pytorch/pytorch kind=compiled arch=gfx1100 opt=O3
	.text
	.amdgcn_target "amdgcn-amd-amdhsa--gfx1100"
	.amdhsa_code_object_version 6
	.section	.text._ZN2at4cuda12_GLOBAL__N_121kernelPointwiseApply2IZNS_6native9templates4cuda28bernoulli_tensor_cuda_kernelIddEEvRKNS_10TensorBaseES9_NS_15PhiloxCudaStateEEUliRdSB_SB_SB_RKdSD_SD_SD_E_dSC_jLi1ELi1ELi4ELi512ELi2EEEvNS0_6detail10TensorInfoIT0_T2_EENSG_IT1_SI_EESI_T_,"axG",@progbits,_ZN2at4cuda12_GLOBAL__N_121kernelPointwiseApply2IZNS_6native9templates4cuda28bernoulli_tensor_cuda_kernelIddEEvRKNS_10TensorBaseES9_NS_15PhiloxCudaStateEEUliRdSB_SB_SB_RKdSD_SD_SD_E_dSC_jLi1ELi1ELi4ELi512ELi2EEEvNS0_6detail10TensorInfoIT0_T2_EENSG_IT1_SI_EESI_T_,comdat
	.globl	_ZN2at4cuda12_GLOBAL__N_121kernelPointwiseApply2IZNS_6native9templates4cuda28bernoulli_tensor_cuda_kernelIddEEvRKNS_10TensorBaseES9_NS_15PhiloxCudaStateEEUliRdSB_SB_SB_RKdSD_SD_SD_E_dSC_jLi1ELi1ELi4ELi512ELi2EEEvNS0_6detail10TensorInfoIT0_T2_EENSG_IT1_SI_EESI_T_ ; -- Begin function _ZN2at4cuda12_GLOBAL__N_121kernelPointwiseApply2IZNS_6native9templates4cuda28bernoulli_tensor_cuda_kernelIddEEvRKNS_10TensorBaseES9_NS_15PhiloxCudaStateEEUliRdSB_SB_SB_RKdSD_SD_SD_E_dSC_jLi1ELi1ELi4ELi512ELi2EEEvNS0_6detail10TensorInfoIT0_T2_EENSG_IT1_SI_EESI_T_
	.p2align	8
	.type	_ZN2at4cuda12_GLOBAL__N_121kernelPointwiseApply2IZNS_6native9templates4cuda28bernoulli_tensor_cuda_kernelIddEEvRKNS_10TensorBaseES9_NS_15PhiloxCudaStateEEUliRdSB_SB_SB_RKdSD_SD_SD_E_dSC_jLi1ELi1ELi4ELi512ELi2EEEvNS0_6detail10TensorInfoIT0_T2_EENSG_IT1_SI_EESI_T_,@function
_ZN2at4cuda12_GLOBAL__N_121kernelPointwiseApply2IZNS_6native9templates4cuda28bernoulli_tensor_cuda_kernelIddEEvRKNS_10TensorBaseES9_NS_15PhiloxCudaStateEEUliRdSB_SB_SB_RKdSD_SD_SD_E_dSC_jLi1ELi1ELi4ELi512ELi2EEEvNS0_6detail10TensorInfoIT0_T2_EENSG_IT1_SI_EESI_T_: ; @_ZN2at4cuda12_GLOBAL__N_121kernelPointwiseApply2IZNS_6native9templates4cuda28bernoulli_tensor_cuda_kernelIddEEvRKNS_10TensorBaseES9_NS_15PhiloxCudaStateEEUliRdSB_SB_SB_RKdSD_SD_SD_E_dSC_jLi1ELi1ELi4ELi512ELi2EEEvNS0_6detail10TensorInfoIT0_T2_EENSG_IT1_SI_EESI_T_
; %bb.0:
	s_clause 0x1
	s_load_b32 s4, s[0:1], 0x1e4
	s_load_b32 s12, s[0:1], 0x1b0
	s_add_u32 s2, s0, 0x1d8
	s_addc_u32 s3, s1, 0
	s_waitcnt lgkmcnt(0)
	s_and_b32 s14, s4, 0xffff
	s_mov_b32 s4, exec_lo
	v_mad_u64_u32 v[1:2], null, s15, s14, v[0:1]
	s_delay_alu instid0(VALU_DEP_1) | instskip(NEXT) | instid1(VALU_DEP_1)
	v_lshlrev_b32_e32 v0, 2, v1
	v_cmpx_gt_u32_e64 s12, v0
	s_cbranch_execz .LBB0_51
; %bb.1:
	s_load_b32 s15, s[2:3], 0x0
	s_clause 0x4
	s_load_b32 s17, s[0:1], 0x1d0
	s_load_b32 s16, s[0:1], 0x6c
	;; [unrolled: 1-line block ×3, first 2 shown]
	s_load_b64 s[2:3], s[0:1], 0x0
	s_load_b64 s[8:9], s[0:1], 0xd8
	v_mad_u64_u32 v[2:3], null, 0xcd9e8d57, v1, 0
	s_clause 0x1
	s_load_b64 s[10:11], s[0:1], 0x1c8
	s_load_b128 s[4:7], s[0:1], 0x1b8
	v_dual_mov_b32 v4, 0 :: v_dual_add_nc_u32 v9, 3, v0
	v_add_nc_u32_e32 v8, 2, v0
	v_sub_nc_u32_e32 v26, s12, v0
	s_mov_b32 s13, 0
	v_mov_b32_e32 v27, v3
	s_mov_b32 s21, 0
                                        ; implicit-def: $sgpr20
                                        ; implicit-def: $sgpr23
                                        ; implicit-def: $sgpr22
                                        ; implicit-def: $sgpr24
                                        ; implicit-def: $sgpr26
                                        ; implicit-def: $sgpr25
                                        ; implicit-def: $sgpr27
	s_waitcnt lgkmcnt(0)
	s_mul_i32 s0, s15, s14
	s_bitcmp1_b32 s17, 0
	v_mul_lo_u32 v3, s16, v1
	v_mul_lo_u32 v10, s18, v1
	v_mad_u64_u32 v[5:6], null, s16, v0, s[16:17]
	v_mul_lo_u32 v28, s16, v8
	v_mul_lo_u32 v29, s16, v9
	v_mad_u64_u32 v[6:7], null, s18, v0, s[18:19]
	v_mul_lo_u32 v31, s18, v8
	v_mul_lo_u32 v32, s18, v9
	v_lshlrev_b32_e32 v30, 2, v3
	v_lshlrev_b32_e32 v33, 2, v10
	s_mul_i32 s1, s0, s16
	s_cselect_b32 s15, -1, 0
	s_lshl_b32 s16, s0, 2
	s_mul_i32 s0, s0, s18
	s_lshl_b32 s17, s1, 2
	s_lshl_b32 s18, s0, 2
	s_mov_b32 s19, 0
                                        ; implicit-def: $sgpr14
	s_branch .LBB0_3
.LBB0_2:                                ;   in Loop: Header=BB0_3 Depth=1
	s_or_b32 exec_lo, exec_lo, s1
	s_delay_alu instid0(SALU_CYCLE_1) | instskip(NEXT) | instid1(SALU_CYCLE_1)
	s_and_b32 s0, exec_lo, s0
	s_or_b32 s13, s0, s13
	s_and_not1_b32 s0, s14, exec_lo
	s_and_b32 s1, s27, exec_lo
	s_and_not1_b32 s22, s22, exec_lo
	s_and_b32 s28, s25, exec_lo
	s_or_b32 s14, s0, s1
	s_or_b32 s22, s22, s28
	s_and_not1_b32 s0, s23, exec_lo
	s_and_b32 s1, s26, exec_lo
	s_and_not1_b32 s20, s20, exec_lo
	s_and_b32 s28, s24, exec_lo
	s_or_b32 s23, s0, s1
	s_or_b32 s20, s20, s28
	s_and_not1_b32 exec_lo, exec_lo, s13
	s_cbranch_execz .LBB0_39
.LBB0_3:                                ; =>This Inner Loop Header: Depth=1
	v_dual_mov_b32 v14, s7 :: v_dual_add_nc_u32 v3, s19, v32
	v_cmp_lt_i32_e64 s0, 3, v26
	v_dual_mov_b32 v13, s6 :: v_dual_mov_b32 v16, s5
	v_mov_b32_e32 v15, s4
	s_delay_alu instid0(VALU_DEP_3) | instskip(NEXT) | instid1(VALU_DEP_1)
	v_cndmask_b32_e64 v3, 0, v3, s0
	v_lshlrev_b64 v[7:8], 3, v[3:4]
	s_delay_alu instid0(VALU_DEP_1) | instskip(NEXT) | instid1(VALU_DEP_2)
	v_add_co_u32 v7, vcc_lo, s8, v7
	v_add_co_ci_u32_e32 v8, vcc_lo, s9, v8, vcc_lo
	s_and_not1_b32 vcc_lo, exec_lo, s15
	global_load_b64 v[9:10], v[7:8], off
	s_cbranch_vccnz .LBB0_5
; %bb.4:                                ;   in Loop: Header=BB0_3 Depth=1
	v_dual_mov_b32 v8, s7 :: v_dual_mov_b32 v7, s6
	v_dual_mov_b32 v12, s5 :: v_dual_mov_b32 v11, s4
	flat_load_b64 v[7:8], v[7:8]
	flat_load_b64 v[15:16], v[11:12]
	s_waitcnt vmcnt(1) lgkmcnt(1)
	v_add_co_u32 v13, vcc_lo, v7, s10
	v_add_co_ci_u32_e32 v14, vcc_lo, s11, v8, vcc_lo
.LBB0_5:                                ;   in Loop: Header=BB0_3 Depth=1
	s_delay_alu instid0(VALU_DEP_1)
	v_alignbit_b32 v3, v14, v13, 2
	v_lshrrev_b32_e32 v11, 2, v14
	s_waitcnt vmcnt(0) lgkmcnt(0)
	v_add_nc_u32_e32 v35, 0xbb67ae85, v16
	v_add_nc_u32_e32 v36, 0x3c6ef372, v15
	;; [unrolled: 1-line block ×3, first 2 shown]
	v_add_co_u32 v12, vcc_lo, v3, 1
	s_delay_alu instid0(VALU_DEP_1) | instskip(SKIP_4) | instid1(VALU_DEP_4)
	v_cndmask_b32_e64 v7, 0, 1, vcc_lo
	v_add_co_ci_u32_e32 v14, vcc_lo, 0, v11, vcc_lo
	v_xor3_b32 v19, v27, v15, v11
	v_add_nc_u32_e32 v39, 0xed9eba14, v16
	v_add_nc_u32_e32 v40, 0x1fd5c5a3, v16
	v_cmp_eq_u32_e32 vcc_lo, 0, v14
	s_mov_b32 s1, exec_lo
	v_dual_cndmask_b32 v17, 0, v7 :: v_dual_add_nc_u32 v38, 0x32370b8f, v16
	v_mad_u64_u32 v[7:8], null, 0xd2511f53, v12, 0
	v_mad_u64_u32 v[11:12], null, 0xd2511f53, v3, 0
	s_delay_alu instid0(VALU_DEP_3) | instskip(NEXT) | instid1(VALU_DEP_3)
	v_add_nc_u32_e32 v21, v17, v1
	v_xor_b32_e32 v8, v8, v16
	s_delay_alu instid0(VALU_DEP_2) | instskip(SKIP_1) | instid1(VALU_DEP_1)
	v_cmp_eq_u32_e32 vcc_lo, 0, v21
	v_dual_cndmask_b32 v17, 0, v17 :: v_dual_add_nc_u32 v34, 0x9e3779b9, v15
	v_xor_b32_e32 v3, v17, v8
	v_mad_u64_u32 v[17:18], null, 0xd2511f53, v19, 0
	v_mad_u64_u32 v[19:20], null, 0xcd9e8d57, v21, 0
	s_delay_alu instid0(VALU_DEP_3) | instskip(SKIP_1) | instid1(VALU_DEP_4)
	v_mad_u64_u32 v[21:22], null, 0xcd9e8d57, v3, 0
	v_xor_b32_e32 v3, v12, v16
	v_xor3_b32 v8, v35, v18, v11
	s_delay_alu instid0(VALU_DEP_2) | instskip(SKIP_2) | instid1(VALU_DEP_4)
	v_mad_u64_u32 v[11:12], null, 0xcd9e8d57, v3, 0
	v_xor3_b32 v3, v20, v15, v14
	v_xor3_b32 v14, v34, v22, v19
	v_mad_u64_u32 v[18:19], null, 0xcd9e8d57, v8, 0
	s_delay_alu instid0(VALU_DEP_3) | instskip(NEXT) | instid1(VALU_DEP_3)
	v_mad_u64_u32 v[22:23], null, 0xd2511f53, v3, 0
	v_mad_u64_u32 v[24:25], null, 0xd2511f53, v14, 0
	v_xor3_b32 v3, v2, v12, v34
	s_delay_alu instid0(VALU_DEP_4) | instskip(SKIP_1) | instid1(VALU_DEP_3)
	v_xor3_b32 v19, v36, v19, v11
	v_add_nc_u32_e32 v14, 0xdaa66d2b, v15
	v_mad_u64_u32 v[11:12], null, 0xd2511f53, v3, 0
	v_xor3_b32 v3, v35, v23, v7
	v_xor3_b32 v25, v37, v25, v22
	v_mad_u64_u32 v[7:8], null, 0xd2511f53, v19, 0
	s_delay_alu instid0(VALU_DEP_3) | instskip(NEXT) | instid1(VALU_DEP_3)
	v_mad_u64_u32 v[19:20], null, 0xcd9e8d57, v3, 0
	v_mad_u64_u32 v[22:23], null, 0xcd9e8d57, v25, 0
	v_xor3_b32 v3, v37, v12, v17
	s_delay_alu instid0(VALU_DEP_4) | instskip(SKIP_1) | instid1(VALU_DEP_3)
	v_xor3_b32 v8, v38, v8, v11
	v_add_nc_u32_e32 v25, 0x78dde6e4, v15
	v_mad_u64_u32 v[11:12], null, 0xcd9e8d57, v3, 0
	v_xor3_b32 v3, v36, v20, v21
	v_xor3_b32 v17, v14, v23, v19
	v_mad_u64_u32 v[19:20], null, 0xcd9e8d57, v8, 0
	v_add_nc_u32_e32 v21, 0xa9066899, v16
	s_delay_alu instid0(VALU_DEP_4) | instskip(NEXT) | instid1(VALU_DEP_4)
	v_mad_u64_u32 v[34:35], null, 0xd2511f53, v3, 0
	v_mad_u64_u32 v[36:37], null, 0xd2511f53, v17, 0
	v_xor3_b32 v3, v14, v12, v18
	v_xor3_b32 v8, v25, v20, v11
	v_add_nc_u32_e32 v14, 0x1715609d, v15
	s_delay_alu instid0(VALU_DEP_3) | instskip(SKIP_4) | instid1(VALU_DEP_4)
	v_mad_u64_u32 v[11:12], null, 0xd2511f53, v3, 0
	v_xor3_b32 v3, v38, v35, v24
	v_xor3_b32 v20, v39, v37, v34
	v_mad_u64_u32 v[23:24], null, 0xd2511f53, v8, 0
	v_add_nc_u32_e32 v35, 0xb54cda56, v15
	v_mad_u64_u32 v[17:18], null, 0xcd9e8d57, v3, 0
	s_delay_alu instid0(VALU_DEP_4) | instskip(SKIP_3) | instid1(VALU_DEP_3)
	v_mad_u64_u32 v[37:38], null, 0xcd9e8d57, v20, 0
	v_xor3_b32 v3, v39, v12, v7
	v_xor3_b32 v20, v21, v24, v11
	v_add_nc_u32_e32 v34, 0x646e171e, v16
	v_mad_u64_u32 v[7:8], null, 0xcd9e8d57, v3, 0
	v_xor3_b32 v3, v25, v18, v22
	v_xor3_b32 v22, v14, v38, v17
	v_mad_u64_u32 v[11:12], null, 0xcd9e8d57, v20, 0
	s_delay_alu instid0(VALU_DEP_3) | instskip(NEXT) | instid1(VALU_DEP_3)
	v_mad_u64_u32 v[17:18], null, 0xd2511f53, v3, 0
	v_mad_u64_u32 v[38:39], null, 0xd2511f53, v22, 0
	v_xor3_b32 v3, v14, v8, v19
	s_delay_alu instid0(VALU_DEP_4) | instskip(SKIP_1) | instid1(VALU_DEP_3)
	v_xor3_b32 v12, v35, v12, v7
	v_add_nc_u32_e32 v14, 0x5384540f, v15
	v_mad_u64_u32 v[7:8], null, 0xd2511f53, v3, 0
	v_xor3_b32 v3, v21, v18, v36
	v_xor3_b32 v19, v34, v39, v17
	v_mad_u64_u32 v[17:18], null, 0xd2511f53, v12, 0
	s_delay_alu instid0(VALU_DEP_3) | instskip(NEXT) | instid1(VALU_DEP_3)
	v_mad_u64_u32 v[24:25], null, 0xcd9e8d57, v3, 0
	v_mad_u64_u32 v[20:21], null, 0xcd9e8d57, v19, 0
	v_xor3_b32 v3, v34, v8, v23
	s_delay_alu instid0(VALU_DEP_4) | instskip(SKIP_1) | instid1(VALU_DEP_3)
	v_xor3_b32 v12, v40, v18, v7
	v_add_co_u32 v34, null, 0xf1bbcdc8, v15
	v_mad_u64_u32 v[7:8], null, 0xcd9e8d57, v3, 0
	v_xor3_b32 v3, v35, v25, v37
	v_xor3_b32 v21, v14, v21, v24
	v_mad_u64_u32 v[18:19], null, 0xcd9e8d57, v12, 0
	v_add_nc_u32_e32 v35, 0xdb3d7428, v16
	s_delay_alu instid0(VALU_DEP_4) | instskip(NEXT) | instid1(VALU_DEP_4)
	v_mad_u64_u32 v[36:37], null, 0xd2511f53, v3, 0
	v_mad_u64_u32 v[23:24], null, 0xd2511f53, v21, 0
	v_xor3_b32 v3, v14, v8, v11
	v_xor3_b32 v11, v34, v19, v7
	v_add_nc_u32_e32 v19, 0x96a522ad, v16
	v_add_nc_u32_e32 v16, 0x8ff34781, v15
	v_and_b32_e32 v15, 3, v13
	v_mad_u64_u32 v[21:22], null, 0xd2511f53, v3, 0
	v_xor3_b32 v3, v40, v37, v38
	v_xor3_b32 v14, v35, v24, v36
	v_mad_u64_u32 v[7:8], null, 0xd2511f53, v11, 0
	s_delay_alu instid0(VALU_DEP_3) | instskip(NEXT) | instid1(VALU_DEP_3)
	v_mad_u64_u32 v[24:25], null, 0xcd9e8d57, v3, 0
	v_mad_u64_u32 v[11:12], null, 0xcd9e8d57, v14, 0
                                        ; implicit-def: $vgpr3
	s_delay_alu instid0(VALU_DEP_3) | instskip(NEXT) | instid1(VALU_DEP_2)
	v_xor3_b32 v8, v8, v21, v19
	v_xor3_b32 v14, v12, v24, v16
	v_cmpx_lt_i32_e32 1, v15
	s_xor_b32 s1, exec_lo, s1
	s_cbranch_execz .LBB0_11
; %bb.6:                                ;   in Loop: Header=BB0_3 Depth=1
	s_mov_b32 s28, exec_lo
                                        ; implicit-def: $vgpr3
	v_cmpx_lt_i32_e32 2, v15
	s_xor_b32 s28, exec_lo, s28
; %bb.7:                                ;   in Loop: Header=BB0_3 Depth=1
	v_xor3_b32 v3, v34, v25, v20
                                        ; implicit-def: $vgpr8
	s_delay_alu instid0(VALU_DEP_1) | instskip(NEXT) | instid1(VALU_DEP_1)
	v_mul_hi_u32 v3, 0xd2511f53, v3
	v_xor3_b32 v3, v3, v23, v19
; %bb.8:                                ;   in Loop: Header=BB0_3 Depth=1
	s_and_not1_saveexec_b32 s28, s28
; %bb.9:                                ;   in Loop: Header=BB0_3 Depth=1
	v_mov_b32_e32 v3, v11
	v_dual_mov_b32 v11, v14 :: v_dual_mov_b32 v14, v7
	v_mov_b32_e32 v7, v8
; %bb.10:                               ;   in Loop: Header=BB0_3 Depth=1
	s_or_b32 exec_lo, exec_lo, s28
                                        ; implicit-def: $vgpr17_vgpr18
                                        ; implicit-def: $vgpr15
                                        ; implicit-def: $vgpr8
                                        ; implicit-def: $vgpr35
                                        ; implicit-def: $vgpr21_vgpr22
                                        ; implicit-def: $vgpr16
                                        ; implicit-def: $vgpr18_vgpr19
.LBB0_11:                               ;   in Loop: Header=BB0_3 Depth=1
	s_and_not1_saveexec_b32 s1, s1
	s_cbranch_execz .LBB0_15
; %bb.12:                               ;   in Loop: Header=BB0_3 Depth=1
	v_xor3_b32 v3, v35, v22, v17
	v_cmp_eq_u32_e32 vcc_lo, 1, v15
	v_mov_b32_e32 v11, v8
	s_delay_alu instid0(VALU_DEP_3) | instskip(SKIP_1) | instid1(VALU_DEP_2)
	v_mad_u64_u32 v[12:13], null, 0xcd9e8d57, v3, 0
	v_mov_b32_e32 v3, v7
	v_xor3_b32 v15, v13, v18, v16
	s_delay_alu instid0(VALU_DEP_3)
	v_mov_b32_e32 v13, v12
	s_and_saveexec_b32 s28, vcc_lo
; %bb.13:                               ;   in Loop: Header=BB0_3 Depth=1
	v_mov_b32_e32 v3, v14
	v_mov_b32_e32 v11, v7
	;; [unrolled: 1-line block ×4, first 2 shown]
; %bb.14:                               ;   in Loop: Header=BB0_3 Depth=1
	s_or_b32 exec_lo, exec_lo, s28
	s_delay_alu instid0(VALU_DEP_1)
	v_dual_mov_b32 v7, v15 :: v_dual_mov_b32 v14, v13
.LBB0_15:                               ;   in Loop: Header=BB0_3 Depth=1
	s_or_b32 exec_lo, exec_lo, s1
	v_min_i32_e32 v12, 4, v26
	s_mov_b32 s28, 0
	s_mov_b32 s1, 0
	s_mov_b32 s33, exec_lo
                                        ; implicit-def: $sgpr29
                                        ; implicit-def: $sgpr30
                                        ; implicit-def: $sgpr31
	s_delay_alu instid0(VALU_DEP_1)
	v_cmpx_lt_i32_e32 2, v12
	s_xor_b32 s33, exec_lo, s33
	s_cbranch_execz .LBB0_25
; %bb.16:                               ;   in Loop: Header=BB0_3 Depth=1
	s_mov_b32 s1, -1
	s_mov_b32 s30, exec_lo
                                        ; implicit-def: $sgpr29
                                        ; implicit-def: $sgpr34
	v_cmpx_lt_i32_e32 3, v12
	s_cbranch_execz .LBB0_20
; %bb.17:                               ;   in Loop: Header=BB0_3 Depth=1
	v_cmp_le_f64_e32 vcc_lo, 0, v[9:10]
	v_cmp_ge_f64_e64 s1, 1.0, v[9:10]
	s_mov_b32 s29, 0
	s_delay_alu instid0(VALU_DEP_1)
	s_and_b32 s34, vcc_lo, s1
	s_mov_b32 s1, 0
	s_and_saveexec_b32 s31, s34
	s_cbranch_execz .LBB0_19
; %bb.18:                               ;   in Loop: Header=BB0_3 Depth=1
	v_cvt_f32_u32_e32 v3, v3
	s_mov_b32 s1, exec_lo
	s_delay_alu instid0(VALU_DEP_1) | instskip(NEXT) | instid1(VALU_DEP_1)
	v_dual_mov_b32 v8, v4 :: v_dual_fmaak_f32 v3, 0x2f800000, v3, 0x2f800000
	v_cvt_f64_f32_e32 v[15:16], v3
	v_add_nc_u32_e32 v3, s21, v29
	s_delay_alu instid0(VALU_DEP_1) | instskip(NEXT) | instid1(VALU_DEP_1)
	v_cndmask_b32_e64 v3, 0, v3, s0
	v_lshlrev_b64 v[17:18], 3, v[3:4]
	s_delay_alu instid0(VALU_DEP_1) | instskip(NEXT) | instid1(VALU_DEP_2)
	v_add_co_u32 v17, vcc_lo, s2, v17
	v_add_co_ci_u32_e32 v18, vcc_lo, s3, v18, vcc_lo
	v_cmp_ge_f64_e32 vcc_lo, v[9:10], v[15:16]
	v_cndmask_b32_e64 v9, 0, 0x3ff00000, vcc_lo
	global_store_b64 v[17:18], v[8:9], off
.LBB0_19:                               ;   in Loop: Header=BB0_3 Depth=1
	s_or_b32 exec_lo, exec_lo, s31
	s_mov_b32 s34, -1
	s_or_not1_b32 s1, s1, exec_lo
.LBB0_20:                               ;   in Loop: Header=BB0_3 Depth=1
	s_or_b32 exec_lo, exec_lo, s30
	s_mov_b32 s0, 0
	s_mov_b32 s35, s29
	s_and_saveexec_b32 s30, s1
	s_cbranch_execz .LBB0_24
; %bb.21:                               ;   in Loop: Header=BB0_3 Depth=1
	v_add_nc_u32_e32 v3, s19, v31
	v_cmp_lt_i32_e32 vcc_lo, 2, v26
	s_mov_b32 s31, 0
	s_delay_alu instid0(VALU_DEP_2) | instskip(NEXT) | instid1(VALU_DEP_1)
	v_cndmask_b32_e32 v3, 0, v3, vcc_lo
	v_lshlrev_b64 v[8:9], 3, v[3:4]
	s_delay_alu instid0(VALU_DEP_1) | instskip(NEXT) | instid1(VALU_DEP_1)
	v_add_co_u32 v8, s0, s8, v8
	v_add_co_ci_u32_e64 v9, s0, s9, v9, s0
	global_load_b64 v[8:9], v[8:9], off
	s_waitcnt vmcnt(0)
	v_cmp_le_f64_e64 s0, 0, v[8:9]
	v_cmp_ge_f64_e64 s1, 1.0, v[8:9]
	s_delay_alu instid0(VALU_DEP_1) | instskip(NEXT) | instid1(SALU_CYCLE_1)
	s_and_b32 s0, s0, s1
	s_and_saveexec_b32 s1, s0
	s_delay_alu instid0(SALU_CYCLE_1)
	s_xor_b32 s0, exec_lo, s1
	s_cbranch_execz .LBB0_23
; %bb.22:                               ;   in Loop: Header=BB0_3 Depth=1
	v_cvt_f32_u32_e32 v3, v11
	s_mov_b32 s31, exec_lo
	s_delay_alu instid0(VALU_DEP_1) | instskip(NEXT) | instid1(VALU_DEP_1)
	v_fmaak_f32 v3, 0x2f800000, v3, 0x2f800000
	v_cvt_f64_f32_e32 v[10:11], v3
	v_add_nc_u32_e32 v3, s21, v28
	s_delay_alu instid0(VALU_DEP_1) | instskip(NEXT) | instid1(VALU_DEP_1)
	v_cndmask_b32_e32 v3, 0, v3, vcc_lo
	v_lshlrev_b64 v[15:16], 3, v[3:4]
	s_delay_alu instid0(VALU_DEP_1) | instskip(NEXT) | instid1(VALU_DEP_2)
	v_add_co_u32 v15, vcc_lo, s2, v15
	v_add_co_ci_u32_e32 v16, vcc_lo, s3, v16, vcc_lo
	v_cmp_ge_f64_e32 vcc_lo, v[8:9], v[10:11]
	v_mov_b32_e32 v8, v4
	v_cndmask_b32_e64 v9, 0, 0x3ff00000, vcc_lo
	global_store_b64 v[15:16], v[8:9], off
.LBB0_23:                               ;   in Loop: Header=BB0_3 Depth=1
	s_or_b32 exec_lo, exec_lo, s0
	s_delay_alu instid0(SALU_CYCLE_1)
	s_and_not1_b32 s35, s29, exec_lo
	s_or_b32 s29, s29, exec_lo
	s_and_not1_b32 s34, s34, exec_lo
	s_and_b32 s0, s31, exec_lo
.LBB0_24:                               ;   in Loop: Header=BB0_3 Depth=1
	s_or_b32 exec_lo, exec_lo, s30
	s_delay_alu instid0(SALU_CYCLE_1)
	s_and_b32 s31, s35, exec_lo
	s_and_b32 s30, s29, exec_lo
	;; [unrolled: 1-line block ×4, first 2 shown]
.LBB0_25:                               ;   in Loop: Header=BB0_3 Depth=1
	s_and_not1_saveexec_b32 s0, s33
; %bb.26:                               ;   in Loop: Header=BB0_3 Depth=1
	v_cmp_lt_i32_e32 vcc_lo, 1, v12
	s_and_not1_b32 s1, s1, exec_lo
	s_mov_b32 s28, exec_lo
	s_and_not1_b32 s31, s31, exec_lo
	s_and_not1_b32 s30, s30, exec_lo
	s_and_b32 s33, vcc_lo, exec_lo
	s_and_not1_b32 s29, s29, exec_lo
	s_or_b32 s1, s1, s33
; %bb.27:                               ;   in Loop: Header=BB0_3 Depth=1
	s_or_b32 exec_lo, exec_lo, s0
	s_mov_b32 s33, 0
	s_mov_b32 s0, 0
	;; [unrolled: 1-line block ×3, first 2 shown]
	s_and_saveexec_b32 s35, s1
	s_cbranch_execnz .LBB0_30
; %bb.28:                               ;   in Loop: Header=BB0_3 Depth=1
	s_or_b32 exec_lo, exec_lo, s35
	s_and_saveexec_b32 s1, s28
	s_cbranch_execnz .LBB0_33
.LBB0_29:                               ;   in Loop: Header=BB0_3 Depth=1
	s_or_b32 exec_lo, exec_lo, s1
	s_and_saveexec_b32 s28, s0
	s_cbranch_execnz .LBB0_34
	s_branch .LBB0_37
.LBB0_30:                               ;   in Loop: Header=BB0_3 Depth=1
	v_add_nc_u32_e32 v3, s19, v6
	v_cmp_lt_i32_e32 vcc_lo, 1, v26
	s_mov_b32 s36, 0
	s_delay_alu instid0(VALU_DEP_2) | instskip(NEXT) | instid1(VALU_DEP_1)
	v_cndmask_b32_e32 v3, 0, v3, vcc_lo
	v_lshlrev_b64 v[8:9], 3, v[3:4]
	s_delay_alu instid0(VALU_DEP_1) | instskip(NEXT) | instid1(VALU_DEP_1)
	v_add_co_u32 v8, s0, s8, v8
	v_add_co_ci_u32_e64 v9, s0, s9, v9, s0
	global_load_b64 v[8:9], v[8:9], off
	s_waitcnt vmcnt(0)
	v_cmp_le_f64_e64 s0, 0, v[8:9]
	v_cmp_ge_f64_e64 s1, 1.0, v[8:9]
	s_delay_alu instid0(VALU_DEP_1) | instskip(NEXT) | instid1(SALU_CYCLE_1)
	s_and_b32 s0, s0, s1
	s_and_saveexec_b32 s1, s0
	s_delay_alu instid0(SALU_CYCLE_1)
	s_xor_b32 s0, exec_lo, s1
	s_cbranch_execz .LBB0_32
; %bb.31:                               ;   in Loop: Header=BB0_3 Depth=1
	v_cvt_f32_u32_e32 v3, v14
	s_mov_b32 s36, exec_lo
	s_delay_alu instid0(VALU_DEP_1) | instskip(NEXT) | instid1(VALU_DEP_1)
	v_fmaak_f32 v3, 0x2f800000, v3, 0x2f800000
	v_cvt_f64_f32_e32 v[10:11], v3
	v_add_nc_u32_e32 v3, s21, v5
	s_delay_alu instid0(VALU_DEP_1) | instskip(NEXT) | instid1(VALU_DEP_1)
	v_cndmask_b32_e32 v3, 0, v3, vcc_lo
	v_lshlrev_b64 v[13:14], 3, v[3:4]
	s_delay_alu instid0(VALU_DEP_1) | instskip(NEXT) | instid1(VALU_DEP_2)
	v_add_co_u32 v13, vcc_lo, s2, v13
	v_add_co_ci_u32_e32 v14, vcc_lo, s3, v14, vcc_lo
	v_cmp_ge_f64_e32 vcc_lo, v[8:9], v[10:11]
	v_mov_b32_e32 v8, v4
	v_cndmask_b32_e64 v9, 0, 0x3ff00000, vcc_lo
	global_store_b64 v[13:14], v[8:9], off
.LBB0_32:                               ;   in Loop: Header=BB0_3 Depth=1
	s_or_b32 exec_lo, exec_lo, s0
	s_delay_alu instid0(SALU_CYCLE_1)
	s_and_not1_b32 s34, s31, exec_lo
	s_or_b32 s31, s31, exec_lo
	s_and_not1_b32 s30, s30, exec_lo
	s_and_not1_b32 s29, s29, exec_lo
	s_and_b32 s0, s36, exec_lo
	s_and_not1_b32 s28, s28, exec_lo
	s_or_b32 exec_lo, exec_lo, s35
	s_and_saveexec_b32 s1, s28
	s_cbranch_execz .LBB0_29
.LBB0_33:                               ;   in Loop: Header=BB0_3 Depth=1
	v_cmp_eq_u32_e32 vcc_lo, 1, v12
	s_and_not1_b32 s0, s0, exec_lo
	s_mov_b32 s33, exec_lo
	s_and_not1_b32 s34, s34, exec_lo
	s_and_not1_b32 s31, s31, exec_lo
	s_and_b32 s28, vcc_lo, exec_lo
	s_and_not1_b32 s30, s30, exec_lo
	s_and_not1_b32 s29, s29, exec_lo
	s_or_b32 s0, s0, s28
	s_or_b32 exec_lo, exec_lo, s1
	s_and_saveexec_b32 s28, s0
	s_cbranch_execz .LBB0_37
.LBB0_34:                               ;   in Loop: Header=BB0_3 Depth=1
	v_add_nc_u32_e32 v3, s19, v33
	v_cmp_lt_i32_e32 vcc_lo, 0, v26
	s_mov_b32 s35, 0
	s_delay_alu instid0(VALU_DEP_2) | instskip(NEXT) | instid1(VALU_DEP_1)
	v_cndmask_b32_e32 v3, 0, v3, vcc_lo
	v_lshlrev_b64 v[8:9], 3, v[3:4]
	s_delay_alu instid0(VALU_DEP_1) | instskip(NEXT) | instid1(VALU_DEP_1)
	v_add_co_u32 v8, s0, s8, v8
	v_add_co_ci_u32_e64 v9, s0, s9, v9, s0
	global_load_b64 v[8:9], v[8:9], off
	s_waitcnt vmcnt(0)
	v_cmp_le_f64_e64 s0, 0, v[8:9]
	v_cmp_ge_f64_e64 s1, 1.0, v[8:9]
	s_delay_alu instid0(VALU_DEP_1) | instskip(NEXT) | instid1(SALU_CYCLE_1)
	s_and_b32 s1, s0, s1
	s_and_saveexec_b32 s0, s1
	s_cbranch_execz .LBB0_36
; %bb.35:                               ;   in Loop: Header=BB0_3 Depth=1
	v_cvt_f32_u32_e32 v3, v7
	v_mov_b32_e32 v7, v4
	s_mov_b32 s35, exec_lo
	s_delay_alu instid0(VALU_DEP_2) | instskip(NEXT) | instid1(VALU_DEP_1)
	v_fmaak_f32 v3, 0x2f800000, v3, 0x2f800000
	v_cvt_f64_f32_e32 v[10:11], v3
	v_add_nc_u32_e32 v3, s21, v30
	s_delay_alu instid0(VALU_DEP_1) | instskip(NEXT) | instid1(VALU_DEP_1)
	v_cndmask_b32_e32 v3, 0, v3, vcc_lo
	v_lshlrev_b64 v[12:13], 3, v[3:4]
	s_delay_alu instid0(VALU_DEP_1) | instskip(NEXT) | instid1(VALU_DEP_2)
	v_add_co_u32 v12, vcc_lo, s2, v12
	v_add_co_ci_u32_e32 v13, vcc_lo, s3, v13, vcc_lo
	v_cmp_ge_f64_e32 vcc_lo, v[8:9], v[10:11]
	v_cndmask_b32_e64 v8, 0, 0x3ff00000, vcc_lo
	global_store_b64 v[12:13], v[7:8], off
.LBB0_36:                               ;   in Loop: Header=BB0_3 Depth=1
	s_or_b32 exec_lo, exec_lo, s0
	s_delay_alu instid0(SALU_CYCLE_1)
	s_and_not1_b32 s0, s33, exec_lo
	s_and_b32 s1, s35, exec_lo
	s_or_b32 s34, s34, exec_lo
	s_and_not1_b32 s31, s31, exec_lo
	s_and_not1_b32 s30, s30, exec_lo
	;; [unrolled: 1-line block ×3, first 2 shown]
	s_or_b32 s33, s0, s1
.LBB0_37:                               ;   in Loop: Header=BB0_3 Depth=1
	s_or_b32 exec_lo, exec_lo, s28
	s_delay_alu instid0(SALU_CYCLE_1)
	s_and_not1_b32 s1, s27, exec_lo
	s_and_b32 s27, s34, exec_lo
	s_and_not1_b32 s25, s25, exec_lo
	s_and_b32 s28, s31, exec_lo
	s_or_b32 s27, s1, s27
	s_or_b32 s25, s25, s28
	s_and_not1_b32 s1, s26, exec_lo
	s_and_b32 s26, s30, exec_lo
	s_and_not1_b32 s24, s24, exec_lo
	s_and_b32 s28, s29, exec_lo
	s_mov_b32 s0, -1
	s_or_b32 s26, s1, s26
	s_or_b32 s24, s24, s28
	s_and_saveexec_b32 s1, s33
	s_cbranch_execz .LBB0_2
; %bb.38:                               ;   in Loop: Header=BB0_3 Depth=1
	v_add_nc_u32_e32 v0, s16, v0
	v_subrev_nc_u32_e32 v26, s16, v26
	s_add_i32 s21, s21, s17
	s_add_i32 s19, s19, s18
	s_and_not1_b32 s27, s27, exec_lo
	v_cmp_le_u32_e32 vcc_lo, s12, v0
	s_and_not1_b32 s25, s25, exec_lo
	s_and_not1_b32 s26, s26, exec_lo
	;; [unrolled: 1-line block ×3, first 2 shown]
	s_or_not1_b32 s0, vcc_lo, exec_lo
	s_branch .LBB0_2
.LBB0_39:
	s_or_b32 exec_lo, exec_lo, s13
	s_xor_b32 s3, s22, -1
	s_xor_b32 s4, s23, -1
	;; [unrolled: 1-line block ×3, first 2 shown]
	s_mov_b32 s1, 0
	s_and_saveexec_b32 s2, s0
	s_delay_alu instid0(SALU_CYCLE_1)
	s_xor_b32 s0, exec_lo, s2
	s_cbranch_execz .LBB0_48
; %bb.40:
	s_mov_b32 s2, 0
	s_and_saveexec_b32 s1, s4
	s_delay_alu instid0(SALU_CYCLE_1)
	s_xor_b32 s1, exec_lo, s1
	s_cbranch_execz .LBB0_46
; %bb.41:
	s_and_saveexec_b32 s4, s3
	s_delay_alu instid0(SALU_CYCLE_1)
	s_xor_b32 s3, exec_lo, s4
	s_cbranch_execz .LBB0_44
; %bb.42:
	s_and_saveexec_b32 s4, s14
	s_delay_alu instid0(SALU_CYCLE_1)
	s_xor_b32 s4, exec_lo, s4
	s_cbranch_execnz .LBB0_62
.LBB0_43:
	s_or_b32 exec_lo, exec_lo, s4
	s_delay_alu instid0(SALU_CYCLE_1)
	s_and_b32 s2, s2, exec_lo
.LBB0_44:
	s_and_not1_saveexec_b32 s3, s3
	s_cbranch_execnz .LBB0_58
.LBB0_45:
	s_or_b32 exec_lo, exec_lo, s3
	s_delay_alu instid0(SALU_CYCLE_1)
	s_and_b32 s2, s2, exec_lo
.LBB0_46:
	s_and_not1_saveexec_b32 s1, s1
	s_cbranch_execnz .LBB0_54
.LBB0_47:
	s_or_b32 exec_lo, exec_lo, s1
	s_delay_alu instid0(SALU_CYCLE_1)
	s_and_b32 s1, s2, exec_lo
.LBB0_48:
	s_and_not1_saveexec_b32 s0, s0
	s_cbranch_execnz .LBB0_52
; %bb.49:
	s_or_b32 exec_lo, exec_lo, s0
	s_delay_alu instid0(SALU_CYCLE_1)
	s_and_b32 exec_lo, exec_lo, s1
.LBB0_50:
	; divergent unreachable
.LBB0_51:
	s_nop 0
	s_sendmsg sendmsg(MSG_DEALLOC_VGPRS)
	s_endpgm
.LBB0_52:
	s_cbranch_execnz .LBB0_56
; %bb.53:
	s_or_b32 s1, s1, exec_lo
	s_or_b32 exec_lo, exec_lo, s0
	s_delay_alu instid0(SALU_CYCLE_1)
	s_and_b32 exec_lo, exec_lo, s1
	s_cbranch_execnz .LBB0_50
	s_branch .LBB0_51
.LBB0_54:
	s_cbranch_execnz .LBB0_60
; %bb.55:
	s_or_b32 s2, s2, exec_lo
	s_branch .LBB0_47
.LBB0_56:
	s_trap 2
	s_sendmsg_rtn_b32 s0, sendmsg(MSG_RTN_GET_DOORBELL)
	s_mov_b32 ttmp2, m0
	s_waitcnt lgkmcnt(0)
	s_and_b32 s0, s0, 0x3ff
	s_delay_alu instid0(SALU_CYCLE_1) | instskip(NEXT) | instid1(SALU_CYCLE_1)
	s_bitset1_b32 s0, 10
	s_mov_b32 m0, s0
	s_sendmsg sendmsg(MSG_INTERRUPT)
	s_mov_b32 m0, ttmp2
.LBB0_57:                               ; =>This Inner Loop Header: Depth=1
	s_sethalt 5
	s_branch .LBB0_57
.LBB0_58:
	s_cbranch_execnz .LBB0_64
; %bb.59:
	s_or_b32 s2, s2, exec_lo
	s_branch .LBB0_45
.LBB0_60:
	s_trap 2
	s_sendmsg_rtn_b32 s0, sendmsg(MSG_RTN_GET_DOORBELL)
	s_mov_b32 ttmp2, m0
	s_waitcnt lgkmcnt(0)
	s_and_b32 s0, s0, 0x3ff
	s_delay_alu instid0(SALU_CYCLE_1) | instskip(NEXT) | instid1(SALU_CYCLE_1)
	s_bitset1_b32 s0, 10
	s_mov_b32 m0, s0
	s_sendmsg sendmsg(MSG_INTERRUPT)
	s_mov_b32 m0, ttmp2
.LBB0_61:                               ; =>This Inner Loop Header: Depth=1
	s_sethalt 5
	s_branch .LBB0_61
.LBB0_62:
	s_cbranch_execnz .LBB0_66
; %bb.63:
	s_mov_b32 s2, exec_lo
	s_branch .LBB0_43
.LBB0_64:
	s_trap 2
	s_sendmsg_rtn_b32 s0, sendmsg(MSG_RTN_GET_DOORBELL)
	s_mov_b32 ttmp2, m0
	s_waitcnt lgkmcnt(0)
	s_and_b32 s0, s0, 0x3ff
	s_delay_alu instid0(SALU_CYCLE_1) | instskip(NEXT) | instid1(SALU_CYCLE_1)
	s_bitset1_b32 s0, 10
	s_mov_b32 m0, s0
	s_sendmsg sendmsg(MSG_INTERRUPT)
	s_mov_b32 m0, ttmp2
.LBB0_65:                               ; =>This Inner Loop Header: Depth=1
	s_sethalt 5
	s_branch .LBB0_65
.LBB0_66:
	s_trap 2
	s_sendmsg_rtn_b32 s0, sendmsg(MSG_RTN_GET_DOORBELL)
	s_mov_b32 ttmp2, m0
	s_waitcnt lgkmcnt(0)
	s_and_b32 s0, s0, 0x3ff
	s_delay_alu instid0(SALU_CYCLE_1) | instskip(NEXT) | instid1(SALU_CYCLE_1)
	s_bitset1_b32 s0, 10
	s_mov_b32 m0, s0
	s_sendmsg sendmsg(MSG_INTERRUPT)
	s_mov_b32 m0, ttmp2
.LBB0_67:                               ; =>This Inner Loop Header: Depth=1
	s_sethalt 5
	s_branch .LBB0_67
	.section	.rodata,"a",@progbits
	.p2align	6, 0x0
	.amdhsa_kernel _ZN2at4cuda12_GLOBAL__N_121kernelPointwiseApply2IZNS_6native9templates4cuda28bernoulli_tensor_cuda_kernelIddEEvRKNS_10TensorBaseES9_NS_15PhiloxCudaStateEEUliRdSB_SB_SB_RKdSD_SD_SD_E_dSC_jLi1ELi1ELi4ELi512ELi2EEEvNS0_6detail10TensorInfoIT0_T2_EENSG_IT1_SI_EESI_T_
		.amdhsa_group_segment_fixed_size 0
		.amdhsa_private_segment_fixed_size 0
		.amdhsa_kernarg_size 728
		.amdhsa_user_sgpr_count 15
		.amdhsa_user_sgpr_dispatch_ptr 0
		.amdhsa_user_sgpr_queue_ptr 0
		.amdhsa_user_sgpr_kernarg_segment_ptr 1
		.amdhsa_user_sgpr_dispatch_id 0
		.amdhsa_user_sgpr_private_segment_size 0
		.amdhsa_wavefront_size32 1
		.amdhsa_uses_dynamic_stack 0
		.amdhsa_enable_private_segment 0
		.amdhsa_system_sgpr_workgroup_id_x 1
		.amdhsa_system_sgpr_workgroup_id_y 0
		.amdhsa_system_sgpr_workgroup_id_z 0
		.amdhsa_system_sgpr_workgroup_info 0
		.amdhsa_system_vgpr_workitem_id 0
		.amdhsa_next_free_vgpr 41
		.amdhsa_next_free_sgpr 37
		.amdhsa_reserve_vcc 1
		.amdhsa_float_round_mode_32 0
		.amdhsa_float_round_mode_16_64 0
		.amdhsa_float_denorm_mode_32 3
		.amdhsa_float_denorm_mode_16_64 3
		.amdhsa_dx10_clamp 1
		.amdhsa_ieee_mode 1
		.amdhsa_fp16_overflow 0
		.amdhsa_workgroup_processor_mode 1
		.amdhsa_memory_ordered 1
		.amdhsa_forward_progress 0
		.amdhsa_shared_vgpr_count 0
		.amdhsa_exception_fp_ieee_invalid_op 0
		.amdhsa_exception_fp_denorm_src 0
		.amdhsa_exception_fp_ieee_div_zero 0
		.amdhsa_exception_fp_ieee_overflow 0
		.amdhsa_exception_fp_ieee_underflow 0
		.amdhsa_exception_fp_ieee_inexact 0
		.amdhsa_exception_int_div_zero 0
	.end_amdhsa_kernel
	.section	.text._ZN2at4cuda12_GLOBAL__N_121kernelPointwiseApply2IZNS_6native9templates4cuda28bernoulli_tensor_cuda_kernelIddEEvRKNS_10TensorBaseES9_NS_15PhiloxCudaStateEEUliRdSB_SB_SB_RKdSD_SD_SD_E_dSC_jLi1ELi1ELi4ELi512ELi2EEEvNS0_6detail10TensorInfoIT0_T2_EENSG_IT1_SI_EESI_T_,"axG",@progbits,_ZN2at4cuda12_GLOBAL__N_121kernelPointwiseApply2IZNS_6native9templates4cuda28bernoulli_tensor_cuda_kernelIddEEvRKNS_10TensorBaseES9_NS_15PhiloxCudaStateEEUliRdSB_SB_SB_RKdSD_SD_SD_E_dSC_jLi1ELi1ELi4ELi512ELi2EEEvNS0_6detail10TensorInfoIT0_T2_EENSG_IT1_SI_EESI_T_,comdat
.Lfunc_end0:
	.size	_ZN2at4cuda12_GLOBAL__N_121kernelPointwiseApply2IZNS_6native9templates4cuda28bernoulli_tensor_cuda_kernelIddEEvRKNS_10TensorBaseES9_NS_15PhiloxCudaStateEEUliRdSB_SB_SB_RKdSD_SD_SD_E_dSC_jLi1ELi1ELi4ELi512ELi2EEEvNS0_6detail10TensorInfoIT0_T2_EENSG_IT1_SI_EESI_T_, .Lfunc_end0-_ZN2at4cuda12_GLOBAL__N_121kernelPointwiseApply2IZNS_6native9templates4cuda28bernoulli_tensor_cuda_kernelIddEEvRKNS_10TensorBaseES9_NS_15PhiloxCudaStateEEUliRdSB_SB_SB_RKdSD_SD_SD_E_dSC_jLi1ELi1ELi4ELi512ELi2EEEvNS0_6detail10TensorInfoIT0_T2_EENSG_IT1_SI_EESI_T_
                                        ; -- End function
	.section	.AMDGPU.csdata,"",@progbits
; Kernel info:
; codeLenInByte = 3288
; NumSgprs: 39
; NumVgprs: 41
; ScratchSize: 0
; MemoryBound: 0
; FloatMode: 240
; IeeeMode: 1
; LDSByteSize: 0 bytes/workgroup (compile time only)
; SGPRBlocks: 4
; VGPRBlocks: 5
; NumSGPRsForWavesPerEU: 39
; NumVGPRsForWavesPerEU: 41
; Occupancy: 16
; WaveLimiterHint : 1
; COMPUTE_PGM_RSRC2:SCRATCH_EN: 0
; COMPUTE_PGM_RSRC2:USER_SGPR: 15
; COMPUTE_PGM_RSRC2:TRAP_HANDLER: 0
; COMPUTE_PGM_RSRC2:TGID_X_EN: 1
; COMPUTE_PGM_RSRC2:TGID_Y_EN: 0
; COMPUTE_PGM_RSRC2:TGID_Z_EN: 0
; COMPUTE_PGM_RSRC2:TIDIG_COMP_CNT: 0
	.section	.text._ZN2at4cuda12_GLOBAL__N_121kernelPointwiseApply2IZNS_6native9templates4cuda28bernoulli_tensor_cuda_kernelIddEEvRKNS_10TensorBaseES9_NS_15PhiloxCudaStateEEUliRdSB_SB_SB_RKdSD_SD_SD_E_dSC_jLi1ELi2ELi4ELi512ELi2EEEvNS0_6detail10TensorInfoIT0_T2_EENSG_IT1_SI_EESI_T_,"axG",@progbits,_ZN2at4cuda12_GLOBAL__N_121kernelPointwiseApply2IZNS_6native9templates4cuda28bernoulli_tensor_cuda_kernelIddEEvRKNS_10TensorBaseES9_NS_15PhiloxCudaStateEEUliRdSB_SB_SB_RKdSD_SD_SD_E_dSC_jLi1ELi2ELi4ELi512ELi2EEEvNS0_6detail10TensorInfoIT0_T2_EENSG_IT1_SI_EESI_T_,comdat
	.globl	_ZN2at4cuda12_GLOBAL__N_121kernelPointwiseApply2IZNS_6native9templates4cuda28bernoulli_tensor_cuda_kernelIddEEvRKNS_10TensorBaseES9_NS_15PhiloxCudaStateEEUliRdSB_SB_SB_RKdSD_SD_SD_E_dSC_jLi1ELi2ELi4ELi512ELi2EEEvNS0_6detail10TensorInfoIT0_T2_EENSG_IT1_SI_EESI_T_ ; -- Begin function _ZN2at4cuda12_GLOBAL__N_121kernelPointwiseApply2IZNS_6native9templates4cuda28bernoulli_tensor_cuda_kernelIddEEvRKNS_10TensorBaseES9_NS_15PhiloxCudaStateEEUliRdSB_SB_SB_RKdSD_SD_SD_E_dSC_jLi1ELi2ELi4ELi512ELi2EEEvNS0_6detail10TensorInfoIT0_T2_EENSG_IT1_SI_EESI_T_
	.p2align	8
	.type	_ZN2at4cuda12_GLOBAL__N_121kernelPointwiseApply2IZNS_6native9templates4cuda28bernoulli_tensor_cuda_kernelIddEEvRKNS_10TensorBaseES9_NS_15PhiloxCudaStateEEUliRdSB_SB_SB_RKdSD_SD_SD_E_dSC_jLi1ELi2ELi4ELi512ELi2EEEvNS0_6detail10TensorInfoIT0_T2_EENSG_IT1_SI_EESI_T_,@function
_ZN2at4cuda12_GLOBAL__N_121kernelPointwiseApply2IZNS_6native9templates4cuda28bernoulli_tensor_cuda_kernelIddEEvRKNS_10TensorBaseES9_NS_15PhiloxCudaStateEEUliRdSB_SB_SB_RKdSD_SD_SD_E_dSC_jLi1ELi2ELi4ELi512ELi2EEEvNS0_6detail10TensorInfoIT0_T2_EENSG_IT1_SI_EESI_T_: ; @_ZN2at4cuda12_GLOBAL__N_121kernelPointwiseApply2IZNS_6native9templates4cuda28bernoulli_tensor_cuda_kernelIddEEvRKNS_10TensorBaseES9_NS_15PhiloxCudaStateEEUliRdSB_SB_SB_RKdSD_SD_SD_E_dSC_jLi1ELi2ELi4ELi512ELi2EEEvNS0_6detail10TensorInfoIT0_T2_EENSG_IT1_SI_EESI_T_
; %bb.0:
	s_clause 0x1
	s_load_b32 s4, s[0:1], 0x1e4
	s_load_b32 s16, s[0:1], 0x1b0
	s_add_u32 s2, s0, 0x1d8
	s_addc_u32 s3, s1, 0
	s_waitcnt lgkmcnt(0)
	s_and_b32 s20, s4, 0xffff
	s_mov_b32 s4, exec_lo
	v_mad_u64_u32 v[1:2], null, s15, s20, v[0:1]
	s_delay_alu instid0(VALU_DEP_1) | instskip(NEXT) | instid1(VALU_DEP_1)
	v_lshlrev_b32_e32 v0, 2, v1
	v_cmpx_gt_u32_e64 s16, v0
	s_cbranch_execz .LBB1_59
; %bb.1:
	s_clause 0x3
	s_load_b32 s17, s[0:1], 0xe4
	s_load_b32 s4, s[0:1], 0x1d0
	;; [unrolled: 1-line block ×3, first 2 shown]
	s_load_b64 s[8:9], s[0:1], 0x0
	s_load_b32 s2, s[2:3], 0x0
	s_clause 0x1
	s_load_b64 s[10:11], s[0:1], 0xd8
	s_load_b64 s[12:13], s[0:1], 0x1c8
	v_add_nc_u32_e32 v8, 3, v0
	v_sub_nc_u32_e32 v33, s16, v0
	s_mov_b32 s22, 0
	s_mov_b32 s25, 0
                                        ; implicit-def: $sgpr24
                                        ; implicit-def: $sgpr27
                                        ; implicit-def: $sgpr26
                                        ; implicit-def: $sgpr28
                                        ; implicit-def: $sgpr30
                                        ; implicit-def: $sgpr29
                                        ; implicit-def: $sgpr31
	v_add_nc_u32_e32 v7, 2, v0
	s_waitcnt lgkmcnt(0)
	v_cvt_f32_u32_e32 v2, s17
	s_bitcmp1_b32 s4, 0
	s_clause 0x1
	s_load_b64 s[14:15], s[0:1], 0x144
	s_load_b128 s[4:7], s[0:1], 0x1b8
	s_cselect_b32 s18, -1, 0
	s_sub_i32 s19, 0, s17
	v_rcp_iflag_f32_e32 v2, v2
	v_mul_lo_u32 v32, v0, s23
	v_mul_lo_u32 v36, s23, v8
	s_mul_i32 s2, s2, s20
	v_mov_b32_e32 v4, 0
	s_lshl_b32 s21, s2, 2
                                        ; implicit-def: $sgpr20
	v_mul_lo_u32 v35, s23, v7
	s_waitcnt_depctr 0xfff
	v_dual_mul_f32 v2, 0x4f7ffffe, v2 :: v_dual_add_nc_u32 v37, s23, v32
	s_mul_i32 s23, s21, s23
	s_delay_alu instid0(VALU_DEP_1) | instskip(SKIP_1) | instid1(VALU_DEP_2)
	v_cvt_u32_f32_e32 v5, v2
	v_mad_u64_u32 v[2:3], null, 0xcd9e8d57, v1, 0
	v_mul_lo_u32 v6, s19, v5
	s_delay_alu instid0(VALU_DEP_2) | instskip(NEXT) | instid1(VALU_DEP_2)
	v_mov_b32_e32 v34, v3
	v_mul_hi_u32 v6, v5, v6
	s_delay_alu instid0(VALU_DEP_1)
	v_add_nc_u32_e32 v38, v5, v6
	s_branch .LBB1_3
.LBB1_2:                                ;   in Loop: Header=BB1_3 Depth=1
	s_or_b32 exec_lo, exec_lo, s1
	s_delay_alu instid0(SALU_CYCLE_1) | instskip(NEXT) | instid1(SALU_CYCLE_1)
	s_and_b32 s0, exec_lo, s0
	s_or_b32 s22, s0, s22
	s_and_not1_b32 s0, s20, exec_lo
	s_and_b32 s1, s31, exec_lo
	s_and_not1_b32 s2, s26, exec_lo
	s_and_b32 s3, s29, exec_lo
	s_or_b32 s20, s0, s1
	s_or_b32 s26, s2, s3
	s_and_not1_b32 s0, s27, exec_lo
	s_and_b32 s1, s30, exec_lo
	s_and_not1_b32 s2, s24, exec_lo
	s_and_b32 s3, s28, exec_lo
	s_or_b32 s27, s0, s1
	s_or_b32 s24, s2, s3
	s_and_not1_b32 exec_lo, exec_lo, s22
	s_cbranch_execz .LBB1_47
.LBB1_3:                                ; =>This Inner Loop Header: Depth=1
	v_mov_b32_e32 v7, 0
	v_mov_b32_e32 v8, 0
	v_cmp_lt_i32_e64 s0, 0, v33
	s_delay_alu instid0(VALU_DEP_2) | instskip(NEXT) | instid1(VALU_DEP_2)
	v_dual_mov_b32 v5, v7 :: v_dual_mov_b32 v6, v8
	s_and_saveexec_b32 s1, s0
	s_cbranch_execz .LBB1_5
; %bb.4:                                ;   in Loop: Header=BB1_3 Depth=1
	v_mul_hi_u32 v3, v38, v0
	s_delay_alu instid0(VALU_DEP_1) | instskip(SKIP_1) | instid1(VALU_DEP_2)
	v_not_b32_e32 v11, v3
	v_mad_u64_u32 v[5:6], null, s19, v3, v[0:1]
	v_mad_u64_u32 v[9:10], null, s17, v11, v[0:1]
	s_delay_alu instid0(VALU_DEP_2) | instskip(NEXT) | instid1(VALU_DEP_2)
	v_cmp_le_u32_e32 vcc_lo, s17, v5
	v_dual_cndmask_b32 v5, v5, v9 :: v_dual_add_nc_u32 v6, 1, v3
	s_delay_alu instid0(VALU_DEP_1) | instskip(NEXT) | instid1(VALU_DEP_2)
	v_cndmask_b32_e32 v3, v3, v6, vcc_lo
	v_cmp_le_u32_e32 vcc_lo, s17, v5
	s_delay_alu instid0(VALU_DEP_2) | instskip(NEXT) | instid1(VALU_DEP_1)
	v_add_nc_u32_e32 v6, 1, v3
	v_cndmask_b32_e32 v9, v3, v6, vcc_lo
	s_delay_alu instid0(VALU_DEP_1) | instskip(SKIP_1) | instid1(VALU_DEP_1)
	v_mad_u64_u32 v[5:6], null, s19, v9, v[0:1]
	s_waitcnt lgkmcnt(0)
	v_mul_lo_u32 v3, v5, s15
	s_delay_alu instid0(VALU_DEP_1)
	v_mad_u64_u32 v[5:6], null, v9, s14, v[3:4]
	v_mov_b32_e32 v6, v4
.LBB1_5:                                ;   in Loop: Header=BB1_3 Depth=1
	s_or_b32 exec_lo, exec_lo, s1
	v_cmp_lt_i32_e64 s1, 1, v33
	s_delay_alu instid0(VALU_DEP_1)
	s_and_saveexec_b32 s2, s1
	s_cbranch_execz .LBB1_7
; %bb.6:                                ;   in Loop: Header=BB1_3 Depth=1
	v_add_nc_u32_e32 v3, 1, v0
	s_delay_alu instid0(VALU_DEP_1) | instskip(NEXT) | instid1(VALU_DEP_1)
	v_mul_hi_u32 v7, v3, v38
	v_mul_lo_u32 v8, v7, s17
	v_add_nc_u32_e32 v9, 1, v7
	s_delay_alu instid0(VALU_DEP_2) | instskip(NEXT) | instid1(VALU_DEP_1)
	v_sub_nc_u32_e32 v8, v3, v8
	v_subrev_nc_u32_e32 v10, s17, v8
	v_cmp_le_u32_e32 vcc_lo, s17, v8
	s_delay_alu instid0(VALU_DEP_2) | instskip(NEXT) | instid1(VALU_DEP_1)
	v_dual_cndmask_b32 v7, v7, v9 :: v_dual_cndmask_b32 v8, v8, v10
	v_add_nc_u32_e32 v9, 1, v7
	s_delay_alu instid0(VALU_DEP_2) | instskip(NEXT) | instid1(VALU_DEP_2)
	v_cmp_le_u32_e32 vcc_lo, s17, v8
	v_cndmask_b32_e32 v9, v7, v9, vcc_lo
	s_delay_alu instid0(VALU_DEP_1) | instskip(NEXT) | instid1(VALU_DEP_1)
	v_mul_lo_u32 v7, v9, s17
	v_sub_nc_u32_e32 v3, v3, v7
	s_waitcnt lgkmcnt(0)
	s_delay_alu instid0(VALU_DEP_1) | instskip(NEXT) | instid1(VALU_DEP_1)
	v_mul_lo_u32 v3, v3, s15
	v_mad_u64_u32 v[7:8], null, v9, s14, v[3:4]
	v_mov_b32_e32 v8, v4
.LBB1_7:                                ;   in Loop: Header=BB1_3 Depth=1
	s_or_b32 exec_lo, exec_lo, s2
	v_mov_b32_e32 v13, 0
	v_mov_b32_e32 v14, 0
	v_cmp_lt_i32_e64 s2, 2, v33
	s_delay_alu instid0(VALU_DEP_2) | instskip(NEXT) | instid1(VALU_DEP_2)
	v_dual_mov_b32 v11, v13 :: v_dual_mov_b32 v12, v14
	s_and_saveexec_b32 s3, s2
	s_cbranch_execz .LBB1_9
; %bb.8:                                ;   in Loop: Header=BB1_3 Depth=1
	v_add_nc_u32_e32 v3, 2, v0
	s_delay_alu instid0(VALU_DEP_1) | instskip(NEXT) | instid1(VALU_DEP_1)
	v_mul_hi_u32 v9, v3, v38
	v_mul_lo_u32 v10, v9, s17
	s_delay_alu instid0(VALU_DEP_1) | instskip(NEXT) | instid1(VALU_DEP_1)
	v_sub_nc_u32_e32 v10, v3, v10
	v_subrev_nc_u32_e32 v12, s17, v10
	v_cmp_le_u32_e32 vcc_lo, s17, v10
	s_delay_alu instid0(VALU_DEP_2) | instskip(NEXT) | instid1(VALU_DEP_1)
	v_dual_cndmask_b32 v10, v10, v12 :: v_dual_add_nc_u32 v11, 1, v9
	v_cndmask_b32_e32 v9, v9, v11, vcc_lo
	s_delay_alu instid0(VALU_DEP_2) | instskip(NEXT) | instid1(VALU_DEP_2)
	v_cmp_le_u32_e32 vcc_lo, s17, v10
	v_add_nc_u32_e32 v11, 1, v9
	s_delay_alu instid0(VALU_DEP_1) | instskip(NEXT) | instid1(VALU_DEP_1)
	v_cndmask_b32_e32 v9, v9, v11, vcc_lo
	v_mul_lo_u32 v10, v9, s17
	s_delay_alu instid0(VALU_DEP_1) | instskip(SKIP_1) | instid1(VALU_DEP_1)
	v_sub_nc_u32_e32 v3, v3, v10
	s_waitcnt lgkmcnt(0)
	v_mul_lo_u32 v3, v3, s15
	s_delay_alu instid0(VALU_DEP_1)
	v_mad_u64_u32 v[11:12], null, v9, s14, v[3:4]
	v_mov_b32_e32 v12, v4
.LBB1_9:                                ;   in Loop: Header=BB1_3 Depth=1
	s_or_b32 exec_lo, exec_lo, s3
	v_dual_mov_b32 v9, v13 :: v_dual_mov_b32 v10, v14
	s_mov_b32 s3, exec_lo
	v_cmpx_lt_i32_e32 3, v33
	s_cbranch_execz .LBB1_11
; %bb.10:                               ;   in Loop: Header=BB1_3 Depth=1
	v_add_nc_u32_e32 v3, 3, v0
	s_delay_alu instid0(VALU_DEP_1) | instskip(NEXT) | instid1(VALU_DEP_1)
	v_mul_hi_u32 v9, v3, v38
	v_mul_lo_u32 v10, v9, s17
	v_add_nc_u32_e32 v13, 1, v9
	s_delay_alu instid0(VALU_DEP_2) | instskip(NEXT) | instid1(VALU_DEP_1)
	v_sub_nc_u32_e32 v10, v3, v10
	v_subrev_nc_u32_e32 v14, s17, v10
	v_cmp_le_u32_e32 vcc_lo, s17, v10
	s_delay_alu instid0(VALU_DEP_2) | instskip(NEXT) | instid1(VALU_DEP_1)
	v_dual_cndmask_b32 v9, v9, v13 :: v_dual_cndmask_b32 v10, v10, v14
	v_add_nc_u32_e32 v13, 1, v9
	s_delay_alu instid0(VALU_DEP_2) | instskip(NEXT) | instid1(VALU_DEP_2)
	v_cmp_le_u32_e32 vcc_lo, s17, v10
	v_cndmask_b32_e32 v14, v9, v13, vcc_lo
	s_delay_alu instid0(VALU_DEP_1) | instskip(NEXT) | instid1(VALU_DEP_1)
	v_mul_lo_u32 v9, v14, s17
	v_sub_nc_u32_e32 v3, v3, v9
	s_waitcnt lgkmcnt(0)
	s_delay_alu instid0(VALU_DEP_1) | instskip(SKIP_1) | instid1(VALU_DEP_2)
	v_mul_lo_u32 v13, v3, s15
	v_add_nc_u32_e32 v3, s25, v36
	v_mad_u64_u32 v[9:10], null, v14, s14, v[13:14]
	v_mov_b32_e32 v14, v4
	s_delay_alu instid0(VALU_DEP_3)
	v_dual_mov_b32 v10, v4 :: v_dual_mov_b32 v13, v3
.LBB1_11:                               ;   in Loop: Header=BB1_3 Depth=1
	s_or_b32 exec_lo, exec_lo, s3
	s_delay_alu instid0(VALU_DEP_1) | instskip(SKIP_3) | instid1(VALU_DEP_3)
	v_lshlrev_b64 v[9:10], 3, v[9:10]
	s_waitcnt lgkmcnt(0)
	v_dual_mov_b32 v20, s7 :: v_dual_mov_b32 v19, s6
	v_dual_mov_b32 v22, s5 :: v_dual_mov_b32 v21, s4
	v_add_co_u32 v9, vcc_lo, s10, v9
	s_delay_alu instid0(VALU_DEP_4)
	v_add_co_ci_u32_e32 v10, vcc_lo, s11, v10, vcc_lo
	s_and_not1_b32 vcc_lo, exec_lo, s18
	global_load_b64 v[15:16], v[9:10], off
	s_cbranch_vccnz .LBB1_13
; %bb.12:                               ;   in Loop: Header=BB1_3 Depth=1
	v_dual_mov_b32 v10, s7 :: v_dual_mov_b32 v9, s6
	v_dual_mov_b32 v18, s5 :: v_dual_mov_b32 v17, s4
	flat_load_b64 v[9:10], v[9:10]
	flat_load_b64 v[21:22], v[17:18]
	s_waitcnt vmcnt(1) lgkmcnt(1)
	v_add_co_u32 v19, vcc_lo, v9, s12
	v_add_co_ci_u32_e32 v20, vcc_lo, s13, v10, vcc_lo
.LBB1_13:                               ;   in Loop: Header=BB1_3 Depth=1
	s_delay_alu instid0(VALU_DEP_1)
	v_alignbit_b32 v3, v20, v19, 2
	v_lshrrev_b32_e32 v17, 2, v20
	s_waitcnt vmcnt(0) lgkmcnt(0)
	v_add_nc_u32_e32 v39, 0x9e3779b9, v21
	v_add_nc_u32_e32 v41, 0x3c6ef372, v21
	;; [unrolled: 1-line block ×3, first 2 shown]
	v_add_co_u32 v18, vcc_lo, v3, 1
	s_delay_alu instid0(VALU_DEP_1) | instskip(SKIP_4) | instid1(VALU_DEP_4)
	v_cndmask_b32_e64 v9, 0, 1, vcc_lo
	v_add_co_ci_u32_e32 v20, vcc_lo, 0, v17, vcc_lo
	v_xor3_b32 v25, v34, v21, v17
	v_add_nc_u32_e32 v44, 0xed9eba14, v22
	v_add_nc_u32_e32 v45, 0x1fd5c5a3, v22
	v_cmp_eq_u32_e32 vcc_lo, 0, v20
	s_mov_b32 s3, exec_lo
	v_add_nc_u32_e32 v40, 0xbb67ae85, v22
	v_dual_cndmask_b32 v23, 0, v9 :: v_dual_add_nc_u32 v42, 0x76cf5d0a, v22
	v_mad_u64_u32 v[9:10], null, 0xd2511f53, v18, 0
	v_mad_u64_u32 v[17:18], null, 0xd2511f53, v3, 0
	s_delay_alu instid0(VALU_DEP_3) | instskip(NEXT) | instid1(VALU_DEP_3)
	v_add_nc_u32_e32 v27, v23, v1
	v_xor_b32_e32 v10, v10, v22
	s_delay_alu instid0(VALU_DEP_2) | instskip(SKIP_1) | instid1(VALU_DEP_1)
	v_cmp_eq_u32_e32 vcc_lo, 0, v27
	v_cndmask_b32_e32 v23, 0, v23, vcc_lo
	v_xor_b32_e32 v3, v23, v10
	v_mad_u64_u32 v[23:24], null, 0xd2511f53, v25, 0
	v_mad_u64_u32 v[25:26], null, 0xcd9e8d57, v27, 0
	s_delay_alu instid0(VALU_DEP_3) | instskip(SKIP_1) | instid1(VALU_DEP_4)
	v_mad_u64_u32 v[27:28], null, 0xcd9e8d57, v3, 0
	v_xor_b32_e32 v3, v18, v22
	v_xor3_b32 v10, v40, v24, v17
	s_delay_alu instid0(VALU_DEP_2) | instskip(SKIP_2) | instid1(VALU_DEP_4)
	v_mad_u64_u32 v[17:18], null, 0xcd9e8d57, v3, 0
	v_xor3_b32 v3, v26, v21, v20
	v_xor3_b32 v20, v39, v28, v25
	v_mad_u64_u32 v[24:25], null, 0xcd9e8d57, v10, 0
	s_delay_alu instid0(VALU_DEP_3) | instskip(NEXT) | instid1(VALU_DEP_3)
	v_mad_u64_u32 v[28:29], null, 0xd2511f53, v3, 0
	v_mad_u64_u32 v[30:31], null, 0xd2511f53, v20, 0
	v_xor3_b32 v3, v2, v18, v39
	s_delay_alu instid0(VALU_DEP_4) | instskip(SKIP_1) | instid1(VALU_DEP_3)
	v_xor3_b32 v25, v41, v25, v17
	v_add_nc_u32_e32 v20, 0xdaa66d2b, v21
	v_mad_u64_u32 v[17:18], null, 0xd2511f53, v3, 0
	v_xor3_b32 v3, v40, v29, v9
	v_xor3_b32 v31, v42, v31, v28
	v_mad_u64_u32 v[9:10], null, 0xd2511f53, v25, 0
	s_delay_alu instid0(VALU_DEP_3) | instskip(NEXT) | instid1(VALU_DEP_3)
	v_mad_u64_u32 v[25:26], null, 0xcd9e8d57, v3, 0
	v_mad_u64_u32 v[28:29], null, 0xcd9e8d57, v31, 0
	v_xor3_b32 v3, v42, v18, v23
	s_delay_alu instid0(VALU_DEP_4) | instskip(SKIP_1) | instid1(VALU_DEP_3)
	v_xor3_b32 v10, v43, v10, v17
	v_add_nc_u32_e32 v31, 0x78dde6e4, v21
	v_mad_u64_u32 v[17:18], null, 0xcd9e8d57, v3, 0
	v_xor3_b32 v3, v41, v26, v27
	v_xor3_b32 v23, v20, v29, v25
	v_mad_u64_u32 v[25:26], null, 0xcd9e8d57, v10, 0
	v_add_nc_u32_e32 v27, 0xa9066899, v22
	s_delay_alu instid0(VALU_DEP_4) | instskip(NEXT) | instid1(VALU_DEP_4)
	v_mad_u64_u32 v[39:40], null, 0xd2511f53, v3, 0
	v_mad_u64_u32 v[41:42], null, 0xd2511f53, v23, 0
	v_xor3_b32 v3, v20, v18, v24
	v_xor3_b32 v10, v31, v26, v17
	v_add_nc_u32_e32 v20, 0x1715609d, v21
	s_delay_alu instid0(VALU_DEP_3) | instskip(SKIP_4) | instid1(VALU_DEP_4)
	v_mad_u64_u32 v[17:18], null, 0xd2511f53, v3, 0
	v_xor3_b32 v3, v43, v40, v30
	v_xor3_b32 v26, v44, v42, v39
	v_mad_u64_u32 v[29:30], null, 0xd2511f53, v10, 0
	v_add_nc_u32_e32 v40, 0xb54cda56, v21
	v_mad_u64_u32 v[23:24], null, 0xcd9e8d57, v3, 0
	s_delay_alu instid0(VALU_DEP_4) | instskip(SKIP_3) | instid1(VALU_DEP_3)
	v_mad_u64_u32 v[42:43], null, 0xcd9e8d57, v26, 0
	v_xor3_b32 v3, v44, v18, v9
	v_xor3_b32 v26, v27, v30, v17
	v_add_nc_u32_e32 v39, 0x646e171e, v22
	v_mad_u64_u32 v[9:10], null, 0xcd9e8d57, v3, 0
	v_xor3_b32 v3, v31, v24, v28
	v_xor3_b32 v28, v20, v43, v23
	v_mad_u64_u32 v[17:18], null, 0xcd9e8d57, v26, 0
	s_delay_alu instid0(VALU_DEP_3) | instskip(NEXT) | instid1(VALU_DEP_3)
	v_mad_u64_u32 v[23:24], null, 0xd2511f53, v3, 0
	v_mad_u64_u32 v[43:44], null, 0xd2511f53, v28, 0
	v_xor3_b32 v3, v20, v10, v25
	s_delay_alu instid0(VALU_DEP_4) | instskip(SKIP_1) | instid1(VALU_DEP_3)
	v_xor3_b32 v18, v40, v18, v9
	v_add_nc_u32_e32 v20, 0x5384540f, v21
	v_mad_u64_u32 v[9:10], null, 0xd2511f53, v3, 0
	v_xor3_b32 v3, v27, v24, v41
	v_xor3_b32 v25, v39, v44, v23
	v_mad_u64_u32 v[23:24], null, 0xd2511f53, v18, 0
	s_delay_alu instid0(VALU_DEP_3) | instskip(NEXT) | instid1(VALU_DEP_3)
	v_mad_u64_u32 v[30:31], null, 0xcd9e8d57, v3, 0
	v_mad_u64_u32 v[26:27], null, 0xcd9e8d57, v25, 0
	v_xor3_b32 v3, v39, v10, v29
	s_delay_alu instid0(VALU_DEP_4) | instskip(SKIP_1) | instid1(VALU_DEP_3)
	v_xor3_b32 v18, v45, v24, v9
	v_add_co_u32 v39, null, 0xf1bbcdc8, v21
	v_mad_u64_u32 v[9:10], null, 0xcd9e8d57, v3, 0
	v_xor3_b32 v3, v40, v31, v42
	v_xor3_b32 v27, v20, v27, v30
	v_mad_u64_u32 v[24:25], null, 0xcd9e8d57, v18, 0
	v_add_nc_u32_e32 v40, 0xdb3d7428, v22
	s_delay_alu instid0(VALU_DEP_4) | instskip(NEXT) | instid1(VALU_DEP_4)
	v_mad_u64_u32 v[41:42], null, 0xd2511f53, v3, 0
	v_mad_u64_u32 v[29:30], null, 0xd2511f53, v27, 0
	v_xor3_b32 v3, v20, v10, v17
	v_xor3_b32 v17, v39, v25, v9
	v_add_nc_u32_e32 v25, 0x96a522ad, v22
	v_add_nc_u32_e32 v22, 0x8ff34781, v21
	v_and_b32_e32 v21, 3, v19
	v_mad_u64_u32 v[27:28], null, 0xd2511f53, v3, 0
	v_xor3_b32 v3, v45, v42, v43
	v_xor3_b32 v20, v40, v30, v41
	v_mad_u64_u32 v[9:10], null, 0xd2511f53, v17, 0
	s_delay_alu instid0(VALU_DEP_3) | instskip(NEXT) | instid1(VALU_DEP_3)
	v_mad_u64_u32 v[30:31], null, 0xcd9e8d57, v3, 0
	v_mad_u64_u32 v[17:18], null, 0xcd9e8d57, v20, 0
                                        ; implicit-def: $vgpr3
	s_delay_alu instid0(VALU_DEP_3) | instskip(NEXT) | instid1(VALU_DEP_2)
	v_xor3_b32 v10, v10, v27, v25
	v_xor3_b32 v20, v18, v30, v22
	v_cmpx_lt_i32_e32 1, v21
	s_xor_b32 s3, exec_lo, s3
	s_cbranch_execz .LBB1_19
; %bb.14:                               ;   in Loop: Header=BB1_3 Depth=1
	s_mov_b32 s33, exec_lo
                                        ; implicit-def: $vgpr3
	v_cmpx_lt_i32_e32 2, v21
	s_xor_b32 s33, exec_lo, s33
; %bb.15:                               ;   in Loop: Header=BB1_3 Depth=1
	v_xor3_b32 v3, v39, v31, v26
                                        ; implicit-def: $vgpr10
	s_delay_alu instid0(VALU_DEP_1) | instskip(NEXT) | instid1(VALU_DEP_1)
	v_mul_hi_u32 v3, 0xd2511f53, v3
	v_xor3_b32 v3, v3, v29, v25
; %bb.16:                               ;   in Loop: Header=BB1_3 Depth=1
	s_and_not1_saveexec_b32 s33, s33
; %bb.17:                               ;   in Loop: Header=BB1_3 Depth=1
	v_mov_b32_e32 v3, v17
	v_dual_mov_b32 v17, v20 :: v_dual_mov_b32 v20, v9
	v_mov_b32_e32 v9, v10
; %bb.18:                               ;   in Loop: Header=BB1_3 Depth=1
	s_or_b32 exec_lo, exec_lo, s33
                                        ; implicit-def: $vgpr23_vgpr24
                                        ; implicit-def: $vgpr21
                                        ; implicit-def: $vgpr10
                                        ; implicit-def: $vgpr40
                                        ; implicit-def: $vgpr27_vgpr28
                                        ; implicit-def: $vgpr22
                                        ; implicit-def: $vgpr24_vgpr25
.LBB1_19:                               ;   in Loop: Header=BB1_3 Depth=1
	s_and_not1_saveexec_b32 s3, s3
	s_cbranch_execz .LBB1_23
; %bb.20:                               ;   in Loop: Header=BB1_3 Depth=1
	v_xor3_b32 v3, v40, v28, v23
	v_cmp_eq_u32_e32 vcc_lo, 1, v21
	v_mov_b32_e32 v17, v10
	s_delay_alu instid0(VALU_DEP_3) | instskip(SKIP_1) | instid1(VALU_DEP_2)
	v_mad_u64_u32 v[18:19], null, 0xcd9e8d57, v3, 0
	v_mov_b32_e32 v3, v9
	v_xor3_b32 v21, v19, v24, v22
	s_delay_alu instid0(VALU_DEP_3)
	v_mov_b32_e32 v19, v18
	s_and_saveexec_b32 s33, vcc_lo
; %bb.21:                               ;   in Loop: Header=BB1_3 Depth=1
	v_mov_b32_e32 v3, v20
	v_mov_b32_e32 v17, v9
	;; [unrolled: 1-line block ×4, first 2 shown]
; %bb.22:                               ;   in Loop: Header=BB1_3 Depth=1
	s_or_b32 exec_lo, exec_lo, s33
	s_delay_alu instid0(VALU_DEP_1)
	v_dual_mov_b32 v9, v21 :: v_dual_mov_b32 v20, v19
.LBB1_23:                               ;   in Loop: Header=BB1_3 Depth=1
	s_or_b32 exec_lo, exec_lo, s3
	v_min_i32_e32 v18, 4, v33
	s_mov_b32 s33, 0
	s_mov_b32 s39, 0
	s_mov_b32 s36, exec_lo
                                        ; implicit-def: $sgpr3
                                        ; implicit-def: $sgpr34
                                        ; implicit-def: $sgpr35
	s_delay_alu instid0(VALU_DEP_1)
	v_cmpx_lt_i32_e32 2, v18
	s_xor_b32 s36, exec_lo, s36
	s_cbranch_execz .LBB1_33
; %bb.24:                               ;   in Loop: Header=BB1_3 Depth=1
	s_mov_b32 s3, -1
	s_mov_b32 s35, exec_lo
                                        ; implicit-def: $sgpr34
                                        ; implicit-def: $sgpr37
	v_cmpx_lt_i32_e32 3, v18
	s_cbranch_execz .LBB1_28
; %bb.25:                               ;   in Loop: Header=BB1_3 Depth=1
	v_cmp_le_f64_e32 vcc_lo, 0, v[15:16]
	v_cmp_ge_f64_e64 s3, 1.0, v[15:16]
	s_mov_b32 s34, 0
	s_delay_alu instid0(VALU_DEP_1)
	s_and_b32 s38, vcc_lo, s3
	s_mov_b32 s3, 0
	s_and_saveexec_b32 s37, s38
	s_cbranch_execz .LBB1_27
; %bb.26:                               ;   in Loop: Header=BB1_3 Depth=1
	v_cvt_f32_u32_e32 v3, v3
	v_lshlrev_b64 v[13:14], 3, v[13:14]
	s_mov_b32 s3, exec_lo
	s_delay_alu instid0(VALU_DEP_2) | instskip(NEXT) | instid1(VALU_DEP_2)
	v_fmaak_f32 v3, 0x2f800000, v3, 0x2f800000
	v_add_co_u32 v13, vcc_lo, s8, v13
	s_delay_alu instid0(VALU_DEP_3) | instskip(NEXT) | instid1(VALU_DEP_3)
	v_add_co_ci_u32_e32 v14, vcc_lo, s9, v14, vcc_lo
	v_cvt_f64_f32_e32 v[21:22], v3
	s_delay_alu instid0(VALU_DEP_1)
	v_cmp_ge_f64_e32 vcc_lo, v[15:16], v[21:22]
	v_mov_b32_e32 v15, v4
	v_cndmask_b32_e64 v16, 0, 0x3ff00000, vcc_lo
	global_store_b64 v[13:14], v[15:16], off
.LBB1_27:                               ;   in Loop: Header=BB1_3 Depth=1
	s_or_b32 exec_lo, exec_lo, s37
	s_mov_b32 s37, -1
	s_or_not1_b32 s3, s3, exec_lo
.LBB1_28:                               ;   in Loop: Header=BB1_3 Depth=1
	s_or_b32 exec_lo, exec_lo, s35
	s_mov_b32 s38, 0
	s_mov_b32 s39, s34
	s_and_saveexec_b32 s35, s3
	s_cbranch_execz .LBB1_32
; %bb.29:                               ;   in Loop: Header=BB1_3 Depth=1
	v_lshlrev_b64 v[10:11], 3, v[11:12]
	s_delay_alu instid0(VALU_DEP_1) | instskip(NEXT) | instid1(VALU_DEP_2)
	v_add_co_u32 v10, vcc_lo, s10, v10
	v_add_co_ci_u32_e32 v11, vcc_lo, s11, v11, vcc_lo
	global_load_b64 v[10:11], v[10:11], off
	s_waitcnt vmcnt(0)
	v_cmp_le_f64_e32 vcc_lo, 0, v[10:11]
	v_cmp_ge_f64_e64 s3, 1.0, v[10:11]
	s_delay_alu instid0(VALU_DEP_1) | instskip(SKIP_2) | instid1(SALU_CYCLE_1)
	s_and_b32 s38, vcc_lo, s3
	s_mov_b32 s3, 0
	s_and_saveexec_b32 s39, s38
	s_xor_b32 s38, exec_lo, s39
	s_cbranch_execz .LBB1_31
; %bb.30:                               ;   in Loop: Header=BB1_3 Depth=1
	v_cvt_f32_u32_e32 v3, v17
	s_mov_b32 s3, exec_lo
	s_delay_alu instid0(VALU_DEP_1) | instskip(NEXT) | instid1(VALU_DEP_1)
	v_fmaak_f32 v3, 0x2f800000, v3, 0x2f800000
	v_cvt_f64_f32_e32 v[12:13], v3
	v_add_nc_u32_e32 v3, s25, v35
	s_delay_alu instid0(VALU_DEP_1) | instskip(NEXT) | instid1(VALU_DEP_1)
	v_cndmask_b32_e64 v3, 0, v3, s2
	v_lshlrev_b64 v[14:15], 3, v[3:4]
	s_delay_alu instid0(VALU_DEP_1) | instskip(NEXT) | instid1(VALU_DEP_2)
	v_add_co_u32 v14, vcc_lo, s8, v14
	v_add_co_ci_u32_e32 v15, vcc_lo, s9, v15, vcc_lo
	v_cmp_ge_f64_e32 vcc_lo, v[10:11], v[12:13]
	v_mov_b32_e32 v10, v4
	v_cndmask_b32_e64 v11, 0, 0x3ff00000, vcc_lo
	global_store_b64 v[14:15], v[10:11], off
.LBB1_31:                               ;   in Loop: Header=BB1_3 Depth=1
	s_or_b32 exec_lo, exec_lo, s38
	s_delay_alu instid0(SALU_CYCLE_1)
	s_and_not1_b32 s39, s34, exec_lo
	s_or_b32 s34, s34, exec_lo
	s_and_not1_b32 s37, s37, exec_lo
	s_and_b32 s38, s3, exec_lo
.LBB1_32:                               ;   in Loop: Header=BB1_3 Depth=1
	s_or_b32 exec_lo, exec_lo, s35
	s_delay_alu instid0(SALU_CYCLE_1)
	s_and_b32 s35, s39, exec_lo
	s_and_b32 s34, s34, exec_lo
	;; [unrolled: 1-line block ×4, first 2 shown]
.LBB1_33:                               ;   in Loop: Header=BB1_3 Depth=1
	s_and_not1_saveexec_b32 s2, s36
; %bb.34:                               ;   in Loop: Header=BB1_3 Depth=1
	v_cmp_lt_i32_e32 vcc_lo, 1, v18
	s_and_not1_b32 s36, s39, exec_lo
	s_mov_b32 s33, exec_lo
	s_and_not1_b32 s35, s35, exec_lo
	s_and_not1_b32 s34, s34, exec_lo
	s_and_b32 s37, vcc_lo, exec_lo
	s_and_not1_b32 s3, s3, exec_lo
	s_or_b32 s39, s36, s37
; %bb.35:                               ;   in Loop: Header=BB1_3 Depth=1
	s_or_b32 exec_lo, exec_lo, s2
	s_mov_b32 s36, 0
	s_mov_b32 s37, 0
	;; [unrolled: 1-line block ×3, first 2 shown]
	s_and_saveexec_b32 s38, s39
	s_cbranch_execnz .LBB1_38
; %bb.36:                               ;   in Loop: Header=BB1_3 Depth=1
	s_or_b32 exec_lo, exec_lo, s38
	s_and_saveexec_b32 s1, s33
	s_cbranch_execnz .LBB1_41
.LBB1_37:                               ;   in Loop: Header=BB1_3 Depth=1
	s_or_b32 exec_lo, exec_lo, s1
	s_and_saveexec_b32 s33, s37
	s_cbranch_execnz .LBB1_42
	s_branch .LBB1_45
.LBB1_38:                               ;   in Loop: Header=BB1_3 Depth=1
	v_lshlrev_b64 v[7:8], 3, v[7:8]
	s_delay_alu instid0(VALU_DEP_1) | instskip(NEXT) | instid1(VALU_DEP_2)
	v_add_co_u32 v7, vcc_lo, s10, v7
	v_add_co_ci_u32_e32 v8, vcc_lo, s11, v8, vcc_lo
	global_load_b64 v[7:8], v[7:8], off
	s_waitcnt vmcnt(0)
	v_cmp_le_f64_e32 vcc_lo, 0, v[7:8]
	v_cmp_ge_f64_e64 s2, 1.0, v[7:8]
	s_delay_alu instid0(VALU_DEP_1) | instskip(NEXT) | instid1(SALU_CYCLE_1)
	s_and_b32 s2, vcc_lo, s2
	s_and_saveexec_b32 s39, s2
	s_delay_alu instid0(SALU_CYCLE_1)
	s_xor_b32 s2, exec_lo, s39
	s_cbranch_execz .LBB1_40
; %bb.39:                               ;   in Loop: Header=BB1_3 Depth=1
	v_cvt_f32_u32_e32 v3, v20
	s_mov_b32 s37, exec_lo
	s_delay_alu instid0(VALU_DEP_1) | instskip(NEXT) | instid1(VALU_DEP_1)
	v_fmaak_f32 v3, 0x2f800000, v3, 0x2f800000
	v_cvt_f64_f32_e32 v[10:11], v3
	v_add_nc_u32_e32 v3, s25, v37
	s_delay_alu instid0(VALU_DEP_1) | instskip(NEXT) | instid1(VALU_DEP_1)
	v_cndmask_b32_e64 v3, 0, v3, s1
	v_lshlrev_b64 v[12:13], 3, v[3:4]
	s_delay_alu instid0(VALU_DEP_1) | instskip(NEXT) | instid1(VALU_DEP_2)
	v_add_co_u32 v12, vcc_lo, s8, v12
	v_add_co_ci_u32_e32 v13, vcc_lo, s9, v13, vcc_lo
	v_cmp_ge_f64_e32 vcc_lo, v[7:8], v[10:11]
	v_mov_b32_e32 v7, v4
	v_cndmask_b32_e64 v8, 0, 0x3ff00000, vcc_lo
	global_store_b64 v[12:13], v[7:8], off
.LBB1_40:                               ;   in Loop: Header=BB1_3 Depth=1
	s_or_b32 exec_lo, exec_lo, s2
	s_delay_alu instid0(SALU_CYCLE_1)
	s_and_not1_b32 s2, s35, exec_lo
	s_or_b32 s35, s35, exec_lo
	s_and_not1_b32 s34, s34, exec_lo
	s_and_not1_b32 s3, s3, exec_lo
	s_and_b32 s37, s37, exec_lo
	s_and_not1_b32 s33, s33, exec_lo
	s_or_b32 exec_lo, exec_lo, s38
	s_and_saveexec_b32 s1, s33
	s_cbranch_execz .LBB1_37
.LBB1_41:                               ;   in Loop: Header=BB1_3 Depth=1
	v_cmp_eq_u32_e32 vcc_lo, 1, v18
	s_and_not1_b32 s33, s37, exec_lo
	s_mov_b32 s36, exec_lo
	s_and_not1_b32 s2, s2, exec_lo
	s_and_not1_b32 s35, s35, exec_lo
	s_and_b32 s37, vcc_lo, exec_lo
	s_and_not1_b32 s34, s34, exec_lo
	s_and_not1_b32 s3, s3, exec_lo
	s_or_b32 s37, s33, s37
	s_or_b32 exec_lo, exec_lo, s1
	s_and_saveexec_b32 s33, s37
	s_cbranch_execz .LBB1_45
.LBB1_42:                               ;   in Loop: Header=BB1_3 Depth=1
	v_lshlrev_b64 v[5:6], 3, v[5:6]
	s_delay_alu instid0(VALU_DEP_1) | instskip(NEXT) | instid1(VALU_DEP_2)
	v_add_co_u32 v5, vcc_lo, s10, v5
	v_add_co_ci_u32_e32 v6, vcc_lo, s11, v6, vcc_lo
	global_load_b64 v[5:6], v[5:6], off
	s_waitcnt vmcnt(0)
	v_cmp_le_f64_e32 vcc_lo, 0, v[5:6]
	v_cmp_ge_f64_e64 s1, 1.0, v[5:6]
	s_delay_alu instid0(VALU_DEP_1)
	s_and_b32 s38, vcc_lo, s1
	s_mov_b32 s1, 0
	s_and_saveexec_b32 s37, s38
	s_cbranch_execz .LBB1_44
; %bb.43:                               ;   in Loop: Header=BB1_3 Depth=1
	v_cvt_f32_u32_e32 v3, v9
	s_mov_b32 s1, exec_lo
	s_delay_alu instid0(VALU_DEP_1) | instskip(NEXT) | instid1(VALU_DEP_1)
	v_fmaak_f32 v3, 0x2f800000, v3, 0x2f800000
	v_cvt_f64_f32_e32 v[7:8], v3
	v_add_nc_u32_e32 v3, s25, v32
	s_delay_alu instid0(VALU_DEP_1) | instskip(NEXT) | instid1(VALU_DEP_1)
	v_cndmask_b32_e64 v3, 0, v3, s0
	v_lshlrev_b64 v[9:10], 3, v[3:4]
	s_delay_alu instid0(VALU_DEP_1) | instskip(NEXT) | instid1(VALU_DEP_2)
	v_add_co_u32 v9, vcc_lo, s8, v9
	v_add_co_ci_u32_e32 v10, vcc_lo, s9, v10, vcc_lo
	v_cmp_ge_f64_e32 vcc_lo, v[5:6], v[7:8]
	v_mov_b32_e32 v5, v4
	v_cndmask_b32_e64 v6, 0, 0x3ff00000, vcc_lo
	global_store_b64 v[9:10], v[5:6], off
.LBB1_44:                               ;   in Loop: Header=BB1_3 Depth=1
	s_or_b32 exec_lo, exec_lo, s37
	s_delay_alu instid0(SALU_CYCLE_1)
	s_and_not1_b32 s0, s36, exec_lo
	s_and_b32 s1, s1, exec_lo
	s_or_b32 s2, s2, exec_lo
	s_and_not1_b32 s35, s35, exec_lo
	s_and_not1_b32 s34, s34, exec_lo
	s_and_not1_b32 s3, s3, exec_lo
	s_or_b32 s36, s0, s1
.LBB1_45:                               ;   in Loop: Header=BB1_3 Depth=1
	s_or_b32 exec_lo, exec_lo, s33
	s_delay_alu instid0(SALU_CYCLE_1)
	s_and_not1_b32 s1, s31, exec_lo
	s_and_b32 s2, s2, exec_lo
	s_and_not1_b32 s29, s29, exec_lo
	s_and_b32 s33, s35, exec_lo
	s_or_b32 s31, s1, s2
	s_and_not1_b32 s1, s30, exec_lo
	s_and_b32 s2, s34, exec_lo
	s_and_not1_b32 s28, s28, exec_lo
	s_and_b32 s3, s3, exec_lo
	s_mov_b32 s0, -1
	s_or_b32 s29, s29, s33
	s_or_b32 s30, s1, s2
	;; [unrolled: 1-line block ×3, first 2 shown]
	s_and_saveexec_b32 s1, s36
	s_cbranch_execz .LBB1_2
; %bb.46:                               ;   in Loop: Header=BB1_3 Depth=1
	v_add_nc_u32_e32 v0, s21, v0
	v_subrev_nc_u32_e32 v33, s21, v33
	s_add_i32 s25, s25, s23
	s_and_not1_b32 s31, s31, exec_lo
	s_and_not1_b32 s29, s29, exec_lo
	v_cmp_le_u32_e32 vcc_lo, s16, v0
	s_and_not1_b32 s30, s30, exec_lo
	s_and_not1_b32 s28, s28, exec_lo
	s_or_not1_b32 s0, vcc_lo, exec_lo
	s_branch .LBB1_2
.LBB1_47:
	s_or_b32 exec_lo, exec_lo, s22
	s_xor_b32 s3, s26, -1
	s_xor_b32 s4, s27, -1
	;; [unrolled: 1-line block ×3, first 2 shown]
	s_mov_b32 s1, 0
	s_and_saveexec_b32 s2, s0
	s_delay_alu instid0(SALU_CYCLE_1)
	s_xor_b32 s0, exec_lo, s2
	s_cbranch_execz .LBB1_56
; %bb.48:
	s_mov_b32 s2, 0
	s_and_saveexec_b32 s1, s4
	s_delay_alu instid0(SALU_CYCLE_1)
	s_xor_b32 s1, exec_lo, s1
	s_cbranch_execz .LBB1_54
; %bb.49:
	s_and_saveexec_b32 s4, s3
	s_delay_alu instid0(SALU_CYCLE_1)
	s_xor_b32 s3, exec_lo, s4
	s_cbranch_execz .LBB1_52
; %bb.50:
	s_and_saveexec_b32 s4, s20
	s_delay_alu instid0(SALU_CYCLE_1)
	s_xor_b32 s4, exec_lo, s4
	s_cbranch_execnz .LBB1_70
.LBB1_51:
	s_or_b32 exec_lo, exec_lo, s4
	s_delay_alu instid0(SALU_CYCLE_1)
	s_and_b32 s2, s2, exec_lo
.LBB1_52:
	s_and_not1_saveexec_b32 s3, s3
	s_cbranch_execnz .LBB1_66
.LBB1_53:
	s_or_b32 exec_lo, exec_lo, s3
	s_delay_alu instid0(SALU_CYCLE_1)
	s_and_b32 s2, s2, exec_lo
.LBB1_54:
	s_and_not1_saveexec_b32 s1, s1
	s_cbranch_execnz .LBB1_62
.LBB1_55:
	s_or_b32 exec_lo, exec_lo, s1
	s_delay_alu instid0(SALU_CYCLE_1)
	s_and_b32 s1, s2, exec_lo
.LBB1_56:
	s_and_not1_saveexec_b32 s0, s0
	s_cbranch_execnz .LBB1_60
; %bb.57:
	s_or_b32 exec_lo, exec_lo, s0
	s_delay_alu instid0(SALU_CYCLE_1)
	s_and_b32 exec_lo, exec_lo, s1
.LBB1_58:
	; divergent unreachable
.LBB1_59:
	s_nop 0
	s_sendmsg sendmsg(MSG_DEALLOC_VGPRS)
	s_endpgm
.LBB1_60:
	s_cbranch_execnz .LBB1_64
; %bb.61:
	s_or_b32 s1, s1, exec_lo
	s_or_b32 exec_lo, exec_lo, s0
	s_delay_alu instid0(SALU_CYCLE_1)
	s_and_b32 exec_lo, exec_lo, s1
	s_cbranch_execnz .LBB1_58
	s_branch .LBB1_59
.LBB1_62:
	s_cbranch_execnz .LBB1_68
; %bb.63:
	s_or_b32 s2, s2, exec_lo
	s_branch .LBB1_55
.LBB1_64:
	s_trap 2
	s_sendmsg_rtn_b32 s0, sendmsg(MSG_RTN_GET_DOORBELL)
	s_mov_b32 ttmp2, m0
	s_waitcnt lgkmcnt(0)
	s_and_b32 s0, s0, 0x3ff
	s_delay_alu instid0(SALU_CYCLE_1) | instskip(NEXT) | instid1(SALU_CYCLE_1)
	s_bitset1_b32 s0, 10
	s_mov_b32 m0, s0
	s_sendmsg sendmsg(MSG_INTERRUPT)
	s_mov_b32 m0, ttmp2
.LBB1_65:                               ; =>This Inner Loop Header: Depth=1
	s_sethalt 5
	s_branch .LBB1_65
.LBB1_66:
	s_cbranch_execnz .LBB1_72
; %bb.67:
	s_or_b32 s2, s2, exec_lo
	s_branch .LBB1_53
.LBB1_68:
	s_trap 2
	s_sendmsg_rtn_b32 s0, sendmsg(MSG_RTN_GET_DOORBELL)
	s_mov_b32 ttmp2, m0
	s_waitcnt lgkmcnt(0)
	s_and_b32 s0, s0, 0x3ff
	s_delay_alu instid0(SALU_CYCLE_1) | instskip(NEXT) | instid1(SALU_CYCLE_1)
	s_bitset1_b32 s0, 10
	s_mov_b32 m0, s0
	s_sendmsg sendmsg(MSG_INTERRUPT)
	s_mov_b32 m0, ttmp2
.LBB1_69:                               ; =>This Inner Loop Header: Depth=1
	s_sethalt 5
	s_branch .LBB1_69
.LBB1_70:
	s_cbranch_execnz .LBB1_74
; %bb.71:
	s_mov_b32 s2, exec_lo
	s_branch .LBB1_51
.LBB1_72:
	s_trap 2
	s_sendmsg_rtn_b32 s0, sendmsg(MSG_RTN_GET_DOORBELL)
	s_mov_b32 ttmp2, m0
	s_waitcnt lgkmcnt(0)
	s_and_b32 s0, s0, 0x3ff
	s_delay_alu instid0(SALU_CYCLE_1) | instskip(NEXT) | instid1(SALU_CYCLE_1)
	s_bitset1_b32 s0, 10
	s_mov_b32 m0, s0
	s_sendmsg sendmsg(MSG_INTERRUPT)
	s_mov_b32 m0, ttmp2
.LBB1_73:                               ; =>This Inner Loop Header: Depth=1
	s_sethalt 5
	s_branch .LBB1_73
.LBB1_74:
	s_trap 2
	s_sendmsg_rtn_b32 s0, sendmsg(MSG_RTN_GET_DOORBELL)
	s_mov_b32 ttmp2, m0
	s_waitcnt lgkmcnt(0)
	s_and_b32 s0, s0, 0x3ff
	s_delay_alu instid0(SALU_CYCLE_1) | instskip(NEXT) | instid1(SALU_CYCLE_1)
	s_bitset1_b32 s0, 10
	s_mov_b32 m0, s0
	s_sendmsg sendmsg(MSG_INTERRUPT)
	s_mov_b32 m0, ttmp2
.LBB1_75:                               ; =>This Inner Loop Header: Depth=1
	s_sethalt 5
	s_branch .LBB1_75
	.section	.rodata,"a",@progbits
	.p2align	6, 0x0
	.amdhsa_kernel _ZN2at4cuda12_GLOBAL__N_121kernelPointwiseApply2IZNS_6native9templates4cuda28bernoulli_tensor_cuda_kernelIddEEvRKNS_10TensorBaseES9_NS_15PhiloxCudaStateEEUliRdSB_SB_SB_RKdSD_SD_SD_E_dSC_jLi1ELi2ELi4ELi512ELi2EEEvNS0_6detail10TensorInfoIT0_T2_EENSG_IT1_SI_EESI_T_
		.amdhsa_group_segment_fixed_size 0
		.amdhsa_private_segment_fixed_size 0
		.amdhsa_kernarg_size 728
		.amdhsa_user_sgpr_count 15
		.amdhsa_user_sgpr_dispatch_ptr 0
		.amdhsa_user_sgpr_queue_ptr 0
		.amdhsa_user_sgpr_kernarg_segment_ptr 1
		.amdhsa_user_sgpr_dispatch_id 0
		.amdhsa_user_sgpr_private_segment_size 0
		.amdhsa_wavefront_size32 1
		.amdhsa_uses_dynamic_stack 0
		.amdhsa_enable_private_segment 0
		.amdhsa_system_sgpr_workgroup_id_x 1
		.amdhsa_system_sgpr_workgroup_id_y 0
		.amdhsa_system_sgpr_workgroup_id_z 0
		.amdhsa_system_sgpr_workgroup_info 0
		.amdhsa_system_vgpr_workitem_id 0
		.amdhsa_next_free_vgpr 46
		.amdhsa_next_free_sgpr 40
		.amdhsa_reserve_vcc 1
		.amdhsa_float_round_mode_32 0
		.amdhsa_float_round_mode_16_64 0
		.amdhsa_float_denorm_mode_32 3
		.amdhsa_float_denorm_mode_16_64 3
		.amdhsa_dx10_clamp 1
		.amdhsa_ieee_mode 1
		.amdhsa_fp16_overflow 0
		.amdhsa_workgroup_processor_mode 1
		.amdhsa_memory_ordered 1
		.amdhsa_forward_progress 0
		.amdhsa_shared_vgpr_count 0
		.amdhsa_exception_fp_ieee_invalid_op 0
		.amdhsa_exception_fp_denorm_src 0
		.amdhsa_exception_fp_ieee_div_zero 0
		.amdhsa_exception_fp_ieee_overflow 0
		.amdhsa_exception_fp_ieee_underflow 0
		.amdhsa_exception_fp_ieee_inexact 0
		.amdhsa_exception_int_div_zero 0
	.end_amdhsa_kernel
	.section	.text._ZN2at4cuda12_GLOBAL__N_121kernelPointwiseApply2IZNS_6native9templates4cuda28bernoulli_tensor_cuda_kernelIddEEvRKNS_10TensorBaseES9_NS_15PhiloxCudaStateEEUliRdSB_SB_SB_RKdSD_SD_SD_E_dSC_jLi1ELi2ELi4ELi512ELi2EEEvNS0_6detail10TensorInfoIT0_T2_EENSG_IT1_SI_EESI_T_,"axG",@progbits,_ZN2at4cuda12_GLOBAL__N_121kernelPointwiseApply2IZNS_6native9templates4cuda28bernoulli_tensor_cuda_kernelIddEEvRKNS_10TensorBaseES9_NS_15PhiloxCudaStateEEUliRdSB_SB_SB_RKdSD_SD_SD_E_dSC_jLi1ELi2ELi4ELi512ELi2EEEvNS0_6detail10TensorInfoIT0_T2_EENSG_IT1_SI_EESI_T_,comdat
.Lfunc_end1:
	.size	_ZN2at4cuda12_GLOBAL__N_121kernelPointwiseApply2IZNS_6native9templates4cuda28bernoulli_tensor_cuda_kernelIddEEvRKNS_10TensorBaseES9_NS_15PhiloxCudaStateEEUliRdSB_SB_SB_RKdSD_SD_SD_E_dSC_jLi1ELi2ELi4ELi512ELi2EEEvNS0_6detail10TensorInfoIT0_T2_EENSG_IT1_SI_EESI_T_, .Lfunc_end1-_ZN2at4cuda12_GLOBAL__N_121kernelPointwiseApply2IZNS_6native9templates4cuda28bernoulli_tensor_cuda_kernelIddEEvRKNS_10TensorBaseES9_NS_15PhiloxCudaStateEEUliRdSB_SB_SB_RKdSD_SD_SD_E_dSC_jLi1ELi2ELi4ELi512ELi2EEEvNS0_6detail10TensorInfoIT0_T2_EENSG_IT1_SI_EESI_T_
                                        ; -- End function
	.section	.AMDGPU.csdata,"",@progbits
; Kernel info:
; codeLenInByte = 3808
; NumSgprs: 42
; NumVgprs: 46
; ScratchSize: 0
; MemoryBound: 0
; FloatMode: 240
; IeeeMode: 1
; LDSByteSize: 0 bytes/workgroup (compile time only)
; SGPRBlocks: 5
; VGPRBlocks: 5
; NumSGPRsForWavesPerEU: 42
; NumVGPRsForWavesPerEU: 46
; Occupancy: 16
; WaveLimiterHint : 1
; COMPUTE_PGM_RSRC2:SCRATCH_EN: 0
; COMPUTE_PGM_RSRC2:USER_SGPR: 15
; COMPUTE_PGM_RSRC2:TRAP_HANDLER: 0
; COMPUTE_PGM_RSRC2:TGID_X_EN: 1
; COMPUTE_PGM_RSRC2:TGID_Y_EN: 0
; COMPUTE_PGM_RSRC2:TGID_Z_EN: 0
; COMPUTE_PGM_RSRC2:TIDIG_COMP_CNT: 0
	.section	.text._ZN2at4cuda12_GLOBAL__N_121kernelPointwiseApply2IZNS_6native9templates4cuda28bernoulli_tensor_cuda_kernelIddEEvRKNS_10TensorBaseES9_NS_15PhiloxCudaStateEEUliRdSB_SB_SB_RKdSD_SD_SD_E_dSC_jLi1ELin1ELi4ELi512ELi2EEEvNS0_6detail10TensorInfoIT0_T2_EENSG_IT1_SI_EESI_T_,"axG",@progbits,_ZN2at4cuda12_GLOBAL__N_121kernelPointwiseApply2IZNS_6native9templates4cuda28bernoulli_tensor_cuda_kernelIddEEvRKNS_10TensorBaseES9_NS_15PhiloxCudaStateEEUliRdSB_SB_SB_RKdSD_SD_SD_E_dSC_jLi1ELin1ELi4ELi512ELi2EEEvNS0_6detail10TensorInfoIT0_T2_EENSG_IT1_SI_EESI_T_,comdat
	.globl	_ZN2at4cuda12_GLOBAL__N_121kernelPointwiseApply2IZNS_6native9templates4cuda28bernoulli_tensor_cuda_kernelIddEEvRKNS_10TensorBaseES9_NS_15PhiloxCudaStateEEUliRdSB_SB_SB_RKdSD_SD_SD_E_dSC_jLi1ELin1ELi4ELi512ELi2EEEvNS0_6detail10TensorInfoIT0_T2_EENSG_IT1_SI_EESI_T_ ; -- Begin function _ZN2at4cuda12_GLOBAL__N_121kernelPointwiseApply2IZNS_6native9templates4cuda28bernoulli_tensor_cuda_kernelIddEEvRKNS_10TensorBaseES9_NS_15PhiloxCudaStateEEUliRdSB_SB_SB_RKdSD_SD_SD_E_dSC_jLi1ELin1ELi4ELi512ELi2EEEvNS0_6detail10TensorInfoIT0_T2_EENSG_IT1_SI_EESI_T_
	.p2align	8
	.type	_ZN2at4cuda12_GLOBAL__N_121kernelPointwiseApply2IZNS_6native9templates4cuda28bernoulli_tensor_cuda_kernelIddEEvRKNS_10TensorBaseES9_NS_15PhiloxCudaStateEEUliRdSB_SB_SB_RKdSD_SD_SD_E_dSC_jLi1ELin1ELi4ELi512ELi2EEEvNS0_6detail10TensorInfoIT0_T2_EENSG_IT1_SI_EESI_T_,@function
_ZN2at4cuda12_GLOBAL__N_121kernelPointwiseApply2IZNS_6native9templates4cuda28bernoulli_tensor_cuda_kernelIddEEvRKNS_10TensorBaseES9_NS_15PhiloxCudaStateEEUliRdSB_SB_SB_RKdSD_SD_SD_E_dSC_jLi1ELin1ELi4ELi512ELi2EEEvNS0_6detail10TensorInfoIT0_T2_EENSG_IT1_SI_EESI_T_: ; @_ZN2at4cuda12_GLOBAL__N_121kernelPointwiseApply2IZNS_6native9templates4cuda28bernoulli_tensor_cuda_kernelIddEEvRKNS_10TensorBaseES9_NS_15PhiloxCudaStateEEUliRdSB_SB_SB_RKdSD_SD_SD_E_dSC_jLi1ELin1ELi4ELi512ELi2EEEvNS0_6detail10TensorInfoIT0_T2_EENSG_IT1_SI_EESI_T_
; %bb.0:
	s_clause 0x1
	s_load_b32 s4, s[0:1], 0x1e4
	s_load_b32 s20, s[0:1], 0x1b0
	s_add_u32 s2, s0, 0x1d8
	s_addc_u32 s3, s1, 0
	s_waitcnt lgkmcnt(0)
	s_and_b32 s14, s4, 0xffff
	s_mov_b32 s4, exec_lo
	v_mad_u64_u32 v[1:2], null, s15, s14, v[0:1]
	s_delay_alu instid0(VALU_DEP_1) | instskip(NEXT) | instid1(VALU_DEP_1)
	v_lshlrev_b32_e32 v30, 2, v1
	v_cmpx_gt_u32_e64 s20, v30
	s_cbranch_execz .LBB2_73
; %bb.1:
	s_load_b32 s16, s[0:1], 0x1a8
	s_load_b32 s2, s[2:3], 0x0
	s_clause 0x6
	s_load_b32 s3, s[0:1], 0x1d0
	s_load_b128 s[4:7], s[0:1], 0x1b8
	s_load_b64 s[8:9], s[0:1], 0x1c8
	s_load_b64 s[10:11], s[0:1], 0x0
	s_load_b32 s21, s[0:1], 0x6c
	s_load_b32 s22, s[0:1], 0x144
	s_load_b64 s[12:13], s[0:1], 0xd8
	s_add_u32 s17, s0, 0xd8
	s_addc_u32 s18, s1, 0
	v_mad_u64_u32 v[2:3], null, 0xcd9e8d57, v1, 0
	s_mov_b32 s15, 0
	v_mov_b32_e32 v4, 0
                                        ; implicit-def: $sgpr27
                                        ; implicit-def: $sgpr29
                                        ; implicit-def: $sgpr28
                                        ; implicit-def: $sgpr30
                                        ; implicit-def: $sgpr33
                                        ; implicit-def: $sgpr31
                                        ; implicit-def: $sgpr34
	s_delay_alu instid0(VALU_DEP_2)
	v_mov_b32_e32 v31, v3
	s_waitcnt lgkmcnt(0)
	s_cmp_gt_i32 s16, 1
	s_mul_i32 s2, s2, s14
	s_cselect_b32 s23, -1, 0
	s_bitcmp1_b32 s3, 0
	s_cselect_b32 s24, -1, 0
	s_add_i32 s14, s16, -1
	s_lshl_b32 s25, s2, 2
	s_lshl_b64 s[0:1], s[14:15], 2
	s_add_i32 s26, s16, 1
	s_add_u32 s0, s0, s17
	s_addc_u32 s1, s1, s18
	s_add_u32 s16, s0, 8
	s_addc_u32 s17, s1, 0
                                        ; implicit-def: $sgpr14
	s_branch .LBB2_3
.LBB2_2:                                ;   in Loop: Header=BB2_3 Depth=1
	s_or_b32 exec_lo, exec_lo, s1
	s_delay_alu instid0(SALU_CYCLE_1) | instskip(NEXT) | instid1(SALU_CYCLE_1)
	s_and_b32 s0, exec_lo, s0
	s_or_b32 s15, s0, s15
	s_and_not1_b32 s0, s14, exec_lo
	s_and_b32 s1, s34, exec_lo
	s_and_not1_b32 s2, s28, exec_lo
	s_and_b32 s3, s31, exec_lo
	s_or_b32 s14, s0, s1
	s_or_b32 s28, s2, s3
	s_and_not1_b32 s0, s29, exec_lo
	s_and_b32 s1, s33, exec_lo
	s_and_not1_b32 s2, s27, exec_lo
	s_and_b32 s3, s30, exec_lo
	s_or_b32 s29, s0, s1
	s_or_b32 s27, s2, s3
	s_and_not1_b32 exec_lo, exec_lo, s15
	s_cbranch_execz .LBB2_61
.LBB2_3:                                ; =>This Loop Header: Depth=1
                                        ;     Child Loop BB2_6 Depth 2
                                        ;     Child Loop BB2_11 Depth 2
	;; [unrolled: 1-line block ×4, first 2 shown]
	v_sub_nc_u32_e32 v33, s20, v30
	v_mov_b32_e32 v3, 0
	s_delay_alu instid0(VALU_DEP_2) | instskip(NEXT) | instid1(VALU_DEP_1)
	v_cmp_lt_i32_e64 s0, 0, v33
	s_and_saveexec_b32 s1, s0
	s_cbranch_execz .LBB2_8
; %bb.4:                                ;   in Loop: Header=BB2_3 Depth=1
	v_dual_mov_b32 v0, 0 :: v_dual_mov_b32 v3, v30
	s_and_not1_b32 vcc_lo, exec_lo, s23
	s_cbranch_vccnz .LBB2_7
; %bb.5:                                ;   in Loop: Header=BB2_3 Depth=1
	v_dual_mov_b32 v0, 0 :: v_dual_mov_b32 v3, v30
	s_mov_b64 s[2:3], s[16:17]
	s_mov_b32 s18, s26
	s_set_inst_prefetch_distance 0x1
	.p2align	6
.LBB2_6:                                ;   Parent Loop BB2_3 Depth=1
                                        ; =>  This Inner Loop Header: Depth=2
	s_clause 0x1
	s_load_b32 s19, s[2:3], 0x0
	s_load_b32 s35, s[2:3], 0x64
	v_mov_b32_e32 v7, v3
	s_add_i32 s18, s18, -1
	s_waitcnt lgkmcnt(0)
	v_cvt_f32_u32_e32 v5, s19
	s_sub_i32 s36, 0, s19
	s_add_u32 s2, s2, -4
	s_addc_u32 s3, s3, -1
	s_cmp_gt_u32 s18, 2
	v_rcp_iflag_f32_e32 v5, v5
	s_waitcnt_depctr 0xfff
	v_mul_f32_e32 v5, 0x4f7ffffe, v5
	s_delay_alu instid0(VALU_DEP_1) | instskip(NEXT) | instid1(VALU_DEP_1)
	v_cvt_u32_f32_e32 v5, v5
	v_mul_lo_u32 v6, s36, v5
	s_delay_alu instid0(VALU_DEP_1) | instskip(NEXT) | instid1(VALU_DEP_1)
	v_mul_hi_u32 v6, v5, v6
	v_add_nc_u32_e32 v3, v5, v6
	s_delay_alu instid0(VALU_DEP_1) | instskip(NEXT) | instid1(VALU_DEP_1)
	v_mul_hi_u32 v3, v7, v3
	v_add_nc_u32_e32 v6, 1, v3
	v_mul_lo_u32 v5, v3, s19
	s_delay_alu instid0(VALU_DEP_1) | instskip(NEXT) | instid1(VALU_DEP_1)
	v_sub_nc_u32_e32 v5, v7, v5
	v_subrev_nc_u32_e32 v8, s19, v5
	v_cmp_le_u32_e32 vcc_lo, s19, v5
	v_cndmask_b32_e32 v3, v3, v6, vcc_lo
	s_delay_alu instid0(VALU_DEP_1) | instskip(NEXT) | instid1(VALU_DEP_1)
	v_dual_cndmask_b32 v5, v5, v8 :: v_dual_add_nc_u32 v6, 1, v3
	v_cmp_le_u32_e32 vcc_lo, s19, v5
	s_delay_alu instid0(VALU_DEP_2) | instskip(NEXT) | instid1(VALU_DEP_1)
	v_cndmask_b32_e32 v3, v3, v6, vcc_lo
	v_mul_lo_u32 v5, v3, s19
	s_delay_alu instid0(VALU_DEP_1) | instskip(NEXT) | instid1(VALU_DEP_1)
	v_sub_nc_u32_e32 v7, v7, v5
	v_mad_u64_u32 v[5:6], null, s35, v7, v[0:1]
	s_delay_alu instid0(VALU_DEP_1)
	v_mov_b32_e32 v0, v5
	s_cbranch_scc1 .LBB2_6
.LBB2_7:                                ;   in Loop: Header=BB2_3 Depth=1
	s_set_inst_prefetch_distance 0x2
	s_delay_alu instid0(VALU_DEP_1) | instskip(NEXT) | instid1(VALU_DEP_1)
	v_mad_u64_u32 v[5:6], null, s22, v3, v[0:1]
	v_mov_b32_e32 v3, v5
.LBB2_8:                                ;   in Loop: Header=BB2_3 Depth=1
	s_or_b32 exec_lo, exec_lo, s1
	v_mov_b32_e32 v5, 0
	v_mov_b32_e32 v6, 0
	v_cmp_lt_i32_e64 s1, 1, v33
	s_delay_alu instid0(VALU_DEP_1)
	s_and_saveexec_b32 s18, s1
	s_cbranch_execz .LBB2_13
; %bb.9:                                ;   in Loop: Header=BB2_3 Depth=1
	v_or_b32_e32 v7, 1, v30
	v_mov_b32_e32 v0, 0
	s_and_not1_b32 vcc_lo, exec_lo, s23
	s_cbranch_vccnz .LBB2_12
; %bb.10:                               ;   in Loop: Header=BB2_3 Depth=1
	v_mov_b32_e32 v0, 0
	s_mov_b64 s[2:3], s[16:17]
	s_mov_b32 s19, s26
	s_set_inst_prefetch_distance 0x1
	.p2align	6
.LBB2_11:                               ;   Parent Loop BB2_3 Depth=1
                                        ; =>  This Inner Loop Header: Depth=2
	s_clause 0x1
	s_load_b32 s35, s[2:3], 0x0
	s_load_b32 s36, s[2:3], 0x64
	s_add_i32 s19, s19, -1
	v_mov_b32_e32 v8, v7
	s_waitcnt lgkmcnt(0)
	v_cvt_f32_u32_e32 v5, s35
	s_sub_i32 s37, 0, s35
	s_add_u32 s2, s2, -4
	s_addc_u32 s3, s3, -1
	s_cmp_gt_u32 s19, 2
	v_rcp_iflag_f32_e32 v5, v5
	s_waitcnt_depctr 0xfff
	v_mul_f32_e32 v5, 0x4f7ffffe, v5
	s_delay_alu instid0(VALU_DEP_1) | instskip(NEXT) | instid1(VALU_DEP_1)
	v_cvt_u32_f32_e32 v5, v5
	v_mul_lo_u32 v6, s37, v5
	s_delay_alu instid0(VALU_DEP_1) | instskip(NEXT) | instid1(VALU_DEP_1)
	v_mul_hi_u32 v6, v5, v6
	v_add_nc_u32_e32 v5, v5, v6
	s_delay_alu instid0(VALU_DEP_1) | instskip(NEXT) | instid1(VALU_DEP_1)
	v_mul_hi_u32 v5, v8, v5
	v_mul_lo_u32 v6, v5, s35
	v_add_nc_u32_e32 v7, 1, v5
	s_delay_alu instid0(VALU_DEP_2) | instskip(NEXT) | instid1(VALU_DEP_1)
	v_sub_nc_u32_e32 v6, v8, v6
	v_subrev_nc_u32_e32 v9, s35, v6
	v_cmp_le_u32_e32 vcc_lo, s35, v6
	s_delay_alu instid0(VALU_DEP_2) | instskip(NEXT) | instid1(VALU_DEP_1)
	v_dual_cndmask_b32 v5, v5, v7 :: v_dual_cndmask_b32 v6, v6, v9
	v_add_nc_u32_e32 v7, 1, v5
	s_delay_alu instid0(VALU_DEP_2) | instskip(NEXT) | instid1(VALU_DEP_2)
	v_cmp_le_u32_e32 vcc_lo, s35, v6
	v_cndmask_b32_e32 v7, v5, v7, vcc_lo
	s_delay_alu instid0(VALU_DEP_1) | instskip(NEXT) | instid1(VALU_DEP_1)
	v_mul_lo_u32 v5, v7, s35
	v_sub_nc_u32_e32 v8, v8, v5
	s_delay_alu instid0(VALU_DEP_1) | instskip(NEXT) | instid1(VALU_DEP_1)
	v_mad_u64_u32 v[5:6], null, s36, v8, v[0:1]
	v_mov_b32_e32 v0, v5
	s_cbranch_scc1 .LBB2_11
.LBB2_12:                               ;   in Loop: Header=BB2_3 Depth=1
	s_set_inst_prefetch_distance 0x2
	s_delay_alu instid0(VALU_DEP_1)
	v_mad_u64_u32 v[5:6], null, s22, v7, v[0:1]
	v_mov_b32_e32 v6, v4
.LBB2_13:                               ;   in Loop: Header=BB2_3 Depth=1
	s_or_b32 exec_lo, exec_lo, s18
	v_mov_b32_e32 v7, 0
	v_mov_b32_e32 v8, 0
	v_cmp_lt_i32_e64 s2, 2, v33
	s_delay_alu instid0(VALU_DEP_1)
	s_and_saveexec_b32 s3, s2
	s_cbranch_execz .LBB2_18
; %bb.14:                               ;   in Loop: Header=BB2_3 Depth=1
	v_or_b32_e32 v9, 2, v30
	v_mov_b32_e32 v0, 0
	s_and_not1_b32 vcc_lo, exec_lo, s23
	s_cbranch_vccnz .LBB2_17
; %bb.15:                               ;   in Loop: Header=BB2_3 Depth=1
	v_mov_b32_e32 v0, 0
	s_mov_b64 s[18:19], s[16:17]
	s_mov_b32 s35, s26
	s_set_inst_prefetch_distance 0x1
	.p2align	6
.LBB2_16:                               ;   Parent Loop BB2_3 Depth=1
                                        ; =>  This Inner Loop Header: Depth=2
	s_clause 0x1
	s_load_b32 s36, s[18:19], 0x0
	s_load_b32 s37, s[18:19], 0x64
	s_add_i32 s35, s35, -1
	v_mov_b32_e32 v10, v9
	s_waitcnt lgkmcnt(0)
	v_cvt_f32_u32_e32 v7, s36
	s_sub_i32 s38, 0, s36
	s_add_u32 s18, s18, -4
	s_addc_u32 s19, s19, -1
	s_cmp_gt_u32 s35, 2
	v_rcp_iflag_f32_e32 v7, v7
	s_waitcnt_depctr 0xfff
	v_mul_f32_e32 v7, 0x4f7ffffe, v7
	s_delay_alu instid0(VALU_DEP_1) | instskip(NEXT) | instid1(VALU_DEP_1)
	v_cvt_u32_f32_e32 v7, v7
	v_mul_lo_u32 v8, s38, v7
	s_delay_alu instid0(VALU_DEP_1) | instskip(NEXT) | instid1(VALU_DEP_1)
	v_mul_hi_u32 v8, v7, v8
	v_add_nc_u32_e32 v7, v7, v8
	s_delay_alu instid0(VALU_DEP_1) | instskip(NEXT) | instid1(VALU_DEP_1)
	v_mul_hi_u32 v7, v10, v7
	v_mul_lo_u32 v8, v7, s36
	v_add_nc_u32_e32 v9, 1, v7
	s_delay_alu instid0(VALU_DEP_2) | instskip(NEXT) | instid1(VALU_DEP_1)
	v_sub_nc_u32_e32 v8, v10, v8
	v_subrev_nc_u32_e32 v11, s36, v8
	v_cmp_le_u32_e32 vcc_lo, s36, v8
	s_delay_alu instid0(VALU_DEP_2) | instskip(NEXT) | instid1(VALU_DEP_1)
	v_dual_cndmask_b32 v7, v7, v9 :: v_dual_cndmask_b32 v8, v8, v11
	v_add_nc_u32_e32 v9, 1, v7
	s_delay_alu instid0(VALU_DEP_2) | instskip(NEXT) | instid1(VALU_DEP_2)
	v_cmp_le_u32_e32 vcc_lo, s36, v8
	v_cndmask_b32_e32 v9, v7, v9, vcc_lo
	s_delay_alu instid0(VALU_DEP_1) | instskip(NEXT) | instid1(VALU_DEP_1)
	v_mul_lo_u32 v7, v9, s36
	v_sub_nc_u32_e32 v10, v10, v7
	s_delay_alu instid0(VALU_DEP_1) | instskip(NEXT) | instid1(VALU_DEP_1)
	v_mad_u64_u32 v[7:8], null, s37, v10, v[0:1]
	v_mov_b32_e32 v0, v7
	s_cbranch_scc1 .LBB2_16
.LBB2_17:                               ;   in Loop: Header=BB2_3 Depth=1
	s_set_inst_prefetch_distance 0x2
	s_delay_alu instid0(VALU_DEP_1)
	v_mad_u64_u32 v[7:8], null, s22, v9, v[0:1]
	v_mov_b32_e32 v8, v4
.LBB2_18:                               ;   in Loop: Header=BB2_3 Depth=1
	s_or_b32 exec_lo, exec_lo, s3
	v_mul_lo_u32 v32, v30, s21
	v_mov_b32_e32 v9, 0
	s_mov_b32 s3, exec_lo
	s_delay_alu instid0(VALU_DEP_2) | instskip(NEXT) | instid1(VALU_DEP_1)
	v_add_nc_u32_e32 v34, s21, v32
	v_dual_mov_b32 v10, 0 :: v_dual_add_nc_u32 v35, s21, v34
	s_delay_alu instid0(VALU_DEP_1)
	v_dual_mov_b32 v12, v10 :: v_dual_mov_b32 v11, v9
	v_cmpx_lt_i32_e32 3, v33
	s_cbranch_execz .LBB2_23
; %bb.19:                               ;   in Loop: Header=BB2_3 Depth=1
	v_or_b32_e32 v11, 3, v30
	v_mov_b32_e32 v0, 0
	s_and_not1_b32 vcc_lo, exec_lo, s23
	s_cbranch_vccnz .LBB2_22
; %bb.20:                               ;   in Loop: Header=BB2_3 Depth=1
	v_mov_b32_e32 v0, 0
	s_mov_b64 s[18:19], s[16:17]
	s_mov_b32 s35, s26
	s_set_inst_prefetch_distance 0x1
	.p2align	6
.LBB2_21:                               ;   Parent Loop BB2_3 Depth=1
                                        ; =>  This Inner Loop Header: Depth=2
	s_clause 0x1
	s_load_b32 s36, s[18:19], 0x0
	s_load_b32 s37, s[18:19], 0x64
	s_add_i32 s35, s35, -1
	v_mov_b32_e32 v12, v11
	s_waitcnt lgkmcnt(0)
	v_cvt_f32_u32_e32 v9, s36
	s_sub_i32 s38, 0, s36
	s_add_u32 s18, s18, -4
	s_addc_u32 s19, s19, -1
	s_cmp_gt_u32 s35, 2
	v_rcp_iflag_f32_e32 v9, v9
	s_waitcnt_depctr 0xfff
	v_mul_f32_e32 v9, 0x4f7ffffe, v9
	s_delay_alu instid0(VALU_DEP_1) | instskip(NEXT) | instid1(VALU_DEP_1)
	v_cvt_u32_f32_e32 v9, v9
	v_mul_lo_u32 v10, s38, v9
	s_delay_alu instid0(VALU_DEP_1) | instskip(NEXT) | instid1(VALU_DEP_1)
	v_mul_hi_u32 v10, v9, v10
	v_add_nc_u32_e32 v9, v9, v10
	s_delay_alu instid0(VALU_DEP_1) | instskip(NEXT) | instid1(VALU_DEP_1)
	v_mul_hi_u32 v9, v12, v9
	v_mul_lo_u32 v10, v9, s36
	v_add_nc_u32_e32 v11, 1, v9
	s_delay_alu instid0(VALU_DEP_2) | instskip(NEXT) | instid1(VALU_DEP_1)
	v_sub_nc_u32_e32 v10, v12, v10
	v_subrev_nc_u32_e32 v13, s36, v10
	v_cmp_le_u32_e32 vcc_lo, s36, v10
	s_delay_alu instid0(VALU_DEP_2) | instskip(NEXT) | instid1(VALU_DEP_1)
	v_dual_cndmask_b32 v9, v9, v11 :: v_dual_cndmask_b32 v10, v10, v13
	v_add_nc_u32_e32 v11, 1, v9
	s_delay_alu instid0(VALU_DEP_2) | instskip(NEXT) | instid1(VALU_DEP_2)
	v_cmp_le_u32_e32 vcc_lo, s36, v10
	v_cndmask_b32_e32 v11, v9, v11, vcc_lo
	s_delay_alu instid0(VALU_DEP_1) | instskip(NEXT) | instid1(VALU_DEP_1)
	v_mul_lo_u32 v9, v11, s36
	v_sub_nc_u32_e32 v12, v12, v9
	s_delay_alu instid0(VALU_DEP_1) | instskip(NEXT) | instid1(VALU_DEP_1)
	v_mad_u64_u32 v[9:10], null, s37, v12, v[0:1]
	v_mov_b32_e32 v0, v9
	s_cbranch_scc1 .LBB2_21
.LBB2_22:                               ;   in Loop: Header=BB2_3 Depth=1
	s_set_inst_prefetch_distance 0x2
	s_delay_alu instid0(VALU_DEP_1)
	v_mad_u64_u32 v[9:10], null, s22, v11, v[0:1]
	v_dual_mov_b32 v12, v4 :: v_dual_add_nc_u32 v11, s21, v35
	v_mov_b32_e32 v10, v4
.LBB2_23:                               ;   in Loop: Header=BB2_3 Depth=1
	s_or_b32 exec_lo, exec_lo, s3
	s_delay_alu instid0(VALU_DEP_1) | instskip(SKIP_2) | instid1(VALU_DEP_3)
	v_lshlrev_b64 v[9:10], 3, v[9:10]
	v_dual_mov_b32 v18, s7 :: v_dual_mov_b32 v17, s6
	v_dual_mov_b32 v20, s5 :: v_dual_mov_b32 v19, s4
	v_add_co_u32 v9, vcc_lo, s12, v9
	s_delay_alu instid0(VALU_DEP_4)
	v_add_co_ci_u32_e32 v10, vcc_lo, s13, v10, vcc_lo
	s_and_not1_b32 vcc_lo, exec_lo, s24
	global_load_b64 v[13:14], v[9:10], off
	s_cbranch_vccnz .LBB2_25
; %bb.24:                               ;   in Loop: Header=BB2_3 Depth=1
	v_dual_mov_b32 v10, s7 :: v_dual_mov_b32 v9, s6
	v_dual_mov_b32 v16, s5 :: v_dual_mov_b32 v15, s4
	flat_load_b64 v[9:10], v[9:10]
	flat_load_b64 v[19:20], v[15:16]
	s_waitcnt vmcnt(1) lgkmcnt(1)
	v_add_co_u32 v17, vcc_lo, v9, s8
	v_add_co_ci_u32_e32 v18, vcc_lo, s9, v10, vcc_lo
.LBB2_25:                               ;   in Loop: Header=BB2_3 Depth=1
	s_delay_alu instid0(VALU_DEP_1)
	v_alignbit_b32 v0, v18, v17, 2
	v_lshrrev_b32_e32 v15, 2, v18
	s_waitcnt vmcnt(0) lgkmcnt(0)
	v_add_nc_u32_e32 v37, 0xbb67ae85, v20
	v_add_nc_u32_e32 v39, 0x76cf5d0a, v20
	;; [unrolled: 1-line block ×3, first 2 shown]
	v_add_co_u32 v16, vcc_lo, v0, 1
	s_delay_alu instid0(VALU_DEP_1) | instskip(SKIP_4) | instid1(VALU_DEP_4)
	v_cndmask_b32_e64 v9, 0, 1, vcc_lo
	v_add_co_ci_u32_e32 v18, vcc_lo, 0, v15, vcc_lo
	v_xor3_b32 v23, v31, v19, v15
	v_add_nc_u32_e32 v41, 0xed9eba14, v20
	v_add_nc_u32_e32 v42, 0x1fd5c5a3, v20
	v_cmp_eq_u32_e32 vcc_lo, 0, v18
	s_mov_b32 s3, exec_lo
	v_add_nc_u32_e32 v36, 0x9e3779b9, v19
	v_dual_cndmask_b32 v21, 0, v9 :: v_dual_add_nc_u32 v38, 0x3c6ef372, v19
	v_mad_u64_u32 v[9:10], null, 0xd2511f53, v16, 0
	v_mad_u64_u32 v[15:16], null, 0xd2511f53, v0, 0
	s_delay_alu instid0(VALU_DEP_3) | instskip(NEXT) | instid1(VALU_DEP_3)
	v_add_nc_u32_e32 v25, v21, v1
	v_xor_b32_e32 v10, v10, v20
	s_delay_alu instid0(VALU_DEP_2) | instskip(SKIP_1) | instid1(VALU_DEP_1)
	v_cmp_eq_u32_e32 vcc_lo, 0, v25
	v_cndmask_b32_e32 v21, 0, v21, vcc_lo
	v_xor_b32_e32 v0, v21, v10
	v_mad_u64_u32 v[21:22], null, 0xd2511f53, v23, 0
	v_mad_u64_u32 v[23:24], null, 0xcd9e8d57, v25, 0
	s_delay_alu instid0(VALU_DEP_3) | instskip(SKIP_1) | instid1(VALU_DEP_4)
	v_mad_u64_u32 v[25:26], null, 0xcd9e8d57, v0, 0
	v_xor_b32_e32 v0, v16, v20
	v_xor3_b32 v10, v37, v22, v15
	s_delay_alu instid0(VALU_DEP_2) | instskip(SKIP_2) | instid1(VALU_DEP_4)
	v_mad_u64_u32 v[15:16], null, 0xcd9e8d57, v0, 0
	v_xor3_b32 v0, v24, v19, v18
	v_xor3_b32 v18, v36, v26, v23
	v_mad_u64_u32 v[22:23], null, 0xcd9e8d57, v10, 0
	s_delay_alu instid0(VALU_DEP_3) | instskip(NEXT) | instid1(VALU_DEP_3)
	v_mad_u64_u32 v[26:27], null, 0xd2511f53, v0, 0
	v_mad_u64_u32 v[28:29], null, 0xd2511f53, v18, 0
	v_xor3_b32 v0, v2, v16, v36
	s_delay_alu instid0(VALU_DEP_4) | instskip(SKIP_1) | instid1(VALU_DEP_3)
	v_xor3_b32 v23, v38, v23, v15
	v_add_nc_u32_e32 v18, 0xdaa66d2b, v19
	v_mad_u64_u32 v[15:16], null, 0xd2511f53, v0, 0
	v_xor3_b32 v0, v37, v27, v9
	v_xor3_b32 v29, v39, v29, v26
	v_mad_u64_u32 v[9:10], null, 0xd2511f53, v23, 0
	s_delay_alu instid0(VALU_DEP_3) | instskip(NEXT) | instid1(VALU_DEP_3)
	v_mad_u64_u32 v[23:24], null, 0xcd9e8d57, v0, 0
	v_mad_u64_u32 v[26:27], null, 0xcd9e8d57, v29, 0
	v_xor3_b32 v0, v39, v16, v21
	s_delay_alu instid0(VALU_DEP_4) | instskip(SKIP_1) | instid1(VALU_DEP_3)
	v_xor3_b32 v10, v40, v10, v15
	v_add_nc_u32_e32 v29, 0x78dde6e4, v19
	v_mad_u64_u32 v[15:16], null, 0xcd9e8d57, v0, 0
	v_xor3_b32 v0, v38, v24, v25
	v_xor3_b32 v21, v18, v27, v23
	v_mad_u64_u32 v[23:24], null, 0xcd9e8d57, v10, 0
	v_add_nc_u32_e32 v25, 0xa9066899, v20
	s_delay_alu instid0(VALU_DEP_4) | instskip(NEXT) | instid1(VALU_DEP_4)
	v_mad_u64_u32 v[36:37], null, 0xd2511f53, v0, 0
	v_mad_u64_u32 v[38:39], null, 0xd2511f53, v21, 0
	v_xor3_b32 v0, v18, v16, v22
	v_xor3_b32 v10, v29, v24, v15
	v_add_nc_u32_e32 v18, 0x1715609d, v19
	s_delay_alu instid0(VALU_DEP_3) | instskip(SKIP_4) | instid1(VALU_DEP_4)
	v_mad_u64_u32 v[15:16], null, 0xd2511f53, v0, 0
	v_xor3_b32 v0, v40, v37, v28
	v_xor3_b32 v24, v41, v39, v36
	v_mad_u64_u32 v[27:28], null, 0xd2511f53, v10, 0
	v_add_nc_u32_e32 v37, 0xb54cda56, v19
	v_mad_u64_u32 v[21:22], null, 0xcd9e8d57, v0, 0
	s_delay_alu instid0(VALU_DEP_4) | instskip(SKIP_3) | instid1(VALU_DEP_3)
	v_mad_u64_u32 v[39:40], null, 0xcd9e8d57, v24, 0
	v_xor3_b32 v0, v41, v16, v9
	v_xor3_b32 v24, v25, v28, v15
	v_add_nc_u32_e32 v36, 0x646e171e, v20
	v_mad_u64_u32 v[9:10], null, 0xcd9e8d57, v0, 0
	v_xor3_b32 v0, v29, v22, v26
	v_xor3_b32 v26, v18, v40, v21
	v_mad_u64_u32 v[15:16], null, 0xcd9e8d57, v24, 0
	s_delay_alu instid0(VALU_DEP_3) | instskip(NEXT) | instid1(VALU_DEP_3)
	v_mad_u64_u32 v[21:22], null, 0xd2511f53, v0, 0
	v_mad_u64_u32 v[40:41], null, 0xd2511f53, v26, 0
	v_xor3_b32 v0, v18, v10, v23
	s_delay_alu instid0(VALU_DEP_4) | instskip(SKIP_1) | instid1(VALU_DEP_3)
	v_xor3_b32 v16, v37, v16, v9
	v_add_nc_u32_e32 v18, 0x5384540f, v19
	v_mad_u64_u32 v[9:10], null, 0xd2511f53, v0, 0
	v_xor3_b32 v0, v25, v22, v38
	v_xor3_b32 v23, v36, v41, v21
	v_mad_u64_u32 v[21:22], null, 0xd2511f53, v16, 0
	s_delay_alu instid0(VALU_DEP_3) | instskip(NEXT) | instid1(VALU_DEP_3)
	v_mad_u64_u32 v[28:29], null, 0xcd9e8d57, v0, 0
	v_mad_u64_u32 v[24:25], null, 0xcd9e8d57, v23, 0
	v_xor3_b32 v0, v36, v10, v27
	s_delay_alu instid0(VALU_DEP_4) | instskip(SKIP_1) | instid1(VALU_DEP_3)
	v_xor3_b32 v16, v42, v22, v9
	v_add_co_u32 v36, null, 0xf1bbcdc8, v19
	v_mad_u64_u32 v[9:10], null, 0xcd9e8d57, v0, 0
	v_xor3_b32 v0, v37, v29, v39
	v_xor3_b32 v25, v18, v25, v28
	v_mad_u64_u32 v[22:23], null, 0xcd9e8d57, v16, 0
	v_add_nc_u32_e32 v37, 0xdb3d7428, v20
	s_delay_alu instid0(VALU_DEP_4) | instskip(NEXT) | instid1(VALU_DEP_4)
	v_mad_u64_u32 v[38:39], null, 0xd2511f53, v0, 0
	v_mad_u64_u32 v[27:28], null, 0xd2511f53, v25, 0
	v_xor3_b32 v0, v18, v10, v15
	v_xor3_b32 v15, v36, v23, v9
	v_add_nc_u32_e32 v23, 0x96a522ad, v20
	v_add_nc_u32_e32 v20, 0x8ff34781, v19
	v_and_b32_e32 v19, 3, v17
	v_mad_u64_u32 v[25:26], null, 0xd2511f53, v0, 0
	v_xor3_b32 v0, v42, v39, v40
	v_xor3_b32 v18, v37, v28, v38
	v_mad_u64_u32 v[9:10], null, 0xd2511f53, v15, 0
	s_delay_alu instid0(VALU_DEP_3) | instskip(NEXT) | instid1(VALU_DEP_3)
	v_mad_u64_u32 v[28:29], null, 0xcd9e8d57, v0, 0
	v_mad_u64_u32 v[15:16], null, 0xcd9e8d57, v18, 0
                                        ; implicit-def: $vgpr18
	s_delay_alu instid0(VALU_DEP_3) | instskip(NEXT) | instid1(VALU_DEP_2)
	v_xor3_b32 v10, v10, v25, v23
	v_xor3_b32 v0, v16, v28, v20
	v_cmpx_lt_i32_e32 1, v19
	s_xor_b32 s3, exec_lo, s3
	s_cbranch_execz .LBB2_31
; %bb.26:                               ;   in Loop: Header=BB2_3 Depth=1
	s_mov_b32 s18, exec_lo
                                        ; implicit-def: $vgpr18
	v_cmpx_lt_i32_e32 2, v19
	s_xor_b32 s18, exec_lo, s18
; %bb.27:                               ;   in Loop: Header=BB2_3 Depth=1
	v_xor3_b32 v10, v36, v29, v24
	s_delay_alu instid0(VALU_DEP_1) | instskip(NEXT) | instid1(VALU_DEP_1)
	v_mul_hi_u32 v10, 0xd2511f53, v10
	v_xor3_b32 v18, v10, v27, v23
                                        ; implicit-def: $vgpr10
; %bb.28:                               ;   in Loop: Header=BB2_3 Depth=1
	s_and_not1_saveexec_b32 s18, s18
; %bb.29:                               ;   in Loop: Header=BB2_3 Depth=1
	v_dual_mov_b32 v18, v15 :: v_dual_mov_b32 v15, v0
	v_dual_mov_b32 v0, v9 :: v_dual_mov_b32 v9, v10
; %bb.30:                               ;   in Loop: Header=BB2_3 Depth=1
	s_or_b32 exec_lo, exec_lo, s18
                                        ; implicit-def: $vgpr21_vgpr22
                                        ; implicit-def: $vgpr19
                                        ; implicit-def: $vgpr10
                                        ; implicit-def: $vgpr37
                                        ; implicit-def: $vgpr25_vgpr26
                                        ; implicit-def: $vgpr20
                                        ; implicit-def: $vgpr22_vgpr23
.LBB2_31:                               ;   in Loop: Header=BB2_3 Depth=1
	s_and_not1_saveexec_b32 s3, s3
	s_cbranch_execz .LBB2_35
; %bb.32:                               ;   in Loop: Header=BB2_3 Depth=1
	v_xor3_b32 v15, v37, v26, v21
	v_cmp_eq_u32_e32 vcc_lo, 1, v19
	v_mov_b32_e32 v18, v9
	s_delay_alu instid0(VALU_DEP_3) | instskip(SKIP_1) | instid1(VALU_DEP_2)
	v_mad_u64_u32 v[16:17], null, 0xcd9e8d57, v15, 0
	v_mov_b32_e32 v15, v10
	v_xor3_b32 v19, v17, v22, v20
	s_delay_alu instid0(VALU_DEP_3)
	v_mov_b32_e32 v17, v16
	s_and_saveexec_b32 s18, vcc_lo
; %bb.33:                               ;   in Loop: Header=BB2_3 Depth=1
	v_dual_mov_b32 v18, v0 :: v_dual_mov_b32 v15, v9
	v_mov_b32_e32 v17, v10
	v_mov_b32_e32 v19, v16
; %bb.34:                               ;   in Loop: Header=BB2_3 Depth=1
	s_or_b32 exec_lo, exec_lo, s18
	s_delay_alu instid0(VALU_DEP_1)
	v_dual_mov_b32 v9, v19 :: v_dual_mov_b32 v0, v17
.LBB2_35:                               ;   in Loop: Header=BB2_3 Depth=1
	s_or_b32 exec_lo, exec_lo, s3
	v_min_i32_e32 v10, 4, v33
	s_mov_b32 s18, 0
	s_mov_b32 s39, 0
	;; [unrolled: 1-line block ×3, first 2 shown]
	s_mov_b32 s37, exec_lo
                                        ; implicit-def: $sgpr19
                                        ; implicit-def: $sgpr35
                                        ; implicit-def: $sgpr36
	v_cmpx_lt_i32_e32 2, v10
	s_xor_b32 s37, exec_lo, s37
	s_cbranch_execz .LBB2_47
; %bb.36:                               ;   in Loop: Header=BB2_3 Depth=1
	s_mov_b32 s3, -1
	s_mov_b32 s40, 0
	s_mov_b32 s35, exec_lo
                                        ; implicit-def: $sgpr19
                                        ; implicit-def: $sgpr38
	v_cmpx_lt_i32_e32 3, v10
	s_cbranch_execz .LBB2_42
; %bb.37:                               ;   in Loop: Header=BB2_3 Depth=1
	s_mov_b32 s3, 0
	s_mov_b32 s40, -1
	s_mov_b32 s36, exec_lo
                                        ; implicit-def: $sgpr19
                                        ; implicit-def: $sgpr38
	v_cmpx_eq_u32_e32 4, v10
	s_cbranch_execz .LBB2_41
; %bb.38:                               ;   in Loop: Header=BB2_3 Depth=1
	v_cmp_le_f64_e32 vcc_lo, 0, v[13:14]
	v_cmp_ge_f64_e64 s3, 1.0, v[13:14]
	s_mov_b32 s19, 0
	s_delay_alu instid0(VALU_DEP_1)
	s_and_b32 s40, vcc_lo, s3
	s_mov_b32 s3, 0
	s_and_saveexec_b32 s38, s40
	s_cbranch_execz .LBB2_40
; %bb.39:                               ;   in Loop: Header=BB2_3 Depth=1
	v_cvt_f32_u32_e32 v16, v18
	v_lshlrev_b64 v[11:12], 3, v[11:12]
	s_mov_b32 s3, exec_lo
	s_delay_alu instid0(VALU_DEP_2) | instskip(NEXT) | instid1(VALU_DEP_2)
	v_fmaak_f32 v16, 0x2f800000, v16, 0x2f800000
	v_add_co_u32 v11, vcc_lo, s10, v11
	s_delay_alu instid0(VALU_DEP_3) | instskip(NEXT) | instid1(VALU_DEP_3)
	v_add_co_ci_u32_e32 v12, vcc_lo, s11, v12, vcc_lo
	v_cvt_f64_f32_e32 v[16:17], v16
	s_delay_alu instid0(VALU_DEP_1)
	v_cmp_ge_f64_e32 vcc_lo, v[13:14], v[16:17]
	v_mov_b32_e32 v13, v4
	v_cndmask_b32_e64 v14, 0, 0x3ff00000, vcc_lo
	global_store_b64 v[11:12], v[13:14], off
.LBB2_40:                               ;   in Loop: Header=BB2_3 Depth=1
	s_or_b32 exec_lo, exec_lo, s38
	s_mov_b32 s38, -1
	s_xor_b32 s40, exec_lo, -1
	s_and_b32 s3, s3, exec_lo
.LBB2_41:                               ;   in Loop: Header=BB2_3 Depth=1
	s_or_b32 exec_lo, exec_lo, s36
	s_delay_alu instid0(SALU_CYCLE_1)
	s_and_b32 s40, s40, exec_lo
	s_or_not1_b32 s3, s3, exec_lo
.LBB2_42:                               ;   in Loop: Header=BB2_3 Depth=1
	s_or_b32 exec_lo, exec_lo, s35
	s_mov_b32 s36, s19
	s_and_saveexec_b32 s35, s3
	s_cbranch_execz .LBB2_46
; %bb.43:                               ;   in Loop: Header=BB2_3 Depth=1
	v_lshlrev_b64 v[7:8], 3, v[7:8]
	s_delay_alu instid0(VALU_DEP_1) | instskip(NEXT) | instid1(VALU_DEP_2)
	v_add_co_u32 v7, vcc_lo, s12, v7
	v_add_co_ci_u32_e32 v8, vcc_lo, s13, v8, vcc_lo
	global_load_b64 v[7:8], v[7:8], off
	s_waitcnt vmcnt(0)
	v_cmp_le_f64_e32 vcc_lo, 0, v[7:8]
	v_cmp_ge_f64_e64 s3, 1.0, v[7:8]
	s_delay_alu instid0(VALU_DEP_1) | instskip(SKIP_2) | instid1(SALU_CYCLE_1)
	s_and_b32 s36, vcc_lo, s3
	s_mov_b32 s3, 0
	s_and_saveexec_b32 s39, s36
	s_xor_b32 s36, exec_lo, s39
	s_cbranch_execz .LBB2_45
; %bb.44:                               ;   in Loop: Header=BB2_3 Depth=1
	v_cvt_f32_u32_e32 v11, v15
	v_cndmask_b32_e64 v13, 0, v35, s2
	s_mov_b32 s3, exec_lo
	s_delay_alu instid0(VALU_DEP_2) | instskip(NEXT) | instid1(VALU_DEP_1)
	v_dual_mov_b32 v14, v4 :: v_dual_fmaak_f32 v11, 0x2f800000, v11, 0x2f800000
	v_lshlrev_b64 v[13:14], 3, v[13:14]
	s_delay_alu instid0(VALU_DEP_2) | instskip(NEXT) | instid1(VALU_DEP_2)
	v_cvt_f64_f32_e32 v[11:12], v11
	v_add_co_u32 v13, vcc_lo, s10, v13
	s_delay_alu instid0(VALU_DEP_3) | instskip(NEXT) | instid1(VALU_DEP_3)
	v_add_co_ci_u32_e32 v14, vcc_lo, s11, v14, vcc_lo
	v_cmp_ge_f64_e32 vcc_lo, v[7:8], v[11:12]
	v_mov_b32_e32 v7, v4
	v_cndmask_b32_e64 v8, 0, 0x3ff00000, vcc_lo
	global_store_b64 v[13:14], v[7:8], off
.LBB2_45:                               ;   in Loop: Header=BB2_3 Depth=1
	s_or_b32 exec_lo, exec_lo, s36
	s_delay_alu instid0(SALU_CYCLE_1)
	s_and_not1_b32 s36, s19, exec_lo
	s_or_b32 s19, s19, exec_lo
	s_and_not1_b32 s38, s38, exec_lo
	s_and_b32 s39, s3, exec_lo
.LBB2_46:                               ;   in Loop: Header=BB2_3 Depth=1
	s_or_b32 exec_lo, exec_lo, s35
	s_delay_alu instid0(SALU_CYCLE_1)
	s_and_b32 s36, s36, exec_lo
	s_and_b32 s35, s19, exec_lo
	;; [unrolled: 1-line block ×5, first 2 shown]
.LBB2_47:                               ;   in Loop: Header=BB2_3 Depth=1
	s_and_not1_saveexec_b32 s2, s37
; %bb.48:                               ;   in Loop: Header=BB2_3 Depth=1
	v_cmp_lt_i32_e32 vcc_lo, 1, v10
	s_and_not1_b32 s37, s39, exec_lo
	s_mov_b32 s18, exec_lo
	s_and_not1_b32 s36, s36, exec_lo
	s_and_not1_b32 s35, s35, exec_lo
	s_and_b32 s38, vcc_lo, exec_lo
	s_and_not1_b32 s19, s19, exec_lo
	s_or_b32 s39, s37, s38
; %bb.49:                               ;   in Loop: Header=BB2_3 Depth=1
	s_or_b32 exec_lo, exec_lo, s2
	s_mov_b32 s37, 0
	s_mov_b32 s2, s36
	s_and_saveexec_b32 s38, s39
	s_cbranch_execnz .LBB2_52
; %bb.50:                               ;   in Loop: Header=BB2_3 Depth=1
	s_or_b32 exec_lo, exec_lo, s38
	s_and_saveexec_b32 s1, s18
	s_cbranch_execnz .LBB2_55
.LBB2_51:                               ;   in Loop: Header=BB2_3 Depth=1
	s_or_b32 exec_lo, exec_lo, s1
	s_and_saveexec_b32 s18, s37
	s_cbranch_execnz .LBB2_56
	s_branch .LBB2_59
.LBB2_52:                               ;   in Loop: Header=BB2_3 Depth=1
	v_lshlrev_b64 v[5:6], 3, v[5:6]
	s_delay_alu instid0(VALU_DEP_1) | instskip(NEXT) | instid1(VALU_DEP_2)
	v_add_co_u32 v5, vcc_lo, s12, v5
	v_add_co_ci_u32_e32 v6, vcc_lo, s13, v6, vcc_lo
	global_load_b64 v[5:6], v[5:6], off
	s_waitcnt vmcnt(0)
	v_cmp_le_f64_e32 vcc_lo, 0, v[5:6]
	v_cmp_ge_f64_e64 s2, 1.0, v[5:6]
	s_delay_alu instid0(VALU_DEP_1) | instskip(NEXT) | instid1(SALU_CYCLE_1)
	s_and_b32 s2, vcc_lo, s2
	s_and_saveexec_b32 s39, s2
	s_delay_alu instid0(SALU_CYCLE_1)
	s_xor_b32 s2, exec_lo, s39
	s_cbranch_execz .LBB2_54
; %bb.53:                               ;   in Loop: Header=BB2_3 Depth=1
	v_cvt_f32_u32_e32 v0, v0
	v_cndmask_b32_e64 v11, 0, v34, s1
	v_mov_b32_e32 v12, v4
	s_mov_b32 s37, exec_lo
	s_delay_alu instid0(VALU_DEP_3) | instskip(NEXT) | instid1(VALU_DEP_2)
	v_fmaak_f32 v0, 0x2f800000, v0, 0x2f800000
	v_lshlrev_b64 v[11:12], 3, v[11:12]
	s_delay_alu instid0(VALU_DEP_2) | instskip(NEXT) | instid1(VALU_DEP_2)
	v_cvt_f64_f32_e32 v[7:8], v0
	v_add_co_u32 v11, vcc_lo, s10, v11
	s_delay_alu instid0(VALU_DEP_3) | instskip(NEXT) | instid1(VALU_DEP_3)
	v_add_co_ci_u32_e32 v12, vcc_lo, s11, v12, vcc_lo
	v_cmp_ge_f64_e32 vcc_lo, v[5:6], v[7:8]
	v_mov_b32_e32 v5, v4
	v_cndmask_b32_e64 v6, 0, 0x3ff00000, vcc_lo
	global_store_b64 v[11:12], v[5:6], off
.LBB2_54:                               ;   in Loop: Header=BB2_3 Depth=1
	s_or_b32 exec_lo, exec_lo, s2
	s_delay_alu instid0(SALU_CYCLE_1)
	s_and_not1_b32 s2, s36, exec_lo
	s_or_b32 s36, s36, exec_lo
	s_and_not1_b32 s35, s35, exec_lo
	s_and_not1_b32 s19, s19, exec_lo
	s_and_b32 s37, s37, exec_lo
	s_and_not1_b32 s18, s18, exec_lo
	s_or_b32 exec_lo, exec_lo, s38
	s_and_saveexec_b32 s1, s18
	s_cbranch_execz .LBB2_51
.LBB2_55:                               ;   in Loop: Header=BB2_3 Depth=1
	v_cmp_eq_u32_e32 vcc_lo, 1, v10
	s_and_not1_b32 s18, s37, exec_lo
	s_and_not1_b32 s2, s2, exec_lo
	;; [unrolled: 1-line block ×4, first 2 shown]
	s_and_b32 s37, vcc_lo, exec_lo
	s_and_not1_b32 s19, s19, exec_lo
	s_or_b32 s3, s3, exec_lo
	s_or_b32 s37, s18, s37
	s_or_b32 exec_lo, exec_lo, s1
	s_and_saveexec_b32 s18, s37
	s_cbranch_execz .LBB2_59
.LBB2_56:                               ;   in Loop: Header=BB2_3 Depth=1
	v_lshlrev_b64 v[5:6], 3, v[3:4]
	s_mov_b32 s37, 0
	s_delay_alu instid0(VALU_DEP_1) | instskip(NEXT) | instid1(VALU_DEP_2)
	v_add_co_u32 v5, vcc_lo, s12, v5
	v_add_co_ci_u32_e32 v6, vcc_lo, s13, v6, vcc_lo
	global_load_b64 v[5:6], v[5:6], off
	s_waitcnt vmcnt(0)
	v_cmp_le_f64_e32 vcc_lo, 0, v[5:6]
	v_cmp_ge_f64_e64 s1, 1.0, v[5:6]
	s_delay_alu instid0(VALU_DEP_1) | instskip(NEXT) | instid1(SALU_CYCLE_1)
	s_and_b32 s38, vcc_lo, s1
	s_and_saveexec_b32 s1, s38
	s_cbranch_execz .LBB2_58
; %bb.57:                               ;   in Loop: Header=BB2_3 Depth=1
	v_cvt_f32_u32_e32 v0, v9
	v_cndmask_b32_e64 v3, 0, v32, s0
	s_mov_b32 s37, exec_lo
	s_delay_alu instid0(VALU_DEP_2) | instskip(NEXT) | instid1(VALU_DEP_2)
	v_fmaak_f32 v0, 0x2f800000, v0, 0x2f800000
	v_lshlrev_b64 v[9:10], 3, v[3:4]
	s_delay_alu instid0(VALU_DEP_2) | instskip(NEXT) | instid1(VALU_DEP_2)
	v_cvt_f64_f32_e32 v[7:8], v0
	v_add_co_u32 v9, vcc_lo, s10, v9
	s_delay_alu instid0(VALU_DEP_3) | instskip(NEXT) | instid1(VALU_DEP_3)
	v_add_co_ci_u32_e32 v10, vcc_lo, s11, v10, vcc_lo
	v_cmp_ge_f64_e32 vcc_lo, v[5:6], v[7:8]
	v_mov_b32_e32 v5, v4
	v_cndmask_b32_e64 v6, 0, 0x3ff00000, vcc_lo
	global_store_b64 v[9:10], v[5:6], off
.LBB2_58:                               ;   in Loop: Header=BB2_3 Depth=1
	s_or_b32 exec_lo, exec_lo, s1
	s_delay_alu instid0(SALU_CYCLE_1)
	s_and_not1_b32 s0, s3, exec_lo
	s_and_b32 s1, s37, exec_lo
	s_or_b32 s2, s2, exec_lo
	s_and_not1_b32 s36, s36, exec_lo
	s_and_not1_b32 s35, s35, exec_lo
	;; [unrolled: 1-line block ×3, first 2 shown]
	s_or_b32 s3, s0, s1
.LBB2_59:                               ;   in Loop: Header=BB2_3 Depth=1
	s_or_b32 exec_lo, exec_lo, s18
	s_delay_alu instid0(SALU_CYCLE_1)
	s_and_not1_b32 s1, s34, exec_lo
	s_and_b32 s2, s2, exec_lo
	s_and_not1_b32 s18, s31, exec_lo
	s_and_b32 s31, s36, exec_lo
	s_or_b32 s34, s1, s2
	s_or_b32 s31, s18, s31
	s_and_not1_b32 s1, s33, exec_lo
	s_and_b32 s2, s35, exec_lo
	s_and_not1_b32 s18, s30, exec_lo
	s_and_b32 s19, s19, exec_lo
	s_mov_b32 s0, -1
	s_or_b32 s33, s1, s2
	s_or_b32 s30, s18, s19
	s_and_saveexec_b32 s1, s3
	s_cbranch_execz .LBB2_2
; %bb.60:                               ;   in Loop: Header=BB2_3 Depth=1
	v_add_nc_u32_e32 v30, s25, v30
	s_and_not1_b32 s34, s34, exec_lo
	s_and_not1_b32 s31, s31, exec_lo
	s_and_not1_b32 s33, s33, exec_lo
	s_and_not1_b32 s30, s30, exec_lo
	v_cmp_le_u32_e32 vcc_lo, s20, v30
	s_or_not1_b32 s0, vcc_lo, exec_lo
	s_branch .LBB2_2
.LBB2_61:
	s_or_b32 exec_lo, exec_lo, s15
	s_xor_b32 s3, s28, -1
	s_xor_b32 s4, s29, -1
	;; [unrolled: 1-line block ×3, first 2 shown]
	s_mov_b32 s1, 0
	s_and_saveexec_b32 s2, s0
	s_delay_alu instid0(SALU_CYCLE_1)
	s_xor_b32 s0, exec_lo, s2
	s_cbranch_execz .LBB2_70
; %bb.62:
	s_mov_b32 s2, 0
	s_and_saveexec_b32 s1, s4
	s_delay_alu instid0(SALU_CYCLE_1)
	s_xor_b32 s1, exec_lo, s1
	s_cbranch_execz .LBB2_68
; %bb.63:
	s_and_saveexec_b32 s4, s3
	s_delay_alu instid0(SALU_CYCLE_1)
	s_xor_b32 s3, exec_lo, s4
	s_cbranch_execz .LBB2_66
; %bb.64:
	s_and_saveexec_b32 s4, s14
	s_delay_alu instid0(SALU_CYCLE_1)
	s_xor_b32 s4, exec_lo, s4
	s_cbranch_execnz .LBB2_84
.LBB2_65:
	s_or_b32 exec_lo, exec_lo, s4
	s_delay_alu instid0(SALU_CYCLE_1)
	s_and_b32 s2, s2, exec_lo
.LBB2_66:
	s_and_not1_saveexec_b32 s3, s3
	s_cbranch_execnz .LBB2_80
.LBB2_67:
	s_or_b32 exec_lo, exec_lo, s3
	s_delay_alu instid0(SALU_CYCLE_1)
	s_and_b32 s2, s2, exec_lo
.LBB2_68:
	s_and_not1_saveexec_b32 s1, s1
	s_cbranch_execnz .LBB2_76
.LBB2_69:
	s_or_b32 exec_lo, exec_lo, s1
	s_delay_alu instid0(SALU_CYCLE_1)
	s_and_b32 s1, s2, exec_lo
.LBB2_70:
	s_and_not1_saveexec_b32 s0, s0
	s_cbranch_execnz .LBB2_74
; %bb.71:
	s_or_b32 exec_lo, exec_lo, s0
	s_delay_alu instid0(SALU_CYCLE_1)
	s_and_b32 exec_lo, exec_lo, s1
.LBB2_72:
	; divergent unreachable
.LBB2_73:
	s_nop 0
	s_sendmsg sendmsg(MSG_DEALLOC_VGPRS)
	s_endpgm
.LBB2_74:
	s_cbranch_execnz .LBB2_78
; %bb.75:
	s_or_b32 s1, s1, exec_lo
	s_or_b32 exec_lo, exec_lo, s0
	s_delay_alu instid0(SALU_CYCLE_1)
	s_and_b32 exec_lo, exec_lo, s1
	s_cbranch_execnz .LBB2_72
	s_branch .LBB2_73
.LBB2_76:
	s_cbranch_execnz .LBB2_82
; %bb.77:
	s_or_b32 s2, s2, exec_lo
	s_branch .LBB2_69
.LBB2_78:
	s_trap 2
	s_sendmsg_rtn_b32 s0, sendmsg(MSG_RTN_GET_DOORBELL)
	s_mov_b32 ttmp2, m0
	s_waitcnt lgkmcnt(0)
	s_and_b32 s0, s0, 0x3ff
	s_delay_alu instid0(SALU_CYCLE_1) | instskip(NEXT) | instid1(SALU_CYCLE_1)
	s_bitset1_b32 s0, 10
	s_mov_b32 m0, s0
	s_sendmsg sendmsg(MSG_INTERRUPT)
	s_mov_b32 m0, ttmp2
.LBB2_79:                               ; =>This Inner Loop Header: Depth=1
	s_sethalt 5
	s_branch .LBB2_79
.LBB2_80:
	s_cbranch_execnz .LBB2_86
; %bb.81:
	s_or_b32 s2, s2, exec_lo
	s_branch .LBB2_67
.LBB2_82:
	s_trap 2
	s_sendmsg_rtn_b32 s0, sendmsg(MSG_RTN_GET_DOORBELL)
	s_mov_b32 ttmp2, m0
	s_waitcnt lgkmcnt(0)
	s_and_b32 s0, s0, 0x3ff
	s_delay_alu instid0(SALU_CYCLE_1) | instskip(NEXT) | instid1(SALU_CYCLE_1)
	s_bitset1_b32 s0, 10
	s_mov_b32 m0, s0
	s_sendmsg sendmsg(MSG_INTERRUPT)
	s_mov_b32 m0, ttmp2
.LBB2_83:                               ; =>This Inner Loop Header: Depth=1
	s_sethalt 5
	s_branch .LBB2_83
.LBB2_84:
	s_cbranch_execnz .LBB2_88
; %bb.85:
	s_mov_b32 s2, exec_lo
	s_branch .LBB2_65
.LBB2_86:
	s_trap 2
	s_sendmsg_rtn_b32 s0, sendmsg(MSG_RTN_GET_DOORBELL)
	s_mov_b32 ttmp2, m0
	s_waitcnt lgkmcnt(0)
	s_and_b32 s0, s0, 0x3ff
	s_delay_alu instid0(SALU_CYCLE_1) | instskip(NEXT) | instid1(SALU_CYCLE_1)
	s_bitset1_b32 s0, 10
	s_mov_b32 m0, s0
	s_sendmsg sendmsg(MSG_INTERRUPT)
	s_mov_b32 m0, ttmp2
.LBB2_87:                               ; =>This Inner Loop Header: Depth=1
	s_sethalt 5
	s_branch .LBB2_87
.LBB2_88:
	s_trap 2
	s_sendmsg_rtn_b32 s0, sendmsg(MSG_RTN_GET_DOORBELL)
	s_mov_b32 ttmp2, m0
	s_waitcnt lgkmcnt(0)
	s_and_b32 s0, s0, 0x3ff
	s_delay_alu instid0(SALU_CYCLE_1) | instskip(NEXT) | instid1(SALU_CYCLE_1)
	s_bitset1_b32 s0, 10
	s_mov_b32 m0, s0
	s_sendmsg sendmsg(MSG_INTERRUPT)
	s_mov_b32 m0, ttmp2
.LBB2_89:                               ; =>This Inner Loop Header: Depth=1
	s_sethalt 5
	s_branch .LBB2_89
	.section	.rodata,"a",@progbits
	.p2align	6, 0x0
	.amdhsa_kernel _ZN2at4cuda12_GLOBAL__N_121kernelPointwiseApply2IZNS_6native9templates4cuda28bernoulli_tensor_cuda_kernelIddEEvRKNS_10TensorBaseES9_NS_15PhiloxCudaStateEEUliRdSB_SB_SB_RKdSD_SD_SD_E_dSC_jLi1ELin1ELi4ELi512ELi2EEEvNS0_6detail10TensorInfoIT0_T2_EENSG_IT1_SI_EESI_T_
		.amdhsa_group_segment_fixed_size 0
		.amdhsa_private_segment_fixed_size 0
		.amdhsa_kernarg_size 728
		.amdhsa_user_sgpr_count 15
		.amdhsa_user_sgpr_dispatch_ptr 0
		.amdhsa_user_sgpr_queue_ptr 0
		.amdhsa_user_sgpr_kernarg_segment_ptr 1
		.amdhsa_user_sgpr_dispatch_id 0
		.amdhsa_user_sgpr_private_segment_size 0
		.amdhsa_wavefront_size32 1
		.amdhsa_uses_dynamic_stack 0
		.amdhsa_enable_private_segment 0
		.amdhsa_system_sgpr_workgroup_id_x 1
		.amdhsa_system_sgpr_workgroup_id_y 0
		.amdhsa_system_sgpr_workgroup_id_z 0
		.amdhsa_system_sgpr_workgroup_info 0
		.amdhsa_system_vgpr_workitem_id 0
		.amdhsa_next_free_vgpr 43
		.amdhsa_next_free_sgpr 41
		.amdhsa_reserve_vcc 1
		.amdhsa_float_round_mode_32 0
		.amdhsa_float_round_mode_16_64 0
		.amdhsa_float_denorm_mode_32 3
		.amdhsa_float_denorm_mode_16_64 3
		.amdhsa_dx10_clamp 1
		.amdhsa_ieee_mode 1
		.amdhsa_fp16_overflow 0
		.amdhsa_workgroup_processor_mode 1
		.amdhsa_memory_ordered 1
		.amdhsa_forward_progress 0
		.amdhsa_shared_vgpr_count 0
		.amdhsa_exception_fp_ieee_invalid_op 0
		.amdhsa_exception_fp_denorm_src 0
		.amdhsa_exception_fp_ieee_div_zero 0
		.amdhsa_exception_fp_ieee_overflow 0
		.amdhsa_exception_fp_ieee_underflow 0
		.amdhsa_exception_fp_ieee_inexact 0
		.amdhsa_exception_int_div_zero 0
	.end_amdhsa_kernel
	.section	.text._ZN2at4cuda12_GLOBAL__N_121kernelPointwiseApply2IZNS_6native9templates4cuda28bernoulli_tensor_cuda_kernelIddEEvRKNS_10TensorBaseES9_NS_15PhiloxCudaStateEEUliRdSB_SB_SB_RKdSD_SD_SD_E_dSC_jLi1ELin1ELi4ELi512ELi2EEEvNS0_6detail10TensorInfoIT0_T2_EENSG_IT1_SI_EESI_T_,"axG",@progbits,_ZN2at4cuda12_GLOBAL__N_121kernelPointwiseApply2IZNS_6native9templates4cuda28bernoulli_tensor_cuda_kernelIddEEvRKNS_10TensorBaseES9_NS_15PhiloxCudaStateEEUliRdSB_SB_SB_RKdSD_SD_SD_E_dSC_jLi1ELin1ELi4ELi512ELi2EEEvNS0_6detail10TensorInfoIT0_T2_EENSG_IT1_SI_EESI_T_,comdat
.Lfunc_end2:
	.size	_ZN2at4cuda12_GLOBAL__N_121kernelPointwiseApply2IZNS_6native9templates4cuda28bernoulli_tensor_cuda_kernelIddEEvRKNS_10TensorBaseES9_NS_15PhiloxCudaStateEEUliRdSB_SB_SB_RKdSD_SD_SD_E_dSC_jLi1ELin1ELi4ELi512ELi2EEEvNS0_6detail10TensorInfoIT0_T2_EENSG_IT1_SI_EESI_T_, .Lfunc_end2-_ZN2at4cuda12_GLOBAL__N_121kernelPointwiseApply2IZNS_6native9templates4cuda28bernoulli_tensor_cuda_kernelIddEEvRKNS_10TensorBaseES9_NS_15PhiloxCudaStateEEUliRdSB_SB_SB_RKdSD_SD_SD_E_dSC_jLi1ELin1ELi4ELi512ELi2EEEvNS0_6detail10TensorInfoIT0_T2_EENSG_IT1_SI_EESI_T_
                                        ; -- End function
	.section	.AMDGPU.csdata,"",@progbits
; Kernel info:
; codeLenInByte = 4348
; NumSgprs: 43
; NumVgprs: 43
; ScratchSize: 0
; MemoryBound: 0
; FloatMode: 240
; IeeeMode: 1
; LDSByteSize: 0 bytes/workgroup (compile time only)
; SGPRBlocks: 5
; VGPRBlocks: 5
; NumSGPRsForWavesPerEU: 43
; NumVGPRsForWavesPerEU: 43
; Occupancy: 16
; WaveLimiterHint : 1
; COMPUTE_PGM_RSRC2:SCRATCH_EN: 0
; COMPUTE_PGM_RSRC2:USER_SGPR: 15
; COMPUTE_PGM_RSRC2:TRAP_HANDLER: 0
; COMPUTE_PGM_RSRC2:TGID_X_EN: 1
; COMPUTE_PGM_RSRC2:TGID_Y_EN: 0
; COMPUTE_PGM_RSRC2:TGID_Z_EN: 0
; COMPUTE_PGM_RSRC2:TIDIG_COMP_CNT: 0
	.section	.text._ZN2at4cuda12_GLOBAL__N_121kernelPointwiseApply2IZNS_6native9templates4cuda28bernoulli_tensor_cuda_kernelIddEEvRKNS_10TensorBaseES9_NS_15PhiloxCudaStateEEUliRdSB_SB_SB_RKdSD_SD_SD_E_dSC_jLi2ELi1ELi4ELi512ELi2EEEvNS0_6detail10TensorInfoIT0_T2_EENSG_IT1_SI_EESI_T_,"axG",@progbits,_ZN2at4cuda12_GLOBAL__N_121kernelPointwiseApply2IZNS_6native9templates4cuda28bernoulli_tensor_cuda_kernelIddEEvRKNS_10TensorBaseES9_NS_15PhiloxCudaStateEEUliRdSB_SB_SB_RKdSD_SD_SD_E_dSC_jLi2ELi1ELi4ELi512ELi2EEEvNS0_6detail10TensorInfoIT0_T2_EENSG_IT1_SI_EESI_T_,comdat
	.globl	_ZN2at4cuda12_GLOBAL__N_121kernelPointwiseApply2IZNS_6native9templates4cuda28bernoulli_tensor_cuda_kernelIddEEvRKNS_10TensorBaseES9_NS_15PhiloxCudaStateEEUliRdSB_SB_SB_RKdSD_SD_SD_E_dSC_jLi2ELi1ELi4ELi512ELi2EEEvNS0_6detail10TensorInfoIT0_T2_EENSG_IT1_SI_EESI_T_ ; -- Begin function _ZN2at4cuda12_GLOBAL__N_121kernelPointwiseApply2IZNS_6native9templates4cuda28bernoulli_tensor_cuda_kernelIddEEvRKNS_10TensorBaseES9_NS_15PhiloxCudaStateEEUliRdSB_SB_SB_RKdSD_SD_SD_E_dSC_jLi2ELi1ELi4ELi512ELi2EEEvNS0_6detail10TensorInfoIT0_T2_EENSG_IT1_SI_EESI_T_
	.p2align	8
	.type	_ZN2at4cuda12_GLOBAL__N_121kernelPointwiseApply2IZNS_6native9templates4cuda28bernoulli_tensor_cuda_kernelIddEEvRKNS_10TensorBaseES9_NS_15PhiloxCudaStateEEUliRdSB_SB_SB_RKdSD_SD_SD_E_dSC_jLi2ELi1ELi4ELi512ELi2EEEvNS0_6detail10TensorInfoIT0_T2_EENSG_IT1_SI_EESI_T_,@function
_ZN2at4cuda12_GLOBAL__N_121kernelPointwiseApply2IZNS_6native9templates4cuda28bernoulli_tensor_cuda_kernelIddEEvRKNS_10TensorBaseES9_NS_15PhiloxCudaStateEEUliRdSB_SB_SB_RKdSD_SD_SD_E_dSC_jLi2ELi1ELi4ELi512ELi2EEEvNS0_6detail10TensorInfoIT0_T2_EENSG_IT1_SI_EESI_T_: ; @_ZN2at4cuda12_GLOBAL__N_121kernelPointwiseApply2IZNS_6native9templates4cuda28bernoulli_tensor_cuda_kernelIddEEvRKNS_10TensorBaseES9_NS_15PhiloxCudaStateEEUliRdSB_SB_SB_RKdSD_SD_SD_E_dSC_jLi2ELi1ELi4ELi512ELi2EEEvNS0_6detail10TensorInfoIT0_T2_EENSG_IT1_SI_EESI_T_
; %bb.0:
	s_clause 0x1
	s_load_b32 s4, s[0:1], 0x1e4
	s_load_b32 s16, s[0:1], 0x1b0
	s_add_u32 s2, s0, 0x1d8
	s_addc_u32 s3, s1, 0
	s_waitcnt lgkmcnt(0)
	s_and_b32 s20, s4, 0xffff
	s_mov_b32 s4, exec_lo
	v_mad_u64_u32 v[1:2], null, s15, s20, v[0:1]
	s_delay_alu instid0(VALU_DEP_1) | instskip(NEXT) | instid1(VALU_DEP_1)
	v_lshlrev_b32_e32 v0, 2, v1
	v_cmpx_gt_u32_e64 s16, v0
	s_cbranch_execz .LBB3_59
; %bb.1:
	s_clause 0x4
	s_load_b32 s17, s[0:1], 0xc
	s_load_b64 s[8:9], s[0:1], 0x6c
	s_load_b64 s[10:11], s[0:1], 0xd8
	s_load_b32 s4, s[0:1], 0x1d0
	s_load_b32 s23, s[0:1], 0x144
	;; [unrolled: 1-line block ×3, first 2 shown]
	s_clause 0x1
	s_load_b64 s[12:13], s[0:1], 0x0
	s_load_b64 s[14:15], s[0:1], 0x1c8
	v_add_nc_u32_e32 v8, 3, v0
	v_sub_nc_u32_e32 v33, s16, v0
	s_mov_b32 s22, 0
	s_mov_b32 s25, 0
                                        ; implicit-def: $sgpr24
                                        ; implicit-def: $sgpr27
                                        ; implicit-def: $sgpr26
                                        ; implicit-def: $sgpr28
                                        ; implicit-def: $sgpr30
                                        ; implicit-def: $sgpr29
                                        ; implicit-def: $sgpr31
	v_add_nc_u32_e32 v7, 2, v0
	s_waitcnt lgkmcnt(0)
	v_cvt_f32_u32_e32 v2, s17
	s_bitcmp1_b32 s4, 0
	s_load_b128 s[4:7], s[0:1], 0x1b8
	s_delay_alu instid0(VALU_DEP_1)
	v_rcp_iflag_f32_e32 v2, v2
	s_cselect_b32 s18, -1, 0
	s_sub_i32 s19, 0, s17
	v_mul_lo_u32 v32, v0, s23
	v_mul_lo_u32 v36, s23, v8
	s_mul_i32 s2, s2, s20
	v_mov_b32_e32 v4, 0
	s_lshl_b32 s21, s2, 2
                                        ; implicit-def: $sgpr20
	v_mul_lo_u32 v35, s23, v7
	s_waitcnt_depctr 0xfff
	v_dual_mul_f32 v2, 0x4f7ffffe, v2 :: v_dual_add_nc_u32 v37, s23, v32
	s_mul_i32 s23, s21, s23
	s_delay_alu instid0(VALU_DEP_1) | instskip(SKIP_1) | instid1(VALU_DEP_2)
	v_cvt_u32_f32_e32 v5, v2
	v_mad_u64_u32 v[2:3], null, 0xcd9e8d57, v1, 0
	v_mul_lo_u32 v6, s19, v5
	s_delay_alu instid0(VALU_DEP_2) | instskip(NEXT) | instid1(VALU_DEP_2)
	v_mov_b32_e32 v34, v3
	v_mul_hi_u32 v6, v5, v6
	s_delay_alu instid0(VALU_DEP_1)
	v_add_nc_u32_e32 v38, v5, v6
	s_branch .LBB3_3
.LBB3_2:                                ;   in Loop: Header=BB3_3 Depth=1
	s_or_b32 exec_lo, exec_lo, s1
	s_delay_alu instid0(SALU_CYCLE_1) | instskip(NEXT) | instid1(SALU_CYCLE_1)
	s_and_b32 s0, exec_lo, s0
	s_or_b32 s22, s0, s22
	s_and_not1_b32 s0, s20, exec_lo
	s_and_b32 s1, s31, exec_lo
	s_and_not1_b32 s2, s26, exec_lo
	s_and_b32 s3, s29, exec_lo
	s_or_b32 s20, s0, s1
	s_or_b32 s26, s2, s3
	s_and_not1_b32 s0, s27, exec_lo
	s_and_b32 s1, s30, exec_lo
	s_and_not1_b32 s2, s24, exec_lo
	s_and_b32 s3, s28, exec_lo
	s_or_b32 s27, s0, s1
	s_or_b32 s24, s2, s3
	s_and_not1_b32 exec_lo, exec_lo, s22
	s_cbranch_execz .LBB3_47
.LBB3_3:                                ; =>This Inner Loop Header: Depth=1
	v_mov_b32_e32 v7, 0
	v_mov_b32_e32 v8, 0
	v_cmp_lt_i32_e64 s0, 0, v33
	s_delay_alu instid0(VALU_DEP_2) | instskip(NEXT) | instid1(VALU_DEP_2)
	v_dual_mov_b32 v5, v7 :: v_dual_mov_b32 v6, v8
	s_and_saveexec_b32 s1, s0
	s_cbranch_execz .LBB3_5
; %bb.4:                                ;   in Loop: Header=BB3_3 Depth=1
	v_mul_hi_u32 v3, v38, v0
	s_delay_alu instid0(VALU_DEP_1) | instskip(SKIP_1) | instid1(VALU_DEP_2)
	v_not_b32_e32 v11, v3
	v_mad_u64_u32 v[5:6], null, s19, v3, v[0:1]
	v_mad_u64_u32 v[9:10], null, s17, v11, v[0:1]
	s_delay_alu instid0(VALU_DEP_2) | instskip(NEXT) | instid1(VALU_DEP_2)
	v_cmp_le_u32_e32 vcc_lo, s17, v5
	v_dual_cndmask_b32 v5, v5, v9 :: v_dual_add_nc_u32 v6, 1, v3
	s_delay_alu instid0(VALU_DEP_1) | instskip(NEXT) | instid1(VALU_DEP_2)
	v_cndmask_b32_e32 v3, v3, v6, vcc_lo
	v_cmp_le_u32_e32 vcc_lo, s17, v5
	s_delay_alu instid0(VALU_DEP_2) | instskip(NEXT) | instid1(VALU_DEP_1)
	v_add_nc_u32_e32 v6, 1, v3
	v_cndmask_b32_e32 v9, v3, v6, vcc_lo
	s_delay_alu instid0(VALU_DEP_1) | instskip(NEXT) | instid1(VALU_DEP_1)
	v_mad_u64_u32 v[5:6], null, s19, v9, v[0:1]
	v_mul_lo_u32 v3, v5, s9
	s_delay_alu instid0(VALU_DEP_1)
	v_mad_u64_u32 v[5:6], null, v9, s8, v[3:4]
	v_mov_b32_e32 v6, v4
.LBB3_5:                                ;   in Loop: Header=BB3_3 Depth=1
	s_or_b32 exec_lo, exec_lo, s1
	v_cmp_lt_i32_e64 s1, 1, v33
	s_delay_alu instid0(VALU_DEP_1)
	s_and_saveexec_b32 s2, s1
	s_cbranch_execz .LBB3_7
; %bb.6:                                ;   in Loop: Header=BB3_3 Depth=1
	v_add_nc_u32_e32 v3, 1, v0
	s_delay_alu instid0(VALU_DEP_1) | instskip(NEXT) | instid1(VALU_DEP_1)
	v_mul_hi_u32 v7, v3, v38
	v_mul_lo_u32 v8, v7, s17
	v_add_nc_u32_e32 v9, 1, v7
	s_delay_alu instid0(VALU_DEP_2) | instskip(NEXT) | instid1(VALU_DEP_1)
	v_sub_nc_u32_e32 v8, v3, v8
	v_subrev_nc_u32_e32 v10, s17, v8
	v_cmp_le_u32_e32 vcc_lo, s17, v8
	s_delay_alu instid0(VALU_DEP_2) | instskip(NEXT) | instid1(VALU_DEP_1)
	v_dual_cndmask_b32 v7, v7, v9 :: v_dual_cndmask_b32 v8, v8, v10
	v_add_nc_u32_e32 v9, 1, v7
	s_delay_alu instid0(VALU_DEP_2) | instskip(NEXT) | instid1(VALU_DEP_2)
	v_cmp_le_u32_e32 vcc_lo, s17, v8
	v_cndmask_b32_e32 v9, v7, v9, vcc_lo
	s_delay_alu instid0(VALU_DEP_1) | instskip(NEXT) | instid1(VALU_DEP_1)
	v_mul_lo_u32 v7, v9, s17
	v_sub_nc_u32_e32 v3, v3, v7
	s_delay_alu instid0(VALU_DEP_1) | instskip(NEXT) | instid1(VALU_DEP_1)
	v_mul_lo_u32 v3, v3, s9
	v_mad_u64_u32 v[7:8], null, v9, s8, v[3:4]
	v_mov_b32_e32 v8, v4
.LBB3_7:                                ;   in Loop: Header=BB3_3 Depth=1
	s_or_b32 exec_lo, exec_lo, s2
	v_mov_b32_e32 v13, 0
	v_mov_b32_e32 v14, 0
	v_cmp_lt_i32_e64 s2, 2, v33
	s_delay_alu instid0(VALU_DEP_2) | instskip(NEXT) | instid1(VALU_DEP_2)
	v_dual_mov_b32 v9, v13 :: v_dual_mov_b32 v10, v14
	s_and_saveexec_b32 s3, s2
	s_cbranch_execz .LBB3_9
; %bb.8:                                ;   in Loop: Header=BB3_3 Depth=1
	v_add_nc_u32_e32 v3, 2, v0
	s_delay_alu instid0(VALU_DEP_1) | instskip(NEXT) | instid1(VALU_DEP_1)
	v_mul_hi_u32 v9, v3, v38
	v_mul_lo_u32 v10, v9, s17
	s_delay_alu instid0(VALU_DEP_1) | instskip(NEXT) | instid1(VALU_DEP_1)
	v_sub_nc_u32_e32 v10, v3, v10
	v_subrev_nc_u32_e32 v12, s17, v10
	v_cmp_le_u32_e32 vcc_lo, s17, v10
	s_delay_alu instid0(VALU_DEP_2) | instskip(NEXT) | instid1(VALU_DEP_1)
	v_dual_cndmask_b32 v10, v10, v12 :: v_dual_add_nc_u32 v11, 1, v9
	v_cndmask_b32_e32 v9, v9, v11, vcc_lo
	s_delay_alu instid0(VALU_DEP_2) | instskip(NEXT) | instid1(VALU_DEP_2)
	v_cmp_le_u32_e32 vcc_lo, s17, v10
	v_add_nc_u32_e32 v11, 1, v9
	s_delay_alu instid0(VALU_DEP_1) | instskip(NEXT) | instid1(VALU_DEP_1)
	v_cndmask_b32_e32 v11, v9, v11, vcc_lo
	v_mul_lo_u32 v9, v11, s17
	s_delay_alu instid0(VALU_DEP_1) | instskip(NEXT) | instid1(VALU_DEP_1)
	v_sub_nc_u32_e32 v3, v3, v9
	v_mul_lo_u32 v3, v3, s9
	s_delay_alu instid0(VALU_DEP_1)
	v_mad_u64_u32 v[9:10], null, v11, s8, v[3:4]
	v_mov_b32_e32 v10, v4
.LBB3_9:                                ;   in Loop: Header=BB3_3 Depth=1
	s_or_b32 exec_lo, exec_lo, s3
	v_cmp_lt_i32_e32 vcc_lo, 3, v33
	s_and_saveexec_b32 s33, vcc_lo
	s_cbranch_execz .LBB3_11
; %bb.10:                               ;   in Loop: Header=BB3_3 Depth=1
	v_add_nc_u32_e32 v3, 3, v0
	s_delay_alu instid0(VALU_DEP_1) | instskip(NEXT) | instid1(VALU_DEP_1)
	v_mul_hi_u32 v11, v3, v38
	v_mul_lo_u32 v12, v11, s17
	v_add_nc_u32_e32 v13, 1, v11
	s_delay_alu instid0(VALU_DEP_2) | instskip(NEXT) | instid1(VALU_DEP_1)
	v_sub_nc_u32_e32 v12, v3, v12
	v_subrev_nc_u32_e32 v14, s17, v12
	v_cmp_le_u32_e64 s3, s17, v12
	s_delay_alu instid0(VALU_DEP_1) | instskip(NEXT) | instid1(VALU_DEP_3)
	v_cndmask_b32_e64 v11, v11, v13, s3
	v_cndmask_b32_e64 v12, v12, v14, s3
	s_delay_alu instid0(VALU_DEP_2) | instskip(NEXT) | instid1(VALU_DEP_2)
	v_add_nc_u32_e32 v13, 1, v11
	v_cmp_le_u32_e64 s3, s17, v12
	s_delay_alu instid0(VALU_DEP_1) | instskip(NEXT) | instid1(VALU_DEP_1)
	v_cndmask_b32_e64 v11, v11, v13, s3
	v_mul_lo_u32 v12, v11, s17
	s_delay_alu instid0(VALU_DEP_1) | instskip(NEXT) | instid1(VALU_DEP_1)
	v_sub_nc_u32_e32 v3, v3, v12
	v_mul_lo_u32 v3, v3, s9
	s_delay_alu instid0(VALU_DEP_1)
	v_mad_u64_u32 v[13:14], null, v11, s8, v[3:4]
	v_mov_b32_e32 v14, v4
.LBB3_11:                               ;   in Loop: Header=BB3_3 Depth=1
	s_or_b32 exec_lo, exec_lo, s33
	s_waitcnt lgkmcnt(0)
	v_dual_mov_b32 v20, s7 :: v_dual_add_nc_u32 v3, s25, v36
	v_dual_mov_b32 v19, s6 :: v_dual_mov_b32 v22, s5
	v_mov_b32_e32 v21, s4
	s_delay_alu instid0(VALU_DEP_3) | instskip(NEXT) | instid1(VALU_DEP_1)
	v_cndmask_b32_e32 v3, 0, v3, vcc_lo
	v_lshlrev_b64 v[11:12], 3, v[3:4]
	s_delay_alu instid0(VALU_DEP_1) | instskip(NEXT) | instid1(VALU_DEP_2)
	v_add_co_u32 v11, vcc_lo, s10, v11
	v_add_co_ci_u32_e32 v12, vcc_lo, s11, v12, vcc_lo
	s_and_not1_b32 vcc_lo, exec_lo, s18
	global_load_b64 v[15:16], v[11:12], off
	s_cbranch_vccnz .LBB3_13
; %bb.12:                               ;   in Loop: Header=BB3_3 Depth=1
	v_dual_mov_b32 v12, s7 :: v_dual_mov_b32 v11, s6
	v_dual_mov_b32 v18, s5 :: v_dual_mov_b32 v17, s4
	flat_load_b64 v[11:12], v[11:12]
	flat_load_b64 v[21:22], v[17:18]
	s_waitcnt vmcnt(1) lgkmcnt(1)
	v_add_co_u32 v19, vcc_lo, v11, s14
	v_add_co_ci_u32_e32 v20, vcc_lo, s15, v12, vcc_lo
.LBB3_13:                               ;   in Loop: Header=BB3_3 Depth=1
	s_delay_alu instid0(VALU_DEP_1)
	v_alignbit_b32 v3, v20, v19, 2
	v_lshrrev_b32_e32 v17, 2, v20
	s_waitcnt vmcnt(0) lgkmcnt(0)
	v_add_nc_u32_e32 v39, 0x9e3779b9, v21
	v_add_nc_u32_e32 v41, 0x3c6ef372, v21
	;; [unrolled: 1-line block ×3, first 2 shown]
	v_add_co_u32 v18, vcc_lo, v3, 1
	s_delay_alu instid0(VALU_DEP_1) | instskip(SKIP_4) | instid1(VALU_DEP_4)
	v_cndmask_b32_e64 v11, 0, 1, vcc_lo
	v_add_co_ci_u32_e32 v20, vcc_lo, 0, v17, vcc_lo
	v_xor3_b32 v25, v34, v21, v17
	v_add_nc_u32_e32 v44, 0xed9eba14, v22
	v_add_nc_u32_e32 v45, 0x1fd5c5a3, v22
	v_cmp_eq_u32_e32 vcc_lo, 0, v20
	s_mov_b32 s3, exec_lo
	v_add_nc_u32_e32 v40, 0xbb67ae85, v22
	v_dual_cndmask_b32 v23, 0, v11 :: v_dual_add_nc_u32 v42, 0x76cf5d0a, v22
	v_mad_u64_u32 v[11:12], null, 0xd2511f53, v18, 0
	v_mad_u64_u32 v[17:18], null, 0xd2511f53, v3, 0
	s_delay_alu instid0(VALU_DEP_3) | instskip(NEXT) | instid1(VALU_DEP_3)
	v_add_nc_u32_e32 v27, v23, v1
	v_xor_b32_e32 v12, v12, v22
	s_delay_alu instid0(VALU_DEP_2) | instskip(SKIP_1) | instid1(VALU_DEP_1)
	v_cmp_eq_u32_e32 vcc_lo, 0, v27
	v_cndmask_b32_e32 v23, 0, v23, vcc_lo
	v_xor_b32_e32 v3, v23, v12
	v_mad_u64_u32 v[23:24], null, 0xd2511f53, v25, 0
	v_mad_u64_u32 v[25:26], null, 0xcd9e8d57, v27, 0
	s_delay_alu instid0(VALU_DEP_3) | instskip(SKIP_1) | instid1(VALU_DEP_4)
	v_mad_u64_u32 v[27:28], null, 0xcd9e8d57, v3, 0
	v_xor_b32_e32 v3, v18, v22
	v_xor3_b32 v12, v40, v24, v17
	s_delay_alu instid0(VALU_DEP_2) | instskip(SKIP_2) | instid1(VALU_DEP_4)
	v_mad_u64_u32 v[17:18], null, 0xcd9e8d57, v3, 0
	v_xor3_b32 v3, v26, v21, v20
	v_xor3_b32 v20, v39, v28, v25
	v_mad_u64_u32 v[24:25], null, 0xcd9e8d57, v12, 0
	s_delay_alu instid0(VALU_DEP_3) | instskip(NEXT) | instid1(VALU_DEP_3)
	v_mad_u64_u32 v[28:29], null, 0xd2511f53, v3, 0
	v_mad_u64_u32 v[30:31], null, 0xd2511f53, v20, 0
	v_xor3_b32 v3, v2, v18, v39
	s_delay_alu instid0(VALU_DEP_4) | instskip(SKIP_1) | instid1(VALU_DEP_3)
	v_xor3_b32 v25, v41, v25, v17
	v_add_nc_u32_e32 v20, 0xdaa66d2b, v21
	v_mad_u64_u32 v[17:18], null, 0xd2511f53, v3, 0
	v_xor3_b32 v3, v40, v29, v11
	v_xor3_b32 v31, v42, v31, v28
	v_mad_u64_u32 v[11:12], null, 0xd2511f53, v25, 0
	s_delay_alu instid0(VALU_DEP_3) | instskip(NEXT) | instid1(VALU_DEP_3)
	v_mad_u64_u32 v[25:26], null, 0xcd9e8d57, v3, 0
	v_mad_u64_u32 v[28:29], null, 0xcd9e8d57, v31, 0
	v_xor3_b32 v3, v42, v18, v23
	s_delay_alu instid0(VALU_DEP_4) | instskip(SKIP_1) | instid1(VALU_DEP_3)
	v_xor3_b32 v12, v43, v12, v17
	v_add_nc_u32_e32 v31, 0x78dde6e4, v21
	v_mad_u64_u32 v[17:18], null, 0xcd9e8d57, v3, 0
	v_xor3_b32 v3, v41, v26, v27
	v_xor3_b32 v23, v20, v29, v25
	v_mad_u64_u32 v[25:26], null, 0xcd9e8d57, v12, 0
	v_add_nc_u32_e32 v27, 0xa9066899, v22
	s_delay_alu instid0(VALU_DEP_4) | instskip(NEXT) | instid1(VALU_DEP_4)
	v_mad_u64_u32 v[39:40], null, 0xd2511f53, v3, 0
	v_mad_u64_u32 v[41:42], null, 0xd2511f53, v23, 0
	v_xor3_b32 v3, v20, v18, v24
	v_xor3_b32 v12, v31, v26, v17
	v_add_nc_u32_e32 v20, 0x1715609d, v21
	s_delay_alu instid0(VALU_DEP_3) | instskip(SKIP_4) | instid1(VALU_DEP_4)
	v_mad_u64_u32 v[17:18], null, 0xd2511f53, v3, 0
	v_xor3_b32 v3, v43, v40, v30
	v_xor3_b32 v26, v44, v42, v39
	v_mad_u64_u32 v[29:30], null, 0xd2511f53, v12, 0
	v_add_nc_u32_e32 v40, 0xb54cda56, v21
	v_mad_u64_u32 v[23:24], null, 0xcd9e8d57, v3, 0
	s_delay_alu instid0(VALU_DEP_4) | instskip(SKIP_3) | instid1(VALU_DEP_3)
	v_mad_u64_u32 v[42:43], null, 0xcd9e8d57, v26, 0
	v_xor3_b32 v3, v44, v18, v11
	v_xor3_b32 v26, v27, v30, v17
	v_add_nc_u32_e32 v39, 0x646e171e, v22
	v_mad_u64_u32 v[11:12], null, 0xcd9e8d57, v3, 0
	v_xor3_b32 v3, v31, v24, v28
	v_xor3_b32 v28, v20, v43, v23
	v_mad_u64_u32 v[17:18], null, 0xcd9e8d57, v26, 0
	s_delay_alu instid0(VALU_DEP_3) | instskip(NEXT) | instid1(VALU_DEP_3)
	v_mad_u64_u32 v[23:24], null, 0xd2511f53, v3, 0
	v_mad_u64_u32 v[43:44], null, 0xd2511f53, v28, 0
	v_xor3_b32 v3, v20, v12, v25
	s_delay_alu instid0(VALU_DEP_4) | instskip(SKIP_1) | instid1(VALU_DEP_3)
	v_xor3_b32 v18, v40, v18, v11
	v_add_nc_u32_e32 v20, 0x5384540f, v21
	v_mad_u64_u32 v[11:12], null, 0xd2511f53, v3, 0
	v_xor3_b32 v3, v27, v24, v41
	v_xor3_b32 v25, v39, v44, v23
	v_mad_u64_u32 v[23:24], null, 0xd2511f53, v18, 0
	s_delay_alu instid0(VALU_DEP_3) | instskip(NEXT) | instid1(VALU_DEP_3)
	v_mad_u64_u32 v[30:31], null, 0xcd9e8d57, v3, 0
	v_mad_u64_u32 v[26:27], null, 0xcd9e8d57, v25, 0
	v_xor3_b32 v3, v39, v12, v29
	s_delay_alu instid0(VALU_DEP_4) | instskip(SKIP_1) | instid1(VALU_DEP_3)
	v_xor3_b32 v18, v45, v24, v11
	v_add_co_u32 v39, null, 0xf1bbcdc8, v21
	v_mad_u64_u32 v[11:12], null, 0xcd9e8d57, v3, 0
	v_xor3_b32 v3, v40, v31, v42
	v_xor3_b32 v27, v20, v27, v30
	v_mad_u64_u32 v[24:25], null, 0xcd9e8d57, v18, 0
	v_add_nc_u32_e32 v40, 0xdb3d7428, v22
	s_delay_alu instid0(VALU_DEP_4) | instskip(NEXT) | instid1(VALU_DEP_4)
	v_mad_u64_u32 v[41:42], null, 0xd2511f53, v3, 0
	v_mad_u64_u32 v[29:30], null, 0xd2511f53, v27, 0
	v_xor3_b32 v3, v20, v12, v17
	v_xor3_b32 v17, v39, v25, v11
	v_add_nc_u32_e32 v25, 0x96a522ad, v22
	v_add_nc_u32_e32 v22, 0x8ff34781, v21
	v_and_b32_e32 v21, 3, v19
	v_mad_u64_u32 v[27:28], null, 0xd2511f53, v3, 0
	v_xor3_b32 v3, v45, v42, v43
	v_xor3_b32 v20, v40, v30, v41
	v_mad_u64_u32 v[11:12], null, 0xd2511f53, v17, 0
	s_delay_alu instid0(VALU_DEP_3) | instskip(NEXT) | instid1(VALU_DEP_3)
	v_mad_u64_u32 v[30:31], null, 0xcd9e8d57, v3, 0
	v_mad_u64_u32 v[17:18], null, 0xcd9e8d57, v20, 0
                                        ; implicit-def: $vgpr3
	s_delay_alu instid0(VALU_DEP_3) | instskip(NEXT) | instid1(VALU_DEP_2)
	v_xor3_b32 v12, v12, v27, v25
	v_xor3_b32 v20, v18, v30, v22
	v_cmpx_lt_i32_e32 1, v21
	s_xor_b32 s3, exec_lo, s3
	s_cbranch_execz .LBB3_19
; %bb.14:                               ;   in Loop: Header=BB3_3 Depth=1
	s_mov_b32 s33, exec_lo
                                        ; implicit-def: $vgpr3
	v_cmpx_lt_i32_e32 2, v21
	s_xor_b32 s33, exec_lo, s33
; %bb.15:                               ;   in Loop: Header=BB3_3 Depth=1
	v_xor3_b32 v3, v39, v31, v26
                                        ; implicit-def: $vgpr12
	s_delay_alu instid0(VALU_DEP_1) | instskip(NEXT) | instid1(VALU_DEP_1)
	v_mul_hi_u32 v3, 0xd2511f53, v3
	v_xor3_b32 v3, v3, v29, v25
; %bb.16:                               ;   in Loop: Header=BB3_3 Depth=1
	s_and_not1_saveexec_b32 s33, s33
; %bb.17:                               ;   in Loop: Header=BB3_3 Depth=1
	v_mov_b32_e32 v3, v17
	v_dual_mov_b32 v17, v20 :: v_dual_mov_b32 v20, v11
	v_mov_b32_e32 v11, v12
; %bb.18:                               ;   in Loop: Header=BB3_3 Depth=1
	s_or_b32 exec_lo, exec_lo, s33
                                        ; implicit-def: $vgpr23_vgpr24
                                        ; implicit-def: $vgpr21
                                        ; implicit-def: $vgpr12
                                        ; implicit-def: $vgpr40
                                        ; implicit-def: $vgpr27_vgpr28
                                        ; implicit-def: $vgpr22
                                        ; implicit-def: $vgpr24_vgpr25
.LBB3_19:                               ;   in Loop: Header=BB3_3 Depth=1
	s_and_not1_saveexec_b32 s3, s3
	s_cbranch_execz .LBB3_23
; %bb.20:                               ;   in Loop: Header=BB3_3 Depth=1
	v_xor3_b32 v3, v40, v28, v23
	v_cmp_eq_u32_e32 vcc_lo, 1, v21
	v_mov_b32_e32 v17, v12
	s_delay_alu instid0(VALU_DEP_3) | instskip(SKIP_1) | instid1(VALU_DEP_2)
	v_mad_u64_u32 v[18:19], null, 0xcd9e8d57, v3, 0
	v_mov_b32_e32 v3, v11
	v_xor3_b32 v21, v19, v24, v22
	s_delay_alu instid0(VALU_DEP_3)
	v_mov_b32_e32 v19, v18
	s_and_saveexec_b32 s33, vcc_lo
; %bb.21:                               ;   in Loop: Header=BB3_3 Depth=1
	v_mov_b32_e32 v3, v20
	v_mov_b32_e32 v17, v11
	;; [unrolled: 1-line block ×4, first 2 shown]
; %bb.22:                               ;   in Loop: Header=BB3_3 Depth=1
	s_or_b32 exec_lo, exec_lo, s33
	s_delay_alu instid0(VALU_DEP_1)
	v_dual_mov_b32 v11, v21 :: v_dual_mov_b32 v20, v19
.LBB3_23:                               ;   in Loop: Header=BB3_3 Depth=1
	s_or_b32 exec_lo, exec_lo, s3
	v_min_i32_e32 v18, 4, v33
	s_mov_b32 s33, 0
	s_mov_b32 s39, 0
	s_mov_b32 s36, exec_lo
                                        ; implicit-def: $sgpr3
                                        ; implicit-def: $sgpr34
                                        ; implicit-def: $sgpr35
	s_delay_alu instid0(VALU_DEP_1)
	v_cmpx_lt_i32_e32 2, v18
	s_xor_b32 s36, exec_lo, s36
	s_cbranch_execz .LBB3_33
; %bb.24:                               ;   in Loop: Header=BB3_3 Depth=1
	s_mov_b32 s38, -1
	s_mov_b32 s35, exec_lo
                                        ; implicit-def: $sgpr34
                                        ; implicit-def: $sgpr3
	v_cmpx_lt_i32_e32 3, v18
	s_cbranch_execz .LBB3_28
; %bb.25:                               ;   in Loop: Header=BB3_3 Depth=1
	v_cmp_le_f64_e32 vcc_lo, 0, v[15:16]
	v_cmp_ge_f64_e64 s3, 1.0, v[15:16]
	s_mov_b32 s34, 0
	s_mov_b32 s37, 0
	s_delay_alu instid0(VALU_DEP_1) | instskip(NEXT) | instid1(SALU_CYCLE_1)
	s_and_b32 s38, vcc_lo, s3
	s_and_saveexec_b32 s3, s38
	s_cbranch_execz .LBB3_27
; %bb.26:                               ;   in Loop: Header=BB3_3 Depth=1
	v_cvt_f32_u32_e32 v3, v3
	v_lshlrev_b64 v[12:13], 3, v[13:14]
	s_mov_b32 s37, exec_lo
	s_delay_alu instid0(VALU_DEP_2) | instskip(NEXT) | instid1(VALU_DEP_2)
	v_dual_mov_b32 v14, v4 :: v_dual_fmaak_f32 v3, 0x2f800000, v3, 0x2f800000
	v_add_co_u32 v12, vcc_lo, s12, v12
	s_delay_alu instid0(VALU_DEP_3) | instskip(NEXT) | instid1(VALU_DEP_3)
	v_add_co_ci_u32_e32 v13, vcc_lo, s13, v13, vcc_lo
	v_cvt_f64_f32_e32 v[21:22], v3
	s_delay_alu instid0(VALU_DEP_1)
	v_cmp_ge_f64_e32 vcc_lo, v[15:16], v[21:22]
	v_cndmask_b32_e64 v15, 0, 0x3ff00000, vcc_lo
	global_store_b64 v[12:13], v[14:15], off
.LBB3_27:                               ;   in Loop: Header=BB3_3 Depth=1
	s_or_b32 exec_lo, exec_lo, s3
	s_mov_b32 s3, -1
	s_or_not1_b32 s38, s37, exec_lo
.LBB3_28:                               ;   in Loop: Header=BB3_3 Depth=1
	s_or_b32 exec_lo, exec_lo, s35
	s_mov_b32 s37, 0
	s_mov_b32 s39, s34
	s_and_saveexec_b32 s35, s38
	s_cbranch_execz .LBB3_32
; %bb.29:                               ;   in Loop: Header=BB3_3 Depth=1
	v_add_nc_u32_e32 v3, s25, v35
	s_delay_alu instid0(VALU_DEP_1) | instskip(NEXT) | instid1(VALU_DEP_1)
	v_cndmask_b32_e64 v3, 0, v3, s2
	v_lshlrev_b64 v[12:13], 3, v[3:4]
	s_delay_alu instid0(VALU_DEP_1) | instskip(NEXT) | instid1(VALU_DEP_2)
	v_add_co_u32 v12, vcc_lo, s10, v12
	v_add_co_ci_u32_e32 v13, vcc_lo, s11, v13, vcc_lo
	global_load_b64 v[12:13], v[12:13], off
	s_waitcnt vmcnt(0)
	v_cmp_le_f64_e32 vcc_lo, 0, v[12:13]
	v_cmp_ge_f64_e64 s2, 1.0, v[12:13]
	s_delay_alu instid0(VALU_DEP_1) | instskip(NEXT) | instid1(SALU_CYCLE_1)
	s_and_b32 s2, vcc_lo, s2
	s_and_saveexec_b32 s38, s2
	s_delay_alu instid0(SALU_CYCLE_1)
	s_xor_b32 s2, exec_lo, s38
	s_cbranch_execz .LBB3_31
; %bb.30:                               ;   in Loop: Header=BB3_3 Depth=1
	v_cvt_f32_u32_e32 v3, v17
	v_lshlrev_b64 v[9:10], 3, v[9:10]
	s_mov_b32 s37, exec_lo
	s_delay_alu instid0(VALU_DEP_2) | instskip(NEXT) | instid1(VALU_DEP_2)
	v_fmaak_f32 v3, 0x2f800000, v3, 0x2f800000
	v_add_co_u32 v9, vcc_lo, s12, v9
	s_delay_alu instid0(VALU_DEP_3) | instskip(NEXT) | instid1(VALU_DEP_3)
	v_add_co_ci_u32_e32 v10, vcc_lo, s13, v10, vcc_lo
	v_cvt_f64_f32_e32 v[14:15], v3
	s_delay_alu instid0(VALU_DEP_1)
	v_cmp_ge_f64_e32 vcc_lo, v[12:13], v[14:15]
	v_mov_b32_e32 v12, v4
	v_cndmask_b32_e64 v13, 0, 0x3ff00000, vcc_lo
	global_store_b64 v[9:10], v[12:13], off
.LBB3_31:                               ;   in Loop: Header=BB3_3 Depth=1
	s_or_b32 exec_lo, exec_lo, s2
	s_delay_alu instid0(SALU_CYCLE_1)
	s_and_not1_b32 s39, s34, exec_lo
	s_or_b32 s34, s34, exec_lo
	s_and_not1_b32 s3, s3, exec_lo
	s_and_b32 s37, s37, exec_lo
.LBB3_32:                               ;   in Loop: Header=BB3_3 Depth=1
	s_or_b32 exec_lo, exec_lo, s35
	s_delay_alu instid0(SALU_CYCLE_1)
	s_and_b32 s35, s39, exec_lo
	s_and_b32 s34, s34, exec_lo
	;; [unrolled: 1-line block ×4, first 2 shown]
.LBB3_33:                               ;   in Loop: Header=BB3_3 Depth=1
	s_and_not1_saveexec_b32 s2, s36
; %bb.34:                               ;   in Loop: Header=BB3_3 Depth=1
	v_cmp_lt_i32_e32 vcc_lo, 1, v18
	s_and_not1_b32 s36, s39, exec_lo
	s_mov_b32 s33, exec_lo
	s_and_not1_b32 s35, s35, exec_lo
	s_and_not1_b32 s34, s34, exec_lo
	s_and_b32 s37, vcc_lo, exec_lo
	s_and_not1_b32 s3, s3, exec_lo
	s_or_b32 s39, s36, s37
; %bb.35:                               ;   in Loop: Header=BB3_3 Depth=1
	s_or_b32 exec_lo, exec_lo, s2
	s_mov_b32 s2, 0
	s_mov_b32 s37, 0
	;; [unrolled: 1-line block ×3, first 2 shown]
	s_and_saveexec_b32 s38, s39
	s_cbranch_execnz .LBB3_38
; %bb.36:                               ;   in Loop: Header=BB3_3 Depth=1
	s_or_b32 exec_lo, exec_lo, s38
	s_and_saveexec_b32 s1, s33
	s_cbranch_execnz .LBB3_41
.LBB3_37:                               ;   in Loop: Header=BB3_3 Depth=1
	s_or_b32 exec_lo, exec_lo, s1
	s_and_saveexec_b32 s1, s37
	s_cbranch_execnz .LBB3_42
	s_branch .LBB3_45
.LBB3_38:                               ;   in Loop: Header=BB3_3 Depth=1
	v_add_nc_u32_e32 v3, s25, v37
	s_delay_alu instid0(VALU_DEP_1) | instskip(NEXT) | instid1(VALU_DEP_1)
	v_cndmask_b32_e64 v3, 0, v3, s1
	v_lshlrev_b64 v[9:10], 3, v[3:4]
	s_delay_alu instid0(VALU_DEP_1) | instskip(NEXT) | instid1(VALU_DEP_2)
	v_add_co_u32 v9, vcc_lo, s10, v9
	v_add_co_ci_u32_e32 v10, vcc_lo, s11, v10, vcc_lo
	global_load_b64 v[9:10], v[9:10], off
	s_waitcnt vmcnt(0)
	v_cmp_le_f64_e32 vcc_lo, 0, v[9:10]
	v_cmp_ge_f64_e64 s1, 1.0, v[9:10]
	s_delay_alu instid0(VALU_DEP_1) | instskip(NEXT) | instid1(SALU_CYCLE_1)
	s_and_b32 s1, vcc_lo, s1
	s_and_saveexec_b32 s36, s1
	s_delay_alu instid0(SALU_CYCLE_1)
	s_xor_b32 s1, exec_lo, s36
	s_cbranch_execz .LBB3_40
; %bb.39:                               ;   in Loop: Header=BB3_3 Depth=1
	v_cvt_f32_u32_e32 v3, v20
	v_lshlrev_b64 v[7:8], 3, v[7:8]
	s_mov_b32 s37, exec_lo
	s_delay_alu instid0(VALU_DEP_2) | instskip(NEXT) | instid1(VALU_DEP_2)
	v_fmaak_f32 v3, 0x2f800000, v3, 0x2f800000
	v_add_co_u32 v7, vcc_lo, s12, v7
	s_delay_alu instid0(VALU_DEP_3) | instskip(NEXT) | instid1(VALU_DEP_3)
	v_add_co_ci_u32_e32 v8, vcc_lo, s13, v8, vcc_lo
	v_cvt_f64_f32_e32 v[12:13], v3
	s_delay_alu instid0(VALU_DEP_1)
	v_cmp_ge_f64_e32 vcc_lo, v[9:10], v[12:13]
	v_mov_b32_e32 v9, v4
	v_cndmask_b32_e64 v10, 0, 0x3ff00000, vcc_lo
	global_store_b64 v[7:8], v[9:10], off
.LBB3_40:                               ;   in Loop: Header=BB3_3 Depth=1
	s_or_b32 exec_lo, exec_lo, s1
	s_delay_alu instid0(SALU_CYCLE_1)
	s_and_not1_b32 s36, s35, exec_lo
	s_or_b32 s35, s35, exec_lo
	s_and_not1_b32 s34, s34, exec_lo
	s_and_not1_b32 s3, s3, exec_lo
	s_and_b32 s37, s37, exec_lo
	s_and_not1_b32 s33, s33, exec_lo
	s_or_b32 exec_lo, exec_lo, s38
	s_and_saveexec_b32 s1, s33
	s_cbranch_execz .LBB3_37
.LBB3_41:                               ;   in Loop: Header=BB3_3 Depth=1
	v_cmp_eq_u32_e32 vcc_lo, 1, v18
	s_and_not1_b32 s33, s37, exec_lo
	s_mov_b32 s2, exec_lo
	s_and_not1_b32 s36, s36, exec_lo
	s_and_not1_b32 s35, s35, exec_lo
	s_and_b32 s37, vcc_lo, exec_lo
	s_and_not1_b32 s34, s34, exec_lo
	s_and_not1_b32 s3, s3, exec_lo
	s_or_b32 s37, s33, s37
	s_or_b32 exec_lo, exec_lo, s1
	s_and_saveexec_b32 s1, s37
	s_cbranch_execz .LBB3_45
.LBB3_42:                               ;   in Loop: Header=BB3_3 Depth=1
	v_add_nc_u32_e32 v3, s25, v32
	s_mov_b32 s33, 0
	s_delay_alu instid0(VALU_DEP_1) | instskip(NEXT) | instid1(VALU_DEP_1)
	v_cndmask_b32_e64 v3, 0, v3, s0
	v_lshlrev_b64 v[7:8], 3, v[3:4]
	s_delay_alu instid0(VALU_DEP_1) | instskip(NEXT) | instid1(VALU_DEP_2)
	v_add_co_u32 v7, vcc_lo, s10, v7
	v_add_co_ci_u32_e32 v8, vcc_lo, s11, v8, vcc_lo
	global_load_b64 v[7:8], v[7:8], off
	s_waitcnt vmcnt(0)
	v_cmp_le_f64_e32 vcc_lo, 0, v[7:8]
	v_cmp_ge_f64_e64 s0, 1.0, v[7:8]
	s_delay_alu instid0(VALU_DEP_1) | instskip(NEXT) | instid1(SALU_CYCLE_1)
	s_and_b32 s37, vcc_lo, s0
	s_and_saveexec_b32 s0, s37
	s_cbranch_execz .LBB3_44
; %bb.43:                               ;   in Loop: Header=BB3_3 Depth=1
	v_cvt_f32_u32_e32 v3, v11
	v_lshlrev_b64 v[5:6], 3, v[5:6]
	s_mov_b32 s33, exec_lo
	s_delay_alu instid0(VALU_DEP_2) | instskip(NEXT) | instid1(VALU_DEP_2)
	v_fmaak_f32 v3, 0x2f800000, v3, 0x2f800000
	v_add_co_u32 v5, vcc_lo, s12, v5
	s_delay_alu instid0(VALU_DEP_3) | instskip(NEXT) | instid1(VALU_DEP_3)
	v_add_co_ci_u32_e32 v6, vcc_lo, s13, v6, vcc_lo
	v_cvt_f64_f32_e32 v[9:10], v3
	s_delay_alu instid0(VALU_DEP_1)
	v_cmp_ge_f64_e32 vcc_lo, v[7:8], v[9:10]
	v_mov_b32_e32 v7, v4
	v_cndmask_b32_e64 v8, 0, 0x3ff00000, vcc_lo
	global_store_b64 v[5:6], v[7:8], off
.LBB3_44:                               ;   in Loop: Header=BB3_3 Depth=1
	s_or_b32 exec_lo, exec_lo, s0
	s_delay_alu instid0(SALU_CYCLE_1)
	s_and_not1_b32 s0, s2, exec_lo
	s_and_b32 s2, s33, exec_lo
	s_or_b32 s36, s36, exec_lo
	s_and_not1_b32 s35, s35, exec_lo
	s_and_not1_b32 s34, s34, exec_lo
	;; [unrolled: 1-line block ×3, first 2 shown]
	s_or_b32 s2, s0, s2
.LBB3_45:                               ;   in Loop: Header=BB3_3 Depth=1
	s_or_b32 exec_lo, exec_lo, s1
	s_delay_alu instid0(SALU_CYCLE_1)
	s_and_not1_b32 s1, s31, exec_lo
	s_and_b32 s31, s36, exec_lo
	s_and_not1_b32 s29, s29, exec_lo
	s_and_b32 s33, s35, exec_lo
	s_or_b32 s31, s1, s31
	s_and_not1_b32 s1, s30, exec_lo
	s_and_b32 s30, s34, exec_lo
	s_and_not1_b32 s28, s28, exec_lo
	s_and_b32 s3, s3, exec_lo
	s_mov_b32 s0, -1
	s_or_b32 s29, s29, s33
	s_or_b32 s30, s1, s30
	;; [unrolled: 1-line block ×3, first 2 shown]
	s_and_saveexec_b32 s1, s2
	s_cbranch_execz .LBB3_2
; %bb.46:                               ;   in Loop: Header=BB3_3 Depth=1
	v_add_nc_u32_e32 v0, s21, v0
	v_subrev_nc_u32_e32 v33, s21, v33
	s_add_i32 s25, s25, s23
	s_and_not1_b32 s31, s31, exec_lo
	s_and_not1_b32 s29, s29, exec_lo
	v_cmp_le_u32_e32 vcc_lo, s16, v0
	s_and_not1_b32 s30, s30, exec_lo
	s_and_not1_b32 s28, s28, exec_lo
	s_or_not1_b32 s0, vcc_lo, exec_lo
	s_branch .LBB3_2
.LBB3_47:
	s_or_b32 exec_lo, exec_lo, s22
	s_xor_b32 s3, s26, -1
	s_xor_b32 s4, s27, -1
	;; [unrolled: 1-line block ×3, first 2 shown]
	s_mov_b32 s1, 0
	s_and_saveexec_b32 s2, s0
	s_delay_alu instid0(SALU_CYCLE_1)
	s_xor_b32 s0, exec_lo, s2
	s_cbranch_execz .LBB3_56
; %bb.48:
	s_mov_b32 s2, 0
	s_and_saveexec_b32 s1, s4
	s_delay_alu instid0(SALU_CYCLE_1)
	s_xor_b32 s1, exec_lo, s1
	s_cbranch_execz .LBB3_54
; %bb.49:
	s_and_saveexec_b32 s4, s3
	s_delay_alu instid0(SALU_CYCLE_1)
	s_xor_b32 s3, exec_lo, s4
	s_cbranch_execz .LBB3_52
; %bb.50:
	s_and_saveexec_b32 s4, s20
	s_delay_alu instid0(SALU_CYCLE_1)
	s_xor_b32 s4, exec_lo, s4
	s_cbranch_execnz .LBB3_70
.LBB3_51:
	s_or_b32 exec_lo, exec_lo, s4
	s_delay_alu instid0(SALU_CYCLE_1)
	s_and_b32 s2, s2, exec_lo
.LBB3_52:
	s_and_not1_saveexec_b32 s3, s3
	s_cbranch_execnz .LBB3_66
.LBB3_53:
	s_or_b32 exec_lo, exec_lo, s3
	s_delay_alu instid0(SALU_CYCLE_1)
	s_and_b32 s2, s2, exec_lo
.LBB3_54:
	s_and_not1_saveexec_b32 s1, s1
	s_cbranch_execnz .LBB3_62
.LBB3_55:
	s_or_b32 exec_lo, exec_lo, s1
	s_delay_alu instid0(SALU_CYCLE_1)
	s_and_b32 s1, s2, exec_lo
.LBB3_56:
	s_and_not1_saveexec_b32 s0, s0
	s_cbranch_execnz .LBB3_60
; %bb.57:
	s_or_b32 exec_lo, exec_lo, s0
	s_delay_alu instid0(SALU_CYCLE_1)
	s_and_b32 exec_lo, exec_lo, s1
.LBB3_58:
	; divergent unreachable
.LBB3_59:
	s_nop 0
	s_sendmsg sendmsg(MSG_DEALLOC_VGPRS)
	s_endpgm
.LBB3_60:
	s_cbranch_execnz .LBB3_64
; %bb.61:
	s_or_b32 s1, s1, exec_lo
	s_or_b32 exec_lo, exec_lo, s0
	s_delay_alu instid0(SALU_CYCLE_1)
	s_and_b32 exec_lo, exec_lo, s1
	s_cbranch_execnz .LBB3_58
	s_branch .LBB3_59
.LBB3_62:
	s_cbranch_execnz .LBB3_68
; %bb.63:
	s_or_b32 s2, s2, exec_lo
	s_branch .LBB3_55
.LBB3_64:
	s_trap 2
	s_sendmsg_rtn_b32 s0, sendmsg(MSG_RTN_GET_DOORBELL)
	s_mov_b32 ttmp2, m0
	s_waitcnt lgkmcnt(0)
	s_and_b32 s0, s0, 0x3ff
	s_delay_alu instid0(SALU_CYCLE_1) | instskip(NEXT) | instid1(SALU_CYCLE_1)
	s_bitset1_b32 s0, 10
	s_mov_b32 m0, s0
	s_sendmsg sendmsg(MSG_INTERRUPT)
	s_mov_b32 m0, ttmp2
.LBB3_65:                               ; =>This Inner Loop Header: Depth=1
	s_sethalt 5
	s_branch .LBB3_65
.LBB3_66:
	s_cbranch_execnz .LBB3_72
; %bb.67:
	s_or_b32 s2, s2, exec_lo
	s_branch .LBB3_53
.LBB3_68:
	s_trap 2
	s_sendmsg_rtn_b32 s0, sendmsg(MSG_RTN_GET_DOORBELL)
	s_mov_b32 ttmp2, m0
	s_waitcnt lgkmcnt(0)
	s_and_b32 s0, s0, 0x3ff
	s_delay_alu instid0(SALU_CYCLE_1) | instskip(NEXT) | instid1(SALU_CYCLE_1)
	s_bitset1_b32 s0, 10
	s_mov_b32 m0, s0
	s_sendmsg sendmsg(MSG_INTERRUPT)
	s_mov_b32 m0, ttmp2
.LBB3_69:                               ; =>This Inner Loop Header: Depth=1
	s_sethalt 5
	s_branch .LBB3_69
.LBB3_70:
	s_cbranch_execnz .LBB3_74
; %bb.71:
	s_mov_b32 s2, exec_lo
	s_branch .LBB3_51
.LBB3_72:
	s_trap 2
	s_sendmsg_rtn_b32 s0, sendmsg(MSG_RTN_GET_DOORBELL)
	s_mov_b32 ttmp2, m0
	s_waitcnt lgkmcnt(0)
	s_and_b32 s0, s0, 0x3ff
	s_delay_alu instid0(SALU_CYCLE_1) | instskip(NEXT) | instid1(SALU_CYCLE_1)
	s_bitset1_b32 s0, 10
	s_mov_b32 m0, s0
	s_sendmsg sendmsg(MSG_INTERRUPT)
	s_mov_b32 m0, ttmp2
.LBB3_73:                               ; =>This Inner Loop Header: Depth=1
	s_sethalt 5
	s_branch .LBB3_73
.LBB3_74:
	s_trap 2
	s_sendmsg_rtn_b32 s0, sendmsg(MSG_RTN_GET_DOORBELL)
	s_mov_b32 ttmp2, m0
	s_waitcnt lgkmcnt(0)
	s_and_b32 s0, s0, 0x3ff
	s_delay_alu instid0(SALU_CYCLE_1) | instskip(NEXT) | instid1(SALU_CYCLE_1)
	s_bitset1_b32 s0, 10
	s_mov_b32 m0, s0
	s_sendmsg sendmsg(MSG_INTERRUPT)
	s_mov_b32 m0, ttmp2
.LBB3_75:                               ; =>This Inner Loop Header: Depth=1
	s_sethalt 5
	s_branch .LBB3_75
	.section	.rodata,"a",@progbits
	.p2align	6, 0x0
	.amdhsa_kernel _ZN2at4cuda12_GLOBAL__N_121kernelPointwiseApply2IZNS_6native9templates4cuda28bernoulli_tensor_cuda_kernelIddEEvRKNS_10TensorBaseES9_NS_15PhiloxCudaStateEEUliRdSB_SB_SB_RKdSD_SD_SD_E_dSC_jLi2ELi1ELi4ELi512ELi2EEEvNS0_6detail10TensorInfoIT0_T2_EENSG_IT1_SI_EESI_T_
		.amdhsa_group_segment_fixed_size 0
		.amdhsa_private_segment_fixed_size 0
		.amdhsa_kernarg_size 728
		.amdhsa_user_sgpr_count 15
		.amdhsa_user_sgpr_dispatch_ptr 0
		.amdhsa_user_sgpr_queue_ptr 0
		.amdhsa_user_sgpr_kernarg_segment_ptr 1
		.amdhsa_user_sgpr_dispatch_id 0
		.amdhsa_user_sgpr_private_segment_size 0
		.amdhsa_wavefront_size32 1
		.amdhsa_uses_dynamic_stack 0
		.amdhsa_enable_private_segment 0
		.amdhsa_system_sgpr_workgroup_id_x 1
		.amdhsa_system_sgpr_workgroup_id_y 0
		.amdhsa_system_sgpr_workgroup_id_z 0
		.amdhsa_system_sgpr_workgroup_info 0
		.amdhsa_system_vgpr_workitem_id 0
		.amdhsa_next_free_vgpr 46
		.amdhsa_next_free_sgpr 40
		.amdhsa_reserve_vcc 1
		.amdhsa_float_round_mode_32 0
		.amdhsa_float_round_mode_16_64 0
		.amdhsa_float_denorm_mode_32 3
		.amdhsa_float_denorm_mode_16_64 3
		.amdhsa_dx10_clamp 1
		.amdhsa_ieee_mode 1
		.amdhsa_fp16_overflow 0
		.amdhsa_workgroup_processor_mode 1
		.amdhsa_memory_ordered 1
		.amdhsa_forward_progress 0
		.amdhsa_shared_vgpr_count 0
		.amdhsa_exception_fp_ieee_invalid_op 0
		.amdhsa_exception_fp_denorm_src 0
		.amdhsa_exception_fp_ieee_div_zero 0
		.amdhsa_exception_fp_ieee_overflow 0
		.amdhsa_exception_fp_ieee_underflow 0
		.amdhsa_exception_fp_ieee_inexact 0
		.amdhsa_exception_int_div_zero 0
	.end_amdhsa_kernel
	.section	.text._ZN2at4cuda12_GLOBAL__N_121kernelPointwiseApply2IZNS_6native9templates4cuda28bernoulli_tensor_cuda_kernelIddEEvRKNS_10TensorBaseES9_NS_15PhiloxCudaStateEEUliRdSB_SB_SB_RKdSD_SD_SD_E_dSC_jLi2ELi1ELi4ELi512ELi2EEEvNS0_6detail10TensorInfoIT0_T2_EENSG_IT1_SI_EESI_T_,"axG",@progbits,_ZN2at4cuda12_GLOBAL__N_121kernelPointwiseApply2IZNS_6native9templates4cuda28bernoulli_tensor_cuda_kernelIddEEvRKNS_10TensorBaseES9_NS_15PhiloxCudaStateEEUliRdSB_SB_SB_RKdSD_SD_SD_E_dSC_jLi2ELi1ELi4ELi512ELi2EEEvNS0_6detail10TensorInfoIT0_T2_EENSG_IT1_SI_EESI_T_,comdat
.Lfunc_end3:
	.size	_ZN2at4cuda12_GLOBAL__N_121kernelPointwiseApply2IZNS_6native9templates4cuda28bernoulli_tensor_cuda_kernelIddEEvRKNS_10TensorBaseES9_NS_15PhiloxCudaStateEEUliRdSB_SB_SB_RKdSD_SD_SD_E_dSC_jLi2ELi1ELi4ELi512ELi2EEEvNS0_6detail10TensorInfoIT0_T2_EENSG_IT1_SI_EESI_T_, .Lfunc_end3-_ZN2at4cuda12_GLOBAL__N_121kernelPointwiseApply2IZNS_6native9templates4cuda28bernoulli_tensor_cuda_kernelIddEEvRKNS_10TensorBaseES9_NS_15PhiloxCudaStateEEUliRdSB_SB_SB_RKdSD_SD_SD_E_dSC_jLi2ELi1ELi4ELi512ELi2EEEvNS0_6detail10TensorInfoIT0_T2_EENSG_IT1_SI_EESI_T_
                                        ; -- End function
	.section	.AMDGPU.csdata,"",@progbits
; Kernel info:
; codeLenInByte = 3812
; NumSgprs: 42
; NumVgprs: 46
; ScratchSize: 0
; MemoryBound: 0
; FloatMode: 240
; IeeeMode: 1
; LDSByteSize: 0 bytes/workgroup (compile time only)
; SGPRBlocks: 5
; VGPRBlocks: 5
; NumSGPRsForWavesPerEU: 42
; NumVGPRsForWavesPerEU: 46
; Occupancy: 16
; WaveLimiterHint : 1
; COMPUTE_PGM_RSRC2:SCRATCH_EN: 0
; COMPUTE_PGM_RSRC2:USER_SGPR: 15
; COMPUTE_PGM_RSRC2:TRAP_HANDLER: 0
; COMPUTE_PGM_RSRC2:TGID_X_EN: 1
; COMPUTE_PGM_RSRC2:TGID_Y_EN: 0
; COMPUTE_PGM_RSRC2:TGID_Z_EN: 0
; COMPUTE_PGM_RSRC2:TIDIG_COMP_CNT: 0
	.section	.text._ZN2at4cuda12_GLOBAL__N_121kernelPointwiseApply2IZNS_6native9templates4cuda28bernoulli_tensor_cuda_kernelIddEEvRKNS_10TensorBaseES9_NS_15PhiloxCudaStateEEUliRdSB_SB_SB_RKdSD_SD_SD_E_dSC_jLi2ELi2ELi4ELi512ELi2EEEvNS0_6detail10TensorInfoIT0_T2_EENSG_IT1_SI_EESI_T_,"axG",@progbits,_ZN2at4cuda12_GLOBAL__N_121kernelPointwiseApply2IZNS_6native9templates4cuda28bernoulli_tensor_cuda_kernelIddEEvRKNS_10TensorBaseES9_NS_15PhiloxCudaStateEEUliRdSB_SB_SB_RKdSD_SD_SD_E_dSC_jLi2ELi2ELi4ELi512ELi2EEEvNS0_6detail10TensorInfoIT0_T2_EENSG_IT1_SI_EESI_T_,comdat
	.globl	_ZN2at4cuda12_GLOBAL__N_121kernelPointwiseApply2IZNS_6native9templates4cuda28bernoulli_tensor_cuda_kernelIddEEvRKNS_10TensorBaseES9_NS_15PhiloxCudaStateEEUliRdSB_SB_SB_RKdSD_SD_SD_E_dSC_jLi2ELi2ELi4ELi512ELi2EEEvNS0_6detail10TensorInfoIT0_T2_EENSG_IT1_SI_EESI_T_ ; -- Begin function _ZN2at4cuda12_GLOBAL__N_121kernelPointwiseApply2IZNS_6native9templates4cuda28bernoulli_tensor_cuda_kernelIddEEvRKNS_10TensorBaseES9_NS_15PhiloxCudaStateEEUliRdSB_SB_SB_RKdSD_SD_SD_E_dSC_jLi2ELi2ELi4ELi512ELi2EEEvNS0_6detail10TensorInfoIT0_T2_EENSG_IT1_SI_EESI_T_
	.p2align	8
	.type	_ZN2at4cuda12_GLOBAL__N_121kernelPointwiseApply2IZNS_6native9templates4cuda28bernoulli_tensor_cuda_kernelIddEEvRKNS_10TensorBaseES9_NS_15PhiloxCudaStateEEUliRdSB_SB_SB_RKdSD_SD_SD_E_dSC_jLi2ELi2ELi4ELi512ELi2EEEvNS0_6detail10TensorInfoIT0_T2_EENSG_IT1_SI_EESI_T_,@function
_ZN2at4cuda12_GLOBAL__N_121kernelPointwiseApply2IZNS_6native9templates4cuda28bernoulli_tensor_cuda_kernelIddEEvRKNS_10TensorBaseES9_NS_15PhiloxCudaStateEEUliRdSB_SB_SB_RKdSD_SD_SD_E_dSC_jLi2ELi2ELi4ELi512ELi2EEEvNS0_6detail10TensorInfoIT0_T2_EENSG_IT1_SI_EESI_T_: ; @_ZN2at4cuda12_GLOBAL__N_121kernelPointwiseApply2IZNS_6native9templates4cuda28bernoulli_tensor_cuda_kernelIddEEvRKNS_10TensorBaseES9_NS_15PhiloxCudaStateEEUliRdSB_SB_SB_RKdSD_SD_SD_E_dSC_jLi2ELi2ELi4ELi512ELi2EEEvNS0_6detail10TensorInfoIT0_T2_EENSG_IT1_SI_EESI_T_
; %bb.0:
	s_clause 0x1
	s_load_b32 s2, s[0:1], 0x1e4
	s_load_b32 s16, s[0:1], 0x1b0
	s_add_u32 s4, s0, 0x1d8
	s_addc_u32 s5, s1, 0
	s_waitcnt lgkmcnt(0)
	s_and_b32 s22, s2, 0xffff
	s_mov_b32 s2, exec_lo
	v_mad_u64_u32 v[1:2], null, s15, s22, v[0:1]
	s_delay_alu instid0(VALU_DEP_1) | instskip(NEXT) | instid1(VALU_DEP_1)
	v_lshlrev_b32_e32 v0, 2, v1
	v_cmpx_gt_u32_e64 s16, v0
	s_cbranch_execz .LBB4_67
; %bb.1:
	s_clause 0x6
	s_load_b32 s17, s[0:1], 0xc
	s_load_b32 s18, s[0:1], 0xe4
	s_load_b64 s[2:3], s[0:1], 0x6c
	s_load_b64 s[8:9], s[0:1], 0xd8
	s_load_b64 s[10:11], s[0:1], 0x144
	s_load_b32 s6, s[0:1], 0x1d0
	s_load_b64 s[12:13], s[0:1], 0x0
	s_load_b32 s23, s[4:5], 0x0
	v_sub_nc_u32_e32 v38, s16, v0
                                        ; implicit-def: $sgpr26
                                        ; implicit-def: $sgpr25
                                        ; implicit-def: $sgpr27
                                        ; implicit-def: $sgpr29
                                        ; implicit-def: $sgpr28
                                        ; implicit-def: $sgpr30
	s_waitcnt lgkmcnt(0)
	v_cvt_f32_u32_e32 v2, s17
	v_cvt_f32_u32_e32 v3, s18
	s_delay_alu instid0(VALU_DEP_2) | instskip(NEXT) | instid1(VALU_DEP_1)
	v_rcp_iflag_f32_e32 v2, v2
	v_rcp_iflag_f32_e32 v3, v3
	s_bitcmp1_b32 s6, 0
	s_clause 0x1
	s_load_b64 s[14:15], s[0:1], 0x1c8
	s_load_b128 s[4:7], s[0:1], 0x1b8
	s_cselect_b32 s19, -1, 0
	s_sub_i32 s20, 0, s17
	s_sub_i32 s21, 0, s18
	s_mul_i32 s23, s23, s22
	s_mov_b32 s22, 0
	s_lshl_b32 s24, s23, 2
	s_waitcnt_depctr 0xfff
	v_dual_mul_f32 v2, 0x4f7ffffe, v2 :: v_dual_mul_f32 v3, 0x4f7ffffe, v3
                                        ; implicit-def: $sgpr23
                                        ; implicit-def: $sgpr1
	s_delay_alu instid0(VALU_DEP_1) | instskip(NEXT) | instid1(VALU_DEP_2)
	v_cvt_u32_f32_e32 v5, v2
	v_cvt_u32_f32_e32 v6, v3
	v_mad_u64_u32 v[2:3], null, 0xcd9e8d57, v1, 0
	s_delay_alu instid0(VALU_DEP_3) | instskip(NEXT) | instid1(VALU_DEP_3)
	v_mul_lo_u32 v4, s20, v5
	v_mul_lo_u32 v7, s21, v6
	s_delay_alu instid0(VALU_DEP_3) | instskip(NEXT) | instid1(VALU_DEP_3)
	v_mov_b32_e32 v35, v3
	v_mul_hi_u32 v8, v5, v4
	s_delay_alu instid0(VALU_DEP_3) | instskip(SKIP_1) | instid1(VALU_DEP_3)
	v_mul_hi_u32 v7, v6, v7
	v_mov_b32_e32 v4, 0
	v_add_nc_u32_e32 v36, v5, v8
	s_delay_alu instid0(VALU_DEP_3)
	v_add_nc_u32_e32 v37, v6, v7
	s_branch .LBB4_3
.LBB4_2:                                ;   in Loop: Header=BB4_3 Depth=1
	s_or_b32 exec_lo, exec_lo, s31
	s_delay_alu instid0(SALU_CYCLE_1) | instskip(NEXT) | instid1(SALU_CYCLE_1)
	s_and_b32 s0, exec_lo, s0
	s_or_b32 s22, s0, s22
	s_and_not1_b32 s0, s1, exec_lo
	s_and_b32 s1, s30, exec_lo
	s_and_not1_b32 s25, s25, exec_lo
	s_and_b32 s31, s28, exec_lo
	s_or_b32 s1, s0, s1
	s_or_b32 s25, s25, s31
	s_and_not1_b32 s0, s26, exec_lo
	s_and_b32 s26, s29, exec_lo
	s_and_not1_b32 s23, s23, exec_lo
	s_and_b32 s31, s27, exec_lo
	s_or_b32 s26, s0, s26
	s_or_b32 s23, s23, s31
	s_and_not1_b32 exec_lo, exec_lo, s22
	s_cbranch_execz .LBB4_55
.LBB4_3:                                ; =>This Inner Loop Header: Depth=1
	v_cmp_lt_i32_e32 vcc_lo, 0, v38
	v_mov_b32_e32 v5, 0
	s_and_saveexec_b32 s31, vcc_lo
	s_cbranch_execz .LBB4_5
; %bb.4:                                ;   in Loop: Header=BB4_3 Depth=1
	v_mul_hi_u32 v3, v36, v0
	s_delay_alu instid0(VALU_DEP_1) | instskip(SKIP_2) | instid1(VALU_DEP_3)
	v_not_b32_e32 v8, v3
	v_mad_u64_u32 v[5:6], null, s20, v3, v[0:1]
	v_add_nc_u32_e32 v9, 1, v3
	v_mad_u64_u32 v[6:7], null, s17, v8, v[0:1]
	s_delay_alu instid0(VALU_DEP_3) | instskip(NEXT) | instid1(VALU_DEP_1)
	v_cmp_le_u32_e64 s0, s17, v5
	v_cndmask_b32_e64 v3, v3, v9, s0
	s_delay_alu instid0(VALU_DEP_3) | instskip(NEXT) | instid1(VALU_DEP_2)
	v_cndmask_b32_e64 v5, v5, v6, s0
	v_add_nc_u32_e32 v6, 1, v3
	s_delay_alu instid0(VALU_DEP_2) | instskip(NEXT) | instid1(VALU_DEP_1)
	v_cmp_le_u32_e64 s0, s17, v5
	v_cndmask_b32_e64 v7, v3, v6, s0
	s_delay_alu instid0(VALU_DEP_1) | instskip(NEXT) | instid1(VALU_DEP_1)
	v_mad_u64_u32 v[5:6], null, s20, v7, v[0:1]
	v_mul_lo_u32 v3, v5, s3
	s_delay_alu instid0(VALU_DEP_1)
	v_mad_u64_u32 v[5:6], null, v7, s2, v[3:4]
.LBB4_5:                                ;   in Loop: Header=BB4_3 Depth=1
	s_or_b32 exec_lo, exec_lo, s31
	v_mov_b32_e32 v3, 0
	s_and_saveexec_b32 s0, vcc_lo
	s_cbranch_execz .LBB4_7
; %bb.6:                                ;   in Loop: Header=BB4_3 Depth=1
	v_mul_hi_u32 v3, v37, v0
	s_delay_alu instid0(VALU_DEP_1) | instskip(SKIP_2) | instid1(VALU_DEP_3)
	v_not_b32_e32 v9, v3
	v_mad_u64_u32 v[6:7], null, s21, v3, v[0:1]
	v_add_nc_u32_e32 v10, 1, v3
	v_mad_u64_u32 v[7:8], null, s18, v9, v[0:1]
	s_delay_alu instid0(VALU_DEP_3) | instskip(NEXT) | instid1(VALU_DEP_2)
	v_cmp_le_u32_e32 vcc_lo, s18, v6
	v_dual_cndmask_b32 v3, v3, v10 :: v_dual_cndmask_b32 v6, v6, v7
	s_delay_alu instid0(VALU_DEP_1) | instskip(NEXT) | instid1(VALU_DEP_2)
	v_add_nc_u32_e32 v7, 1, v3
	v_cmp_le_u32_e32 vcc_lo, s18, v6
	s_delay_alu instid0(VALU_DEP_2) | instskip(NEXT) | instid1(VALU_DEP_1)
	v_cndmask_b32_e32 v8, v3, v7, vcc_lo
	v_mad_u64_u32 v[6:7], null, s21, v8, v[0:1]
	s_delay_alu instid0(VALU_DEP_1) | instskip(NEXT) | instid1(VALU_DEP_1)
	v_mul_lo_u32 v3, v6, s11
	v_mad_u64_u32 v[6:7], null, v8, s10, v[3:4]
	s_delay_alu instid0(VALU_DEP_1)
	v_mov_b32_e32 v3, v6
.LBB4_7:                                ;   in Loop: Header=BB4_3 Depth=1
	s_or_b32 exec_lo, exec_lo, s0
	v_mov_b32_e32 v8, 0
	v_dual_mov_b32 v9, 0 :: v_dual_add_nc_u32 v10, 1, v0
	v_cmp_lt_i32_e32 vcc_lo, 1, v38
	s_delay_alu instid0(VALU_DEP_2)
	v_dual_mov_b32 v6, v8 :: v_dual_mov_b32 v7, v9
	s_and_saveexec_b32 s31, vcc_lo
	s_cbranch_execz .LBB4_9
; %bb.8:                                ;   in Loop: Header=BB4_3 Depth=1
	v_mul_hi_u32 v6, v10, v36
	s_delay_alu instid0(VALU_DEP_1) | instskip(SKIP_1) | instid1(VALU_DEP_2)
	v_mul_lo_u32 v7, v6, s17
	v_add_nc_u32_e32 v11, 1, v6
	v_sub_nc_u32_e32 v7, v10, v7
	s_delay_alu instid0(VALU_DEP_1) | instskip(SKIP_1) | instid1(VALU_DEP_1)
	v_subrev_nc_u32_e32 v12, s17, v7
	v_cmp_le_u32_e64 s0, s17, v7
	v_cndmask_b32_e64 v6, v6, v11, s0
	s_delay_alu instid0(VALU_DEP_3) | instskip(NEXT) | instid1(VALU_DEP_2)
	v_cndmask_b32_e64 v7, v7, v12, s0
	v_add_nc_u32_e32 v11, 1, v6
	s_delay_alu instid0(VALU_DEP_2) | instskip(NEXT) | instid1(VALU_DEP_1)
	v_cmp_le_u32_e64 s0, s17, v7
	v_cndmask_b32_e64 v12, v6, v11, s0
	s_delay_alu instid0(VALU_DEP_1) | instskip(NEXT) | instid1(VALU_DEP_1)
	v_mul_lo_u32 v6, v12, s17
	v_sub_nc_u32_e32 v6, v10, v6
	s_delay_alu instid0(VALU_DEP_1) | instskip(NEXT) | instid1(VALU_DEP_1)
	v_mul_lo_u32 v11, v6, s3
	v_mad_u64_u32 v[6:7], null, v12, s2, v[11:12]
	v_mov_b32_e32 v7, v4
.LBB4_9:                                ;   in Loop: Header=BB4_3 Depth=1
	s_or_b32 exec_lo, exec_lo, s31
	s_and_saveexec_b32 s0, vcc_lo
	s_cbranch_execz .LBB4_11
; %bb.10:                               ;   in Loop: Header=BB4_3 Depth=1
	v_mul_hi_u32 v8, v10, v37
	s_delay_alu instid0(VALU_DEP_1) | instskip(SKIP_1) | instid1(VALU_DEP_2)
	v_mul_lo_u32 v9, v8, s18
	v_add_nc_u32_e32 v11, 1, v8
	v_sub_nc_u32_e32 v9, v10, v9
	s_delay_alu instid0(VALU_DEP_1) | instskip(SKIP_1) | instid1(VALU_DEP_2)
	v_subrev_nc_u32_e32 v12, s18, v9
	v_cmp_le_u32_e32 vcc_lo, s18, v9
	v_dual_cndmask_b32 v8, v8, v11 :: v_dual_cndmask_b32 v9, v9, v12
	s_delay_alu instid0(VALU_DEP_1) | instskip(NEXT) | instid1(VALU_DEP_2)
	v_add_nc_u32_e32 v11, 1, v8
	v_cmp_le_u32_e32 vcc_lo, s18, v9
	s_delay_alu instid0(VALU_DEP_2) | instskip(NEXT) | instid1(VALU_DEP_1)
	v_cndmask_b32_e32 v11, v8, v11, vcc_lo
	v_mul_lo_u32 v8, v11, s18
	s_delay_alu instid0(VALU_DEP_1) | instskip(NEXT) | instid1(VALU_DEP_1)
	v_sub_nc_u32_e32 v8, v10, v8
	v_mul_lo_u32 v10, v8, s11
	s_delay_alu instid0(VALU_DEP_1)
	v_mad_u64_u32 v[8:9], null, v11, s10, v[10:11]
	v_mov_b32_e32 v9, v4
.LBB4_11:                               ;   in Loop: Header=BB4_3 Depth=1
	s_or_b32 exec_lo, exec_lo, s0
	v_mov_b32_e32 v12, 0
	v_dual_mov_b32 v13, 0 :: v_dual_add_nc_u32 v14, 2, v0
	v_cmp_lt_i32_e32 vcc_lo, 2, v38
	s_delay_alu instid0(VALU_DEP_2)
	v_dual_mov_b32 v10, v12 :: v_dual_mov_b32 v11, v13
	s_and_saveexec_b32 s31, vcc_lo
	s_cbranch_execz .LBB4_13
; %bb.12:                               ;   in Loop: Header=BB4_3 Depth=1
	v_mul_hi_u32 v10, v14, v36
	s_delay_alu instid0(VALU_DEP_1) | instskip(SKIP_1) | instid1(VALU_DEP_2)
	v_mul_lo_u32 v11, v10, s17
	v_add_nc_u32_e32 v15, 1, v10
	v_sub_nc_u32_e32 v11, v14, v11
	s_delay_alu instid0(VALU_DEP_1) | instskip(SKIP_1) | instid1(VALU_DEP_1)
	v_subrev_nc_u32_e32 v16, s17, v11
	v_cmp_le_u32_e64 s0, s17, v11
	v_cndmask_b32_e64 v10, v10, v15, s0
	s_delay_alu instid0(VALU_DEP_3) | instskip(NEXT) | instid1(VALU_DEP_2)
	v_cndmask_b32_e64 v11, v11, v16, s0
	v_add_nc_u32_e32 v15, 1, v10
	s_delay_alu instid0(VALU_DEP_2) | instskip(NEXT) | instid1(VALU_DEP_1)
	v_cmp_le_u32_e64 s0, s17, v11
	v_cndmask_b32_e64 v16, v10, v15, s0
	s_delay_alu instid0(VALU_DEP_1) | instskip(NEXT) | instid1(VALU_DEP_1)
	v_mul_lo_u32 v10, v16, s17
	v_sub_nc_u32_e32 v10, v14, v10
	s_delay_alu instid0(VALU_DEP_1) | instskip(NEXT) | instid1(VALU_DEP_1)
	v_mul_lo_u32 v15, v10, s3
	v_mad_u64_u32 v[10:11], null, v16, s2, v[15:16]
	v_mov_b32_e32 v11, v4
.LBB4_13:                               ;   in Loop: Header=BB4_3 Depth=1
	s_or_b32 exec_lo, exec_lo, s31
	s_and_saveexec_b32 s0, vcc_lo
	s_cbranch_execz .LBB4_15
; %bb.14:                               ;   in Loop: Header=BB4_3 Depth=1
	v_mul_hi_u32 v12, v14, v37
	s_delay_alu instid0(VALU_DEP_1) | instskip(SKIP_1) | instid1(VALU_DEP_2)
	v_mul_lo_u32 v13, v12, s18
	v_add_nc_u32_e32 v15, 1, v12
	v_sub_nc_u32_e32 v13, v14, v13
	s_delay_alu instid0(VALU_DEP_1) | instskip(SKIP_1) | instid1(VALU_DEP_2)
	v_subrev_nc_u32_e32 v16, s18, v13
	v_cmp_le_u32_e32 vcc_lo, s18, v13
	v_dual_cndmask_b32 v12, v12, v15 :: v_dual_cndmask_b32 v13, v13, v16
	s_delay_alu instid0(VALU_DEP_1) | instskip(NEXT) | instid1(VALU_DEP_2)
	v_add_nc_u32_e32 v15, 1, v12
	v_cmp_le_u32_e32 vcc_lo, s18, v13
	s_delay_alu instid0(VALU_DEP_2) | instskip(NEXT) | instid1(VALU_DEP_1)
	v_cndmask_b32_e32 v15, v12, v15, vcc_lo
	v_mul_lo_u32 v12, v15, s18
	s_delay_alu instid0(VALU_DEP_1) | instskip(NEXT) | instid1(VALU_DEP_1)
	v_sub_nc_u32_e32 v12, v14, v12
	v_mul_lo_u32 v14, v12, s11
	s_delay_alu instid0(VALU_DEP_1)
	v_mad_u64_u32 v[12:13], null, v15, s10, v[14:15]
	v_mov_b32_e32 v13, v4
.LBB4_15:                               ;   in Loop: Header=BB4_3 Depth=1
	s_or_b32 exec_lo, exec_lo, s0
	v_mov_b32_e32 v14, 0
	v_dual_mov_b32 v15, 0 :: v_dual_add_nc_u32 v18, 3, v0
	v_cmp_lt_i32_e32 vcc_lo, 3, v38
	s_delay_alu instid0(VALU_DEP_2)
	v_dual_mov_b32 v17, v15 :: v_dual_mov_b32 v16, v14
	s_and_saveexec_b32 s31, vcc_lo
	s_cbranch_execz .LBB4_17
; %bb.16:                               ;   in Loop: Header=BB4_3 Depth=1
	v_mul_hi_u32 v16, v18, v36
	s_delay_alu instid0(VALU_DEP_1) | instskip(SKIP_1) | instid1(VALU_DEP_2)
	v_mul_lo_u32 v17, v16, s17
	v_add_nc_u32_e32 v19, 1, v16
	v_sub_nc_u32_e32 v17, v18, v17
	s_delay_alu instid0(VALU_DEP_1) | instskip(SKIP_1) | instid1(VALU_DEP_1)
	v_subrev_nc_u32_e32 v20, s17, v17
	v_cmp_le_u32_e64 s0, s17, v17
	v_cndmask_b32_e64 v16, v16, v19, s0
	s_delay_alu instid0(VALU_DEP_3) | instskip(NEXT) | instid1(VALU_DEP_2)
	v_cndmask_b32_e64 v17, v17, v20, s0
	v_add_nc_u32_e32 v19, 1, v16
	s_delay_alu instid0(VALU_DEP_2) | instskip(NEXT) | instid1(VALU_DEP_1)
	v_cmp_le_u32_e64 s0, s17, v17
	v_cndmask_b32_e64 v20, v16, v19, s0
	s_delay_alu instid0(VALU_DEP_1) | instskip(NEXT) | instid1(VALU_DEP_1)
	v_mul_lo_u32 v16, v20, s17
	v_sub_nc_u32_e32 v16, v18, v16
	s_delay_alu instid0(VALU_DEP_1) | instskip(NEXT) | instid1(VALU_DEP_1)
	v_mul_lo_u32 v19, v16, s3
	v_mad_u64_u32 v[16:17], null, v20, s2, v[19:20]
	v_mov_b32_e32 v17, v4
.LBB4_17:                               ;   in Loop: Header=BB4_3 Depth=1
	s_or_b32 exec_lo, exec_lo, s31
	s_and_saveexec_b32 s0, vcc_lo
	s_cbranch_execz .LBB4_19
; %bb.18:                               ;   in Loop: Header=BB4_3 Depth=1
	v_mul_hi_u32 v14, v18, v37
	s_delay_alu instid0(VALU_DEP_1) | instskip(SKIP_1) | instid1(VALU_DEP_2)
	v_mul_lo_u32 v15, v14, s18
	v_add_nc_u32_e32 v19, 1, v14
	v_sub_nc_u32_e32 v15, v18, v15
	s_delay_alu instid0(VALU_DEP_1) | instskip(SKIP_1) | instid1(VALU_DEP_2)
	v_subrev_nc_u32_e32 v20, s18, v15
	v_cmp_le_u32_e32 vcc_lo, s18, v15
	v_dual_cndmask_b32 v14, v14, v19 :: v_dual_cndmask_b32 v15, v15, v20
	s_delay_alu instid0(VALU_DEP_1) | instskip(NEXT) | instid1(VALU_DEP_2)
	v_add_nc_u32_e32 v19, 1, v14
	v_cmp_le_u32_e32 vcc_lo, s18, v15
	s_delay_alu instid0(VALU_DEP_2) | instskip(NEXT) | instid1(VALU_DEP_1)
	v_cndmask_b32_e32 v19, v14, v19, vcc_lo
	v_mul_lo_u32 v14, v19, s18
	s_delay_alu instid0(VALU_DEP_1) | instskip(NEXT) | instid1(VALU_DEP_1)
	v_sub_nc_u32_e32 v14, v18, v14
	v_mul_lo_u32 v18, v14, s11
	s_delay_alu instid0(VALU_DEP_1)
	v_mad_u64_u32 v[14:15], null, v19, s10, v[18:19]
	v_mov_b32_e32 v15, v4
.LBB4_19:                               ;   in Loop: Header=BB4_3 Depth=1
	s_or_b32 exec_lo, exec_lo, s0
	s_delay_alu instid0(VALU_DEP_1) | instskip(SKIP_3) | instid1(VALU_DEP_3)
	v_lshlrev_b64 v[14:15], 3, v[14:15]
	s_waitcnt lgkmcnt(0)
	v_dual_mov_b32 v23, s7 :: v_dual_mov_b32 v22, s6
	v_dual_mov_b32 v25, s5 :: v_dual_mov_b32 v24, s4
	v_add_co_u32 v14, vcc_lo, s8, v14
	s_delay_alu instid0(VALU_DEP_4)
	v_add_co_ci_u32_e32 v15, vcc_lo, s9, v15, vcc_lo
	s_and_not1_b32 vcc_lo, exec_lo, s19
	global_load_b64 v[18:19], v[14:15], off
	s_cbranch_vccnz .LBB4_21
; %bb.20:                               ;   in Loop: Header=BB4_3 Depth=1
	v_dual_mov_b32 v15, s7 :: v_dual_mov_b32 v14, s6
	v_dual_mov_b32 v21, s5 :: v_dual_mov_b32 v20, s4
	flat_load_b64 v[14:15], v[14:15]
	flat_load_b64 v[24:25], v[20:21]
	s_waitcnt vmcnt(1) lgkmcnt(1)
	v_add_co_u32 v22, vcc_lo, v14, s14
	v_add_co_ci_u32_e32 v23, vcc_lo, s15, v15, vcc_lo
.LBB4_21:                               ;   in Loop: Header=BB4_3 Depth=1
	s_delay_alu instid0(VALU_DEP_1)
	v_alignbit_b32 v26, v23, v22, 2
	v_lshrrev_b32_e32 v20, 2, v23
	s_waitcnt vmcnt(0) lgkmcnt(0)
	v_add_nc_u32_e32 v39, 0x9e3779b9, v24
	v_add_nc_u32_e32 v41, 0x3c6ef372, v24
	;; [unrolled: 1-line block ×3, first 2 shown]
	v_add_co_u32 v21, vcc_lo, v26, 1
	s_delay_alu instid0(VALU_DEP_1) | instskip(SKIP_4) | instid1(VALU_DEP_4)
	v_cndmask_b32_e64 v14, 0, 1, vcc_lo
	v_add_co_ci_u32_e32 v23, vcc_lo, 0, v20, vcc_lo
	v_xor3_b32 v28, v35, v24, v20
	v_add_nc_u32_e32 v43, 0x32370b8f, v25
	v_add_nc_u32_e32 v44, 0xed9eba14, v25
	v_cmp_eq_u32_e32 vcc_lo, 0, v23
	v_add_nc_u32_e32 v45, 0x1fd5c5a3, v25
	s_mov_b32 s0, exec_lo
	v_dual_cndmask_b32 v27, 0, v14 :: v_dual_add_nc_u32 v40, 0xbb67ae85, v25
	v_mad_u64_u32 v[14:15], null, 0xd2511f53, v21, 0
	v_mad_u64_u32 v[20:21], null, 0xd2511f53, v26, 0
	s_delay_alu instid0(VALU_DEP_3) | instskip(NEXT) | instid1(VALU_DEP_3)
	v_add_nc_u32_e32 v30, v27, v1
	v_xor_b32_e32 v15, v15, v25
	s_delay_alu instid0(VALU_DEP_2) | instskip(SKIP_1) | instid1(VALU_DEP_1)
	v_cmp_eq_u32_e32 vcc_lo, 0, v30
	v_cndmask_b32_e32 v27, 0, v27, vcc_lo
	v_xor_b32_e32 v15, v27, v15
	v_mad_u64_u32 v[26:27], null, 0xd2511f53, v28, 0
	v_mad_u64_u32 v[28:29], null, 0xcd9e8d57, v30, 0
	s_delay_alu instid0(VALU_DEP_3) | instskip(SKIP_1) | instid1(VALU_DEP_4)
	v_mad_u64_u32 v[30:31], null, 0xcd9e8d57, v15, 0
	v_xor_b32_e32 v15, v21, v25
	v_xor3_b32 v32, v40, v27, v20
	s_delay_alu instid0(VALU_DEP_2) | instskip(SKIP_2) | instid1(VALU_DEP_4)
	v_mad_u64_u32 v[20:21], null, 0xcd9e8d57, v15, 0
	v_xor3_b32 v15, v29, v24, v23
	v_xor3_b32 v23, v39, v31, v28
	v_mad_u64_u32 v[27:28], null, 0xcd9e8d57, v32, 0
	s_delay_alu instid0(VALU_DEP_3) | instskip(NEXT) | instid1(VALU_DEP_3)
	v_mad_u64_u32 v[31:32], null, 0xd2511f53, v15, 0
	v_mad_u64_u32 v[33:34], null, 0xd2511f53, v23, 0
	v_xor3_b32 v15, v2, v21, v39
	s_delay_alu instid0(VALU_DEP_4) | instskip(SKIP_2) | instid1(VALU_DEP_4)
	v_xor3_b32 v28, v41, v28, v20
	v_add_nc_u32_e32 v23, 0xdaa66d2b, v24
	v_xor3_b32 v32, v40, v32, v14
	v_mad_u64_u32 v[20:21], null, 0xd2511f53, v15, 0
	v_xor3_b32 v34, v42, v34, v31
	v_mad_u64_u32 v[14:15], null, 0xd2511f53, v28, 0
	s_delay_alu instid0(VALU_DEP_4) | instskip(NEXT) | instid1(VALU_DEP_3)
	v_mad_u64_u32 v[28:29], null, 0xcd9e8d57, v32, 0
	v_mad_u64_u32 v[31:32], null, 0xcd9e8d57, v34, 0
	v_xor3_b32 v26, v42, v21, v26
	v_add_nc_u32_e32 v34, 0x78dde6e4, v24
	v_xor3_b32 v15, v43, v15, v20
	s_delay_alu instid0(VALU_DEP_3) | instskip(SKIP_2) | instid1(VALU_DEP_4)
	v_mad_u64_u32 v[20:21], null, 0xcd9e8d57, v26, 0
	v_xor3_b32 v26, v41, v29, v30
	v_xor3_b32 v30, v23, v32, v28
	v_mad_u64_u32 v[28:29], null, 0xcd9e8d57, v15, 0
	s_delay_alu instid0(VALU_DEP_3) | instskip(NEXT) | instid1(VALU_DEP_3)
	v_mad_u64_u32 v[39:40], null, 0xd2511f53, v26, 0
	v_mad_u64_u32 v[41:42], null, 0xd2511f53, v30, 0
	v_xor3_b32 v15, v23, v21, v27
	s_delay_alu instid0(VALU_DEP_4) | instskip(SKIP_2) | instid1(VALU_DEP_4)
	v_xor3_b32 v26, v34, v29, v20
	v_add_nc_u32_e32 v23, 0x1715609d, v24
	v_add_nc_u32_e32 v30, 0xa9066899, v25
	v_mad_u64_u32 v[20:21], null, 0xd2511f53, v15, 0
	v_xor3_b32 v15, v43, v40, v33
	v_xor3_b32 v29, v44, v42, v39
	v_mad_u64_u32 v[32:33], null, 0xd2511f53, v26, 0
	v_add_nc_u32_e32 v40, 0xb54cda56, v24
	s_delay_alu instid0(VALU_DEP_4) | instskip(NEXT) | instid1(VALU_DEP_4)
	v_mad_u64_u32 v[26:27], null, 0xcd9e8d57, v15, 0
	v_mad_u64_u32 v[42:43], null, 0xcd9e8d57, v29, 0
	v_xor3_b32 v21, v44, v21, v14
	v_xor3_b32 v29, v30, v33, v20
	v_add_nc_u32_e32 v39, 0x646e171e, v25
	v_xor3_b32 v31, v34, v27, v31
	s_delay_alu instid0(VALU_DEP_4) | instskip(SKIP_2) | instid1(VALU_DEP_4)
	v_mad_u64_u32 v[14:15], null, 0xcd9e8d57, v21, 0
	v_xor3_b32 v33, v23, v43, v26
	v_mad_u64_u32 v[20:21], null, 0xcd9e8d57, v29, 0
	v_mad_u64_u32 v[26:27], null, 0xd2511f53, v31, 0
	s_delay_alu instid0(VALU_DEP_3) | instskip(SKIP_3) | instid1(VALU_DEP_3)
	v_mad_u64_u32 v[43:44], null, 0xd2511f53, v33, 0
	v_xor3_b32 v23, v23, v15, v28
	v_add_nc_u32_e32 v31, 0x5384540f, v24
	v_xor3_b32 v21, v40, v21, v14
	v_mad_u64_u32 v[14:15], null, 0xd2511f53, v23, 0
	v_xor3_b32 v23, v30, v27, v41
	v_xor3_b32 v28, v39, v44, v26
	s_delay_alu instid0(VALU_DEP_4) | instskip(NEXT) | instid1(VALU_DEP_3)
	v_mad_u64_u32 v[26:27], null, 0xd2511f53, v21, 0
	v_mad_u64_u32 v[33:34], null, 0xcd9e8d57, v23, 0
	s_delay_alu instid0(VALU_DEP_3) | instskip(SKIP_1) | instid1(VALU_DEP_4)
	v_mad_u64_u32 v[29:30], null, 0xcd9e8d57, v28, 0
	v_xor3_b32 v21, v39, v15, v32
	v_xor3_b32 v23, v45, v27, v14
	v_add_co_u32 v39, null, 0xf1bbcdc8, v24
	s_delay_alu instid0(VALU_DEP_3) | instskip(SKIP_4) | instid1(VALU_DEP_4)
	v_mad_u64_u32 v[14:15], null, 0xcd9e8d57, v21, 0
	v_xor3_b32 v21, v40, v34, v42
	v_xor3_b32 v30, v31, v30, v33
	v_mad_u64_u32 v[27:28], null, 0xcd9e8d57, v23, 0
	v_add_nc_u32_e32 v40, 0xdb3d7428, v25
	v_mad_u64_u32 v[41:42], null, 0xd2511f53, v21, 0
	s_delay_alu instid0(VALU_DEP_4) | instskip(SKIP_4) | instid1(VALU_DEP_4)
	v_mad_u64_u32 v[32:33], null, 0xd2511f53, v30, 0
	v_xor3_b32 v15, v31, v15, v20
	v_xor3_b32 v20, v39, v28, v14
	v_add_nc_u32_e32 v28, 0x8ff34781, v24
	v_xor3_b32 v21, v45, v42, v43
	v_mad_u64_u32 v[30:31], null, 0xd2511f53, v15, 0
	v_xor3_b32 v23, v40, v33, v41
	v_mad_u64_u32 v[14:15], null, 0xd2511f53, v20, 0
	s_delay_alu instid0(VALU_DEP_4) | instskip(NEXT) | instid1(VALU_DEP_3)
	v_mad_u64_u32 v[33:34], null, 0xcd9e8d57, v21, 0
	v_mad_u64_u32 v[20:21], null, 0xcd9e8d57, v23, 0
	v_add_nc_u32_e32 v41, 0x96a522ad, v25
	v_and_b32_e32 v25, 3, v22
                                        ; implicit-def: $vgpr23
	s_delay_alu instid0(VALU_DEP_2) | instskip(NEXT) | instid1(VALU_DEP_4)
	v_xor3_b32 v24, v15, v30, v41
	v_xor3_b32 v15, v21, v33, v28
	s_delay_alu instid0(VALU_DEP_3)
	v_cmpx_lt_i32_e32 1, v25
	s_xor_b32 s0, exec_lo, s0
	s_cbranch_execz .LBB4_27
; %bb.22:                               ;   in Loop: Header=BB4_3 Depth=1
	s_mov_b32 s31, exec_lo
                                        ; implicit-def: $vgpr23
	v_cmpx_lt_i32_e32 2, v25
	s_xor_b32 s31, exec_lo, s31
; %bb.23:                               ;   in Loop: Header=BB4_3 Depth=1
	v_xor3_b32 v21, v39, v34, v29
                                        ; implicit-def: $vgpr24
	s_delay_alu instid0(VALU_DEP_1) | instskip(NEXT) | instid1(VALU_DEP_1)
	v_mul_hi_u32 v21, 0xd2511f53, v21
	v_xor3_b32 v23, v21, v32, v41
; %bb.24:                               ;   in Loop: Header=BB4_3 Depth=1
	s_and_not1_saveexec_b32 s31, s31
; %bb.25:                               ;   in Loop: Header=BB4_3 Depth=1
	v_dual_mov_b32 v23, v20 :: v_dual_mov_b32 v20, v15
	v_dual_mov_b32 v15, v14 :: v_dual_mov_b32 v14, v24
; %bb.26:                               ;   in Loop: Header=BB4_3 Depth=1
	s_or_b32 exec_lo, exec_lo, s31
                                        ; implicit-def: $vgpr26_vgpr27
                                        ; implicit-def: $vgpr25
                                        ; implicit-def: $vgpr24
                                        ; implicit-def: $vgpr40
                                        ; implicit-def: $vgpr30_vgpr31
                                        ; implicit-def: $vgpr27_vgpr28
                                        ; implicit-def: $vgpr28
.LBB4_27:                               ;   in Loop: Header=BB4_3 Depth=1
	s_and_not1_saveexec_b32 s0, s0
	s_cbranch_execz .LBB4_31
; %bb.28:                               ;   in Loop: Header=BB4_3 Depth=1
	v_xor3_b32 v20, v40, v31, v26
	v_cmp_eq_u32_e32 vcc_lo, 1, v25
	v_mov_b32_e32 v23, v14
	s_delay_alu instid0(VALU_DEP_3) | instskip(SKIP_1) | instid1(VALU_DEP_2)
	v_mad_u64_u32 v[21:22], null, 0xcd9e8d57, v20, 0
	v_mov_b32_e32 v20, v24
	v_xor3_b32 v25, v22, v27, v28
	s_delay_alu instid0(VALU_DEP_3)
	v_mov_b32_e32 v22, v21
	s_and_saveexec_b32 s31, vcc_lo
; %bb.29:                               ;   in Loop: Header=BB4_3 Depth=1
	v_dual_mov_b32 v23, v15 :: v_dual_mov_b32 v20, v14
	v_dual_mov_b32 v22, v24 :: v_dual_mov_b32 v25, v21
; %bb.30:                               ;   in Loop: Header=BB4_3 Depth=1
	s_or_b32 exec_lo, exec_lo, s31
	s_delay_alu instid0(VALU_DEP_1)
	v_dual_mov_b32 v14, v25 :: v_dual_mov_b32 v15, v22
.LBB4_31:                               ;   in Loop: Header=BB4_3 Depth=1
	s_or_b32 exec_lo, exec_lo, s0
	v_min_i32_e32 v21, 4, v38
	s_mov_b32 s31, 0
	s_mov_b32 s39, 0
                                        ; implicit-def: $sgpr33
                                        ; implicit-def: $sgpr34
                                        ; implicit-def: $sgpr35
	s_mov_b32 s0, exec_lo
	s_delay_alu instid0(VALU_DEP_1)
	v_cmpx_lt_i32_e32 2, v21
	s_xor_b32 s36, exec_lo, s0
	s_cbranch_execz .LBB4_41
; %bb.32:                               ;   in Loop: Header=BB4_3 Depth=1
	s_mov_b32 s35, -1
	s_mov_b32 s34, exec_lo
                                        ; implicit-def: $sgpr33
                                        ; implicit-def: $sgpr37
	v_cmpx_lt_i32_e32 3, v21
	s_cbranch_execz .LBB4_36
; %bb.33:                               ;   in Loop: Header=BB4_3 Depth=1
	v_cmp_le_f64_e32 vcc_lo, 0, v[18:19]
	v_cmp_ge_f64_e64 s0, 1.0, v[18:19]
	s_mov_b32 s33, 0
	s_delay_alu instid0(VALU_DEP_1)
	s_and_b32 s37, vcc_lo, s0
	s_mov_b32 s0, 0
	s_and_saveexec_b32 s35, s37
	s_cbranch_execz .LBB4_35
; %bb.34:                               ;   in Loop: Header=BB4_3 Depth=1
	v_cvt_f32_u32_e32 v22, v23
	v_lshlrev_b64 v[16:17], 3, v[16:17]
	s_mov_b32 s0, exec_lo
	s_delay_alu instid0(VALU_DEP_2) | instskip(NEXT) | instid1(VALU_DEP_2)
	v_fmaak_f32 v22, 0x2f800000, v22, 0x2f800000
	v_add_co_u32 v16, vcc_lo, s12, v16
	s_delay_alu instid0(VALU_DEP_3) | instskip(NEXT) | instid1(VALU_DEP_3)
	v_add_co_ci_u32_e32 v17, vcc_lo, s13, v17, vcc_lo
	v_cvt_f64_f32_e32 v[22:23], v22
	s_delay_alu instid0(VALU_DEP_1)
	v_cmp_ge_f64_e32 vcc_lo, v[18:19], v[22:23]
	v_mov_b32_e32 v18, v4
	v_cndmask_b32_e64 v19, 0, 0x3ff00000, vcc_lo
	global_store_b64 v[16:17], v[18:19], off
.LBB4_35:                               ;   in Loop: Header=BB4_3 Depth=1
	s_or_b32 exec_lo, exec_lo, s35
	s_mov_b32 s37, -1
	s_or_not1_b32 s35, s0, exec_lo
.LBB4_36:                               ;   in Loop: Header=BB4_3 Depth=1
	s_or_b32 exec_lo, exec_lo, s34
	s_mov_b32 s0, 0
	s_mov_b32 s38, s33
	s_and_saveexec_b32 s34, s35
	s_cbranch_execz .LBB4_40
; %bb.37:                               ;   in Loop: Header=BB4_3 Depth=1
	v_lshlrev_b64 v[12:13], 3, v[12:13]
	s_delay_alu instid0(VALU_DEP_1) | instskip(NEXT) | instid1(VALU_DEP_2)
	v_add_co_u32 v12, vcc_lo, s8, v12
	v_add_co_ci_u32_e32 v13, vcc_lo, s9, v13, vcc_lo
	global_load_b64 v[12:13], v[12:13], off
	s_waitcnt vmcnt(0)
	v_cmp_le_f64_e32 vcc_lo, 0, v[12:13]
	v_cmp_ge_f64_e64 s0, 1.0, v[12:13]
	s_delay_alu instid0(VALU_DEP_1) | instskip(SKIP_2) | instid1(SALU_CYCLE_1)
	s_and_b32 s35, vcc_lo, s0
	s_mov_b32 s0, 0
	s_and_saveexec_b32 s38, s35
	s_xor_b32 s35, exec_lo, s38
	s_cbranch_execz .LBB4_39
; %bb.38:                               ;   in Loop: Header=BB4_3 Depth=1
	v_cvt_f32_u32_e32 v16, v20
	v_lshlrev_b64 v[10:11], 3, v[10:11]
	s_mov_b32 s0, exec_lo
	s_delay_alu instid0(VALU_DEP_2) | instskip(NEXT) | instid1(VALU_DEP_2)
	v_fmaak_f32 v16, 0x2f800000, v16, 0x2f800000
	v_add_co_u32 v10, vcc_lo, s12, v10
	s_delay_alu instid0(VALU_DEP_3) | instskip(NEXT) | instid1(VALU_DEP_3)
	v_add_co_ci_u32_e32 v11, vcc_lo, s13, v11, vcc_lo
	v_cvt_f64_f32_e32 v[16:17], v16
	s_delay_alu instid0(VALU_DEP_1)
	v_cmp_ge_f64_e32 vcc_lo, v[12:13], v[16:17]
	v_mov_b32_e32 v12, v4
	v_cndmask_b32_e64 v13, 0, 0x3ff00000, vcc_lo
	global_store_b64 v[10:11], v[12:13], off
.LBB4_39:                               ;   in Loop: Header=BB4_3 Depth=1
	s_or_b32 exec_lo, exec_lo, s35
	s_delay_alu instid0(SALU_CYCLE_1)
	s_and_not1_b32 s38, s33, exec_lo
	s_or_b32 s33, s33, exec_lo
	s_and_not1_b32 s37, s37, exec_lo
	s_and_b32 s0, s0, exec_lo
.LBB4_40:                               ;   in Loop: Header=BB4_3 Depth=1
	s_or_b32 exec_lo, exec_lo, s34
	s_delay_alu instid0(SALU_CYCLE_1)
	s_and_b32 s35, s38, exec_lo
	s_and_b32 s34, s33, exec_lo
	;; [unrolled: 1-line block ×4, first 2 shown]
.LBB4_41:                               ;   in Loop: Header=BB4_3 Depth=1
	s_and_not1_saveexec_b32 s0, s36
; %bb.42:                               ;   in Loop: Header=BB4_3 Depth=1
	v_cmp_lt_i32_e32 vcc_lo, 1, v21
	s_and_not1_b32 s36, s39, exec_lo
	s_mov_b32 s31, exec_lo
	s_and_not1_b32 s35, s35, exec_lo
	s_and_not1_b32 s34, s34, exec_lo
	s_and_b32 s37, vcc_lo, exec_lo
	s_and_not1_b32 s33, s33, exec_lo
	s_or_b32 s39, s36, s37
; %bb.43:                               ;   in Loop: Header=BB4_3 Depth=1
	s_or_b32 exec_lo, exec_lo, s0
	s_mov_b32 s36, 0
	s_mov_b32 s0, 0
	;; [unrolled: 1-line block ×3, first 2 shown]
	s_and_saveexec_b32 s38, s39
	s_cbranch_execnz .LBB4_46
; %bb.44:                               ;   in Loop: Header=BB4_3 Depth=1
	s_or_b32 exec_lo, exec_lo, s38
	s_and_saveexec_b32 s38, s31
	s_cbranch_execnz .LBB4_49
.LBB4_45:                               ;   in Loop: Header=BB4_3 Depth=1
	s_or_b32 exec_lo, exec_lo, s38
	s_and_saveexec_b32 s31, s0
	s_cbranch_execnz .LBB4_50
	s_branch .LBB4_53
.LBB4_46:                               ;   in Loop: Header=BB4_3 Depth=1
	v_lshlrev_b64 v[8:9], 3, v[8:9]
	s_delay_alu instid0(VALU_DEP_1) | instskip(NEXT) | instid1(VALU_DEP_2)
	v_add_co_u32 v8, vcc_lo, s8, v8
	v_add_co_ci_u32_e32 v9, vcc_lo, s9, v9, vcc_lo
	global_load_b64 v[8:9], v[8:9], off
	s_waitcnt vmcnt(0)
	v_cmp_le_f64_e32 vcc_lo, 0, v[8:9]
	v_cmp_ge_f64_e64 s0, 1.0, v[8:9]
	s_delay_alu instid0(VALU_DEP_1) | instskip(SKIP_2) | instid1(SALU_CYCLE_1)
	s_and_b32 s37, vcc_lo, s0
	s_mov_b32 s0, 0
	s_and_saveexec_b32 s39, s37
	s_xor_b32 s37, exec_lo, s39
	s_cbranch_execz .LBB4_48
; %bb.47:                               ;   in Loop: Header=BB4_3 Depth=1
	v_cvt_f32_u32_e32 v10, v15
	v_lshlrev_b64 v[6:7], 3, v[6:7]
	s_mov_b32 s0, exec_lo
	s_delay_alu instid0(VALU_DEP_2) | instskip(NEXT) | instid1(VALU_DEP_2)
	v_fmaak_f32 v10, 0x2f800000, v10, 0x2f800000
	v_add_co_u32 v6, vcc_lo, s12, v6
	s_delay_alu instid0(VALU_DEP_3) | instskip(NEXT) | instid1(VALU_DEP_3)
	v_add_co_ci_u32_e32 v7, vcc_lo, s13, v7, vcc_lo
	v_cvt_f64_f32_e32 v[10:11], v10
	s_delay_alu instid0(VALU_DEP_1)
	v_cmp_ge_f64_e32 vcc_lo, v[8:9], v[10:11]
	v_mov_b32_e32 v8, v4
	v_cndmask_b32_e64 v9, 0, 0x3ff00000, vcc_lo
	global_store_b64 v[6:7], v[8:9], off
.LBB4_48:                               ;   in Loop: Header=BB4_3 Depth=1
	s_or_b32 exec_lo, exec_lo, s37
	s_delay_alu instid0(SALU_CYCLE_1)
	s_and_not1_b32 s37, s35, exec_lo
	s_or_b32 s35, s35, exec_lo
	s_and_not1_b32 s34, s34, exec_lo
	s_and_not1_b32 s33, s33, exec_lo
	s_and_b32 s0, s0, exec_lo
	s_and_not1_b32 s31, s31, exec_lo
	s_or_b32 exec_lo, exec_lo, s38
	s_and_saveexec_b32 s38, s31
	s_cbranch_execz .LBB4_45
.LBB4_49:                               ;   in Loop: Header=BB4_3 Depth=1
	v_cmp_eq_u32_e32 vcc_lo, 1, v21
	s_and_not1_b32 s0, s0, exec_lo
	s_mov_b32 s36, exec_lo
	s_and_not1_b32 s37, s37, exec_lo
	s_and_not1_b32 s35, s35, exec_lo
	s_and_b32 s31, vcc_lo, exec_lo
	s_and_not1_b32 s34, s34, exec_lo
	s_and_not1_b32 s33, s33, exec_lo
	s_or_b32 s0, s0, s31
	s_or_b32 exec_lo, exec_lo, s38
	s_and_saveexec_b32 s31, s0
	s_cbranch_execz .LBB4_53
.LBB4_50:                               ;   in Loop: Header=BB4_3 Depth=1
	v_lshlrev_b64 v[6:7], 3, v[3:4]
	s_mov_b32 s38, 0
	s_delay_alu instid0(VALU_DEP_1) | instskip(NEXT) | instid1(VALU_DEP_2)
	v_add_co_u32 v6, vcc_lo, s8, v6
	v_add_co_ci_u32_e32 v7, vcc_lo, s9, v7, vcc_lo
	global_load_b64 v[7:8], v[6:7], off
	s_waitcnt vmcnt(0)
	v_cmp_le_f64_e32 vcc_lo, 0, v[7:8]
	v_cmp_ge_f64_e64 s0, 1.0, v[7:8]
	s_delay_alu instid0(VALU_DEP_1) | instskip(NEXT) | instid1(SALU_CYCLE_1)
	s_and_b32 s39, vcc_lo, s0
	s_and_saveexec_b32 s0, s39
	s_cbranch_execz .LBB4_52
; %bb.51:                               ;   in Loop: Header=BB4_3 Depth=1
	v_cvt_f32_u32_e32 v3, v14
	s_mov_b32 s38, exec_lo
	s_delay_alu instid0(VALU_DEP_1) | instskip(NEXT) | instid1(VALU_DEP_1)
	v_dual_mov_b32 v6, v4 :: v_dual_fmaak_f32 v3, 0x2f800000, v3, 0x2f800000
	v_lshlrev_b64 v[5:6], 3, v[5:6]
	s_delay_alu instid0(VALU_DEP_2) | instskip(NEXT) | instid1(VALU_DEP_2)
	v_cvt_f64_f32_e32 v[9:10], v3
	v_add_co_u32 v5, vcc_lo, s12, v5
	s_delay_alu instid0(VALU_DEP_3) | instskip(NEXT) | instid1(VALU_DEP_3)
	v_add_co_ci_u32_e32 v6, vcc_lo, s13, v6, vcc_lo
	v_cmp_ge_f64_e32 vcc_lo, v[7:8], v[9:10]
	v_mov_b32_e32 v7, v4
	v_cndmask_b32_e64 v8, 0, 0x3ff00000, vcc_lo
	global_store_b64 v[5:6], v[7:8], off
.LBB4_52:                               ;   in Loop: Header=BB4_3 Depth=1
	s_or_b32 exec_lo, exec_lo, s0
	s_delay_alu instid0(SALU_CYCLE_1)
	s_and_not1_b32 s0, s36, exec_lo
	s_and_b32 s36, s38, exec_lo
	s_or_b32 s37, s37, exec_lo
	s_and_not1_b32 s35, s35, exec_lo
	s_and_not1_b32 s34, s34, exec_lo
	;; [unrolled: 1-line block ×3, first 2 shown]
	s_or_b32 s36, s0, s36
.LBB4_53:                               ;   in Loop: Header=BB4_3 Depth=1
	s_or_b32 exec_lo, exec_lo, s31
	s_delay_alu instid0(SALU_CYCLE_1)
	s_and_not1_b32 s30, s30, exec_lo
	s_and_b32 s31, s37, exec_lo
	s_and_not1_b32 s28, s28, exec_lo
	s_and_b32 s35, s35, exec_lo
	s_or_b32 s30, s30, s31
	s_and_not1_b32 s29, s29, exec_lo
	s_and_b32 s31, s34, exec_lo
	s_and_not1_b32 s27, s27, exec_lo
	s_and_b32 s33, s33, exec_lo
	s_mov_b32 s0, -1
	s_or_b32 s28, s28, s35
	s_or_b32 s29, s29, s31
	;; [unrolled: 1-line block ×3, first 2 shown]
	s_and_saveexec_b32 s31, s36
	s_cbranch_execz .LBB4_2
; %bb.54:                               ;   in Loop: Header=BB4_3 Depth=1
	v_add_nc_u32_e32 v0, s24, v0
	v_subrev_nc_u32_e32 v38, s24, v38
	s_and_not1_b32 s30, s30, exec_lo
	s_and_not1_b32 s28, s28, exec_lo
	;; [unrolled: 1-line block ×3, first 2 shown]
	v_cmp_le_u32_e32 vcc_lo, s16, v0
	s_and_not1_b32 s27, s27, exec_lo
	s_or_not1_b32 s0, vcc_lo, exec_lo
	s_branch .LBB4_2
.LBB4_55:
	s_or_b32 exec_lo, exec_lo, s22
	s_xor_b32 s4, s25, -1
	s_xor_b32 s5, s26, -1
	;; [unrolled: 1-line block ×3, first 2 shown]
	s_mov_b32 s2, 0
	s_and_saveexec_b32 s3, s0
	s_delay_alu instid0(SALU_CYCLE_1)
	s_xor_b32 s0, exec_lo, s3
	s_cbranch_execz .LBB4_64
; %bb.56:
	s_mov_b32 s3, 0
	s_and_saveexec_b32 s2, s5
	s_delay_alu instid0(SALU_CYCLE_1)
	s_xor_b32 s2, exec_lo, s2
	s_cbranch_execz .LBB4_62
; %bb.57:
	s_and_saveexec_b32 s5, s4
	s_delay_alu instid0(SALU_CYCLE_1)
	s_xor_b32 s4, exec_lo, s5
	s_cbranch_execz .LBB4_60
; %bb.58:
	s_and_saveexec_b32 s5, s1
	s_delay_alu instid0(SALU_CYCLE_1)
	s_xor_b32 s1, exec_lo, s5
	s_cbranch_execnz .LBB4_78
.LBB4_59:
	s_or_b32 exec_lo, exec_lo, s1
	s_delay_alu instid0(SALU_CYCLE_1)
	s_and_b32 s3, s3, exec_lo
.LBB4_60:
	s_and_not1_saveexec_b32 s1, s4
	s_cbranch_execnz .LBB4_74
.LBB4_61:
	s_or_b32 exec_lo, exec_lo, s1
	s_delay_alu instid0(SALU_CYCLE_1)
	s_and_b32 s3, s3, exec_lo
.LBB4_62:
	s_and_not1_saveexec_b32 s1, s2
	s_cbranch_execnz .LBB4_70
.LBB4_63:
	s_or_b32 exec_lo, exec_lo, s1
	s_delay_alu instid0(SALU_CYCLE_1)
	s_and_b32 s2, s3, exec_lo
.LBB4_64:
	s_and_not1_saveexec_b32 s0, s0
	s_cbranch_execnz .LBB4_68
; %bb.65:
	s_or_b32 exec_lo, exec_lo, s0
	s_delay_alu instid0(SALU_CYCLE_1)
	s_and_b32 exec_lo, exec_lo, s2
.LBB4_66:
	; divergent unreachable
.LBB4_67:
	s_nop 0
	s_sendmsg sendmsg(MSG_DEALLOC_VGPRS)
	s_endpgm
.LBB4_68:
	s_cbranch_execnz .LBB4_72
; %bb.69:
	s_or_b32 s2, s2, exec_lo
	s_or_b32 exec_lo, exec_lo, s0
	s_delay_alu instid0(SALU_CYCLE_1)
	s_and_b32 exec_lo, exec_lo, s2
	s_cbranch_execnz .LBB4_66
	s_branch .LBB4_67
.LBB4_70:
	s_cbranch_execnz .LBB4_76
; %bb.71:
	s_or_b32 s3, s3, exec_lo
	s_branch .LBB4_63
.LBB4_72:
	s_trap 2
	s_sendmsg_rtn_b32 s0, sendmsg(MSG_RTN_GET_DOORBELL)
	s_mov_b32 ttmp2, m0
	s_waitcnt lgkmcnt(0)
	s_and_b32 s0, s0, 0x3ff
	s_delay_alu instid0(SALU_CYCLE_1) | instskip(NEXT) | instid1(SALU_CYCLE_1)
	s_bitset1_b32 s0, 10
	s_mov_b32 m0, s0
	s_sendmsg sendmsg(MSG_INTERRUPT)
	s_mov_b32 m0, ttmp2
.LBB4_73:                               ; =>This Inner Loop Header: Depth=1
	s_sethalt 5
	s_branch .LBB4_73
.LBB4_74:
	s_cbranch_execnz .LBB4_80
; %bb.75:
	s_or_b32 s3, s3, exec_lo
	s_branch .LBB4_61
.LBB4_76:
	s_trap 2
	s_sendmsg_rtn_b32 s0, sendmsg(MSG_RTN_GET_DOORBELL)
	s_mov_b32 ttmp2, m0
	s_waitcnt lgkmcnt(0)
	s_and_b32 s0, s0, 0x3ff
	s_delay_alu instid0(SALU_CYCLE_1) | instskip(NEXT) | instid1(SALU_CYCLE_1)
	s_bitset1_b32 s0, 10
	s_mov_b32 m0, s0
	s_sendmsg sendmsg(MSG_INTERRUPT)
	s_mov_b32 m0, ttmp2
.LBB4_77:                               ; =>This Inner Loop Header: Depth=1
	s_sethalt 5
	s_branch .LBB4_77
.LBB4_78:
	s_cbranch_execnz .LBB4_82
; %bb.79:
	s_mov_b32 s3, exec_lo
	s_branch .LBB4_59
.LBB4_80:
	s_trap 2
	s_sendmsg_rtn_b32 s0, sendmsg(MSG_RTN_GET_DOORBELL)
	s_mov_b32 ttmp2, m0
	s_waitcnt lgkmcnt(0)
	s_and_b32 s0, s0, 0x3ff
	s_delay_alu instid0(SALU_CYCLE_1) | instskip(NEXT) | instid1(SALU_CYCLE_1)
	s_bitset1_b32 s0, 10
	s_mov_b32 m0, s0
	s_sendmsg sendmsg(MSG_INTERRUPT)
	s_mov_b32 m0, ttmp2
.LBB4_81:                               ; =>This Inner Loop Header: Depth=1
	s_sethalt 5
	s_branch .LBB4_81
.LBB4_82:
	s_trap 2
	s_sendmsg_rtn_b32 s0, sendmsg(MSG_RTN_GET_DOORBELL)
	s_mov_b32 ttmp2, m0
	s_waitcnt lgkmcnt(0)
	s_and_b32 s0, s0, 0x3ff
	s_delay_alu instid0(SALU_CYCLE_1) | instskip(NEXT) | instid1(SALU_CYCLE_1)
	s_bitset1_b32 s0, 10
	s_mov_b32 m0, s0
	s_sendmsg sendmsg(MSG_INTERRUPT)
	s_mov_b32 m0, ttmp2
.LBB4_83:                               ; =>This Inner Loop Header: Depth=1
	s_sethalt 5
	s_branch .LBB4_83
	.section	.rodata,"a",@progbits
	.p2align	6, 0x0
	.amdhsa_kernel _ZN2at4cuda12_GLOBAL__N_121kernelPointwiseApply2IZNS_6native9templates4cuda28bernoulli_tensor_cuda_kernelIddEEvRKNS_10TensorBaseES9_NS_15PhiloxCudaStateEEUliRdSB_SB_SB_RKdSD_SD_SD_E_dSC_jLi2ELi2ELi4ELi512ELi2EEEvNS0_6detail10TensorInfoIT0_T2_EENSG_IT1_SI_EESI_T_
		.amdhsa_group_segment_fixed_size 0
		.amdhsa_private_segment_fixed_size 0
		.amdhsa_kernarg_size 728
		.amdhsa_user_sgpr_count 15
		.amdhsa_user_sgpr_dispatch_ptr 0
		.amdhsa_user_sgpr_queue_ptr 0
		.amdhsa_user_sgpr_kernarg_segment_ptr 1
		.amdhsa_user_sgpr_dispatch_id 0
		.amdhsa_user_sgpr_private_segment_size 0
		.amdhsa_wavefront_size32 1
		.amdhsa_uses_dynamic_stack 0
		.amdhsa_enable_private_segment 0
		.amdhsa_system_sgpr_workgroup_id_x 1
		.amdhsa_system_sgpr_workgroup_id_y 0
		.amdhsa_system_sgpr_workgroup_id_z 0
		.amdhsa_system_sgpr_workgroup_info 0
		.amdhsa_system_vgpr_workitem_id 0
		.amdhsa_next_free_vgpr 46
		.amdhsa_next_free_sgpr 40
		.amdhsa_reserve_vcc 1
		.amdhsa_float_round_mode_32 0
		.amdhsa_float_round_mode_16_64 0
		.amdhsa_float_denorm_mode_32 3
		.amdhsa_float_denorm_mode_16_64 3
		.amdhsa_dx10_clamp 1
		.amdhsa_ieee_mode 1
		.amdhsa_fp16_overflow 0
		.amdhsa_workgroup_processor_mode 1
		.amdhsa_memory_ordered 1
		.amdhsa_forward_progress 0
		.amdhsa_shared_vgpr_count 0
		.amdhsa_exception_fp_ieee_invalid_op 0
		.amdhsa_exception_fp_denorm_src 0
		.amdhsa_exception_fp_ieee_div_zero 0
		.amdhsa_exception_fp_ieee_overflow 0
		.amdhsa_exception_fp_ieee_underflow 0
		.amdhsa_exception_fp_ieee_inexact 0
		.amdhsa_exception_int_div_zero 0
	.end_amdhsa_kernel
	.section	.text._ZN2at4cuda12_GLOBAL__N_121kernelPointwiseApply2IZNS_6native9templates4cuda28bernoulli_tensor_cuda_kernelIddEEvRKNS_10TensorBaseES9_NS_15PhiloxCudaStateEEUliRdSB_SB_SB_RKdSD_SD_SD_E_dSC_jLi2ELi2ELi4ELi512ELi2EEEvNS0_6detail10TensorInfoIT0_T2_EENSG_IT1_SI_EESI_T_,"axG",@progbits,_ZN2at4cuda12_GLOBAL__N_121kernelPointwiseApply2IZNS_6native9templates4cuda28bernoulli_tensor_cuda_kernelIddEEvRKNS_10TensorBaseES9_NS_15PhiloxCudaStateEEUliRdSB_SB_SB_RKdSD_SD_SD_E_dSC_jLi2ELi2ELi4ELi512ELi2EEEvNS0_6detail10TensorInfoIT0_T2_EENSG_IT1_SI_EESI_T_,comdat
.Lfunc_end4:
	.size	_ZN2at4cuda12_GLOBAL__N_121kernelPointwiseApply2IZNS_6native9templates4cuda28bernoulli_tensor_cuda_kernelIddEEvRKNS_10TensorBaseES9_NS_15PhiloxCudaStateEEUliRdSB_SB_SB_RKdSD_SD_SD_E_dSC_jLi2ELi2ELi4ELi512ELi2EEEvNS0_6detail10TensorInfoIT0_T2_EENSG_IT1_SI_EESI_T_, .Lfunc_end4-_ZN2at4cuda12_GLOBAL__N_121kernelPointwiseApply2IZNS_6native9templates4cuda28bernoulli_tensor_cuda_kernelIddEEvRKNS_10TensorBaseES9_NS_15PhiloxCudaStateEEUliRdSB_SB_SB_RKdSD_SD_SD_E_dSC_jLi2ELi2ELi4ELi512ELi2EEEvNS0_6detail10TensorInfoIT0_T2_EENSG_IT1_SI_EESI_T_
                                        ; -- End function
	.section	.AMDGPU.csdata,"",@progbits
; Kernel info:
; codeLenInByte = 4316
; NumSgprs: 42
; NumVgprs: 46
; ScratchSize: 0
; MemoryBound: 0
; FloatMode: 240
; IeeeMode: 1
; LDSByteSize: 0 bytes/workgroup (compile time only)
; SGPRBlocks: 5
; VGPRBlocks: 5
; NumSGPRsForWavesPerEU: 42
; NumVGPRsForWavesPerEU: 46
; Occupancy: 16
; WaveLimiterHint : 1
; COMPUTE_PGM_RSRC2:SCRATCH_EN: 0
; COMPUTE_PGM_RSRC2:USER_SGPR: 15
; COMPUTE_PGM_RSRC2:TRAP_HANDLER: 0
; COMPUTE_PGM_RSRC2:TGID_X_EN: 1
; COMPUTE_PGM_RSRC2:TGID_Y_EN: 0
; COMPUTE_PGM_RSRC2:TGID_Z_EN: 0
; COMPUTE_PGM_RSRC2:TIDIG_COMP_CNT: 0
	.section	.text._ZN2at4cuda12_GLOBAL__N_121kernelPointwiseApply2IZNS_6native9templates4cuda28bernoulli_tensor_cuda_kernelIddEEvRKNS_10TensorBaseES9_NS_15PhiloxCudaStateEEUliRdSB_SB_SB_RKdSD_SD_SD_E_dSC_jLi2ELin1ELi4ELi512ELi2EEEvNS0_6detail10TensorInfoIT0_T2_EENSG_IT1_SI_EESI_T_,"axG",@progbits,_ZN2at4cuda12_GLOBAL__N_121kernelPointwiseApply2IZNS_6native9templates4cuda28bernoulli_tensor_cuda_kernelIddEEvRKNS_10TensorBaseES9_NS_15PhiloxCudaStateEEUliRdSB_SB_SB_RKdSD_SD_SD_E_dSC_jLi2ELin1ELi4ELi512ELi2EEEvNS0_6detail10TensorInfoIT0_T2_EENSG_IT1_SI_EESI_T_,comdat
	.globl	_ZN2at4cuda12_GLOBAL__N_121kernelPointwiseApply2IZNS_6native9templates4cuda28bernoulli_tensor_cuda_kernelIddEEvRKNS_10TensorBaseES9_NS_15PhiloxCudaStateEEUliRdSB_SB_SB_RKdSD_SD_SD_E_dSC_jLi2ELin1ELi4ELi512ELi2EEEvNS0_6detail10TensorInfoIT0_T2_EENSG_IT1_SI_EESI_T_ ; -- Begin function _ZN2at4cuda12_GLOBAL__N_121kernelPointwiseApply2IZNS_6native9templates4cuda28bernoulli_tensor_cuda_kernelIddEEvRKNS_10TensorBaseES9_NS_15PhiloxCudaStateEEUliRdSB_SB_SB_RKdSD_SD_SD_E_dSC_jLi2ELin1ELi4ELi512ELi2EEEvNS0_6detail10TensorInfoIT0_T2_EENSG_IT1_SI_EESI_T_
	.p2align	8
	.type	_ZN2at4cuda12_GLOBAL__N_121kernelPointwiseApply2IZNS_6native9templates4cuda28bernoulli_tensor_cuda_kernelIddEEvRKNS_10TensorBaseES9_NS_15PhiloxCudaStateEEUliRdSB_SB_SB_RKdSD_SD_SD_E_dSC_jLi2ELin1ELi4ELi512ELi2EEEvNS0_6detail10TensorInfoIT0_T2_EENSG_IT1_SI_EESI_T_,@function
_ZN2at4cuda12_GLOBAL__N_121kernelPointwiseApply2IZNS_6native9templates4cuda28bernoulli_tensor_cuda_kernelIddEEvRKNS_10TensorBaseES9_NS_15PhiloxCudaStateEEUliRdSB_SB_SB_RKdSD_SD_SD_E_dSC_jLi2ELin1ELi4ELi512ELi2EEEvNS0_6detail10TensorInfoIT0_T2_EENSG_IT1_SI_EESI_T_: ; @_ZN2at4cuda12_GLOBAL__N_121kernelPointwiseApply2IZNS_6native9templates4cuda28bernoulli_tensor_cuda_kernelIddEEvRKNS_10TensorBaseES9_NS_15PhiloxCudaStateEEUliRdSB_SB_SB_RKdSD_SD_SD_E_dSC_jLi2ELin1ELi4ELi512ELi2EEEvNS0_6detail10TensorInfoIT0_T2_EENSG_IT1_SI_EESI_T_
; %bb.0:
	s_clause 0x1
	s_load_b32 s2, s[0:1], 0x1e4
	s_load_b32 s18, s[0:1], 0x1b0
	s_add_u32 s4, s0, 0x1d8
	s_addc_u32 s5, s1, 0
	s_waitcnt lgkmcnt(0)
	s_and_b32 s14, s2, 0xffff
	s_mov_b32 s2, exec_lo
	v_mad_u64_u32 v[1:2], null, s15, s14, v[0:1]
	s_delay_alu instid0(VALU_DEP_1) | instskip(NEXT) | instid1(VALU_DEP_1)
	v_lshlrev_b32_e32 v32, 2, v1
	v_cmpx_gt_u32_e64 s18, v32
	s_cbranch_execz .LBB5_81
; %bb.1:
	s_clause 0x4
	s_load_b32 s19, s[0:1], 0xc
	s_load_b32 s16, s[0:1], 0x1a8
	;; [unrolled: 1-line block ×3, first 2 shown]
	s_load_b64 s[2:3], s[0:1], 0x6c
	s_load_b64 s[8:9], s[0:1], 0xd8
	v_mad_u64_u32 v[2:3], null, 0xcd9e8d57, v1, 0
	s_add_u32 s17, s0, 0xd8
	s_load_b32 s15, s[4:5], 0x0
	s_load_b32 s20, s[0:1], 0x144
	s_addc_u32 s23, s1, 0
	s_load_b64 s[10:11], s[0:1], 0x0
	v_mov_b32_e32 v4, 0
                                        ; implicit-def: $sgpr26
                                        ; implicit-def: $sgpr28
                                        ; implicit-def: $sgpr27
                                        ; implicit-def: $sgpr29
                                        ; implicit-def: $sgpr31
                                        ; implicit-def: $sgpr30
                                        ; implicit-def: $sgpr33
	s_delay_alu instid0(VALU_DEP_2)
	v_mov_b32_e32 v33, v3
	s_waitcnt lgkmcnt(0)
	v_cvt_f32_u32_e32 v0, s19
	s_cmp_gt_i32 s16, 1
	s_cselect_b32 s21, -1, 0
	s_bitcmp1_b32 s6, 0
	s_delay_alu instid0(VALU_DEP_1)
	v_rcp_iflag_f32_e32 v0, v0
	s_cselect_b32 s22, -1, 0
	s_sub_i32 s4, 0, s19
	s_mul_i32 s15, s15, s14
	s_add_i32 s25, s16, 1
	s_lshl_b32 s24, s15, 2
	s_waitcnt_depctr 0xfff
	v_mul_f32_e32 v0, 0x4f7ffffe, v0
	s_delay_alu instid0(VALU_DEP_1) | instskip(NEXT) | instid1(VALU_DEP_1)
	v_cvt_u32_f32_e32 v0, v0
	v_mul_lo_u32 v5, s4, v0
	s_clause 0x1
	s_load_b64 s[12:13], s[0:1], 0x1c8
	s_load_b128 s[4:7], s[0:1], 0x1b8
	s_mov_b32 s1, 0
	s_add_i32 s0, s16, -1
	s_delay_alu instid0(SALU_CYCLE_1) | instskip(NEXT) | instid1(SALU_CYCLE_1)
	s_lshl_b64 s[14:15], s[0:1], 2
	s_add_u32 s0, s14, s17
	v_mul_hi_u32 v5, v0, v5
	s_addc_u32 s15, s15, s23
	s_add_u32 s14, s0, 8
	s_addc_u32 s15, s15, 0
                                        ; implicit-def: $sgpr23
	s_delay_alu instid0(VALU_DEP_1)
	v_add_nc_u32_e32 v34, v0, v5
	s_branch .LBB5_3
.LBB5_2:                                ;   in Loop: Header=BB5_3 Depth=1
	s_or_b32 exec_lo, exec_lo, s16
	s_delay_alu instid0(SALU_CYCLE_1) | instskip(NEXT) | instid1(SALU_CYCLE_1)
	s_and_b32 s0, exec_lo, s0
	s_or_b32 s1, s0, s1
	s_and_not1_b32 s0, s23, exec_lo
	s_and_b32 s16, s33, exec_lo
	s_and_not1_b32 s17, s27, exec_lo
	s_and_b32 s27, s30, exec_lo
	s_or_b32 s23, s0, s16
	s_or_b32 s27, s17, s27
	s_and_not1_b32 s0, s28, exec_lo
	s_and_b32 s16, s31, exec_lo
	s_and_not1_b32 s17, s26, exec_lo
	s_and_b32 s26, s29, exec_lo
	s_or_b32 s28, s0, s16
	s_or_b32 s26, s17, s26
	s_and_not1_b32 exec_lo, exec_lo, s1
	s_cbranch_execz .LBB5_69
.LBB5_3:                                ; =>This Loop Header: Depth=1
                                        ;     Child Loop BB5_8 Depth 2
                                        ;     Child Loop BB5_15 Depth 2
	;; [unrolled: 1-line block ×4, first 2 shown]
	v_sub_nc_u32_e32 v35, s18, v32
	v_mov_b32_e32 v5, 0
	s_delay_alu instid0(VALU_DEP_2)
	v_cmp_lt_i32_e32 vcc_lo, 0, v35
	s_and_saveexec_b32 s16, vcc_lo
	s_cbranch_execz .LBB5_5
; %bb.4:                                ;   in Loop: Header=BB5_3 Depth=1
	v_mul_hi_u32 v0, v32, v34
	s_delay_alu instid0(VALU_DEP_1) | instskip(SKIP_1) | instid1(VALU_DEP_2)
	v_mul_lo_u32 v3, v0, s19
	v_add_nc_u32_e32 v5, 1, v0
	v_sub_nc_u32_e32 v3, v32, v3
	s_delay_alu instid0(VALU_DEP_1) | instskip(SKIP_1) | instid1(VALU_DEP_1)
	v_subrev_nc_u32_e32 v6, s19, v3
	v_cmp_le_u32_e64 s0, s19, v3
	v_cndmask_b32_e64 v0, v0, v5, s0
	s_delay_alu instid0(VALU_DEP_3) | instskip(NEXT) | instid1(VALU_DEP_2)
	v_cndmask_b32_e64 v3, v3, v6, s0
	v_add_nc_u32_e32 v5, 1, v0
	s_delay_alu instid0(VALU_DEP_2) | instskip(NEXT) | instid1(VALU_DEP_1)
	v_cmp_le_u32_e64 s0, s19, v3
	v_cndmask_b32_e64 v3, v0, v5, s0
	s_delay_alu instid0(VALU_DEP_1) | instskip(NEXT) | instid1(VALU_DEP_1)
	v_mul_lo_u32 v0, v3, s19
	v_sub_nc_u32_e32 v0, v32, v0
	s_delay_alu instid0(VALU_DEP_1) | instskip(NEXT) | instid1(VALU_DEP_1)
	v_mul_lo_u32 v0, v0, s3
	v_mad_u64_u32 v[5:6], null, v3, s2, v[0:1]
.LBB5_5:                                ;   in Loop: Header=BB5_3 Depth=1
	s_or_b32 exec_lo, exec_lo, s16
	v_mov_b32_e32 v6, 0
	s_and_saveexec_b32 s0, vcc_lo
	s_cbranch_execz .LBB5_10
; %bb.6:                                ;   in Loop: Header=BB5_3 Depth=1
	v_dual_mov_b32 v0, 0 :: v_dual_mov_b32 v3, v32
	s_and_not1_b32 vcc_lo, exec_lo, s21
	s_cbranch_vccnz .LBB5_9
; %bb.7:                                ;   in Loop: Header=BB5_3 Depth=1
	v_dual_mov_b32 v0, 0 :: v_dual_mov_b32 v3, v32
	s_mov_b64 s[16:17], s[14:15]
	s_mov_b32 s34, s25
	s_set_inst_prefetch_distance 0x1
	.p2align	6
.LBB5_8:                                ;   Parent Loop BB5_3 Depth=1
                                        ; =>  This Inner Loop Header: Depth=2
	s_clause 0x1
	s_load_b32 s35, s[16:17], 0x0
	s_load_b32 s36, s[16:17], 0x64
	s_add_i32 s34, s34, -1
	s_waitcnt lgkmcnt(0)
	v_cvt_f32_u32_e32 v6, s35
	s_sub_i32 s37, 0, s35
	s_add_u32 s16, s16, -4
	s_addc_u32 s17, s17, -1
	s_cmp_gt_u32 s34, 2
	v_rcp_iflag_f32_e32 v6, v6
	s_waitcnt_depctr 0xfff
	v_mul_f32_e32 v6, 0x4f7ffffe, v6
	s_delay_alu instid0(VALU_DEP_1) | instskip(NEXT) | instid1(VALU_DEP_1)
	v_cvt_u32_f32_e32 v6, v6
	v_mul_lo_u32 v7, s37, v6
	s_delay_alu instid0(VALU_DEP_1) | instskip(NEXT) | instid1(VALU_DEP_1)
	v_mul_hi_u32 v7, v6, v7
	v_dual_mov_b32 v8, v3 :: v_dual_add_nc_u32 v3, v6, v7
	s_delay_alu instid0(VALU_DEP_1) | instskip(NEXT) | instid1(VALU_DEP_1)
	v_mul_hi_u32 v3, v8, v3
	v_mul_lo_u32 v6, v3, s35
	v_add_nc_u32_e32 v7, 1, v3
	s_delay_alu instid0(VALU_DEP_2) | instskip(NEXT) | instid1(VALU_DEP_1)
	v_sub_nc_u32_e32 v6, v8, v6
	v_subrev_nc_u32_e32 v9, s35, v6
	v_cmp_le_u32_e32 vcc_lo, s35, v6
	s_delay_alu instid0(VALU_DEP_2) | instskip(NEXT) | instid1(VALU_DEP_1)
	v_dual_cndmask_b32 v3, v3, v7 :: v_dual_cndmask_b32 v6, v6, v9
	v_add_nc_u32_e32 v7, 1, v3
	s_delay_alu instid0(VALU_DEP_2) | instskip(NEXT) | instid1(VALU_DEP_2)
	v_cmp_le_u32_e32 vcc_lo, s35, v6
	v_cndmask_b32_e32 v3, v3, v7, vcc_lo
	s_delay_alu instid0(VALU_DEP_1) | instskip(NEXT) | instid1(VALU_DEP_1)
	v_mul_lo_u32 v6, v3, s35
	v_sub_nc_u32_e32 v8, v8, v6
	s_delay_alu instid0(VALU_DEP_1) | instskip(NEXT) | instid1(VALU_DEP_1)
	v_mad_u64_u32 v[6:7], null, s36, v8, v[0:1]
	v_mov_b32_e32 v0, v6
	s_cbranch_scc1 .LBB5_8
.LBB5_9:                                ;   in Loop: Header=BB5_3 Depth=1
	s_set_inst_prefetch_distance 0x2
	s_delay_alu instid0(VALU_DEP_1)
	v_mad_u64_u32 v[6:7], null, s20, v3, v[0:1]
.LBB5_10:                               ;   in Loop: Header=BB5_3 Depth=1
	s_or_b32 exec_lo, exec_lo, s0
	v_or_b32_e32 v9, 1, v32
	v_cmp_lt_i32_e32 vcc_lo, 1, v35
	v_mov_b32_e32 v3, 0
	v_mov_b32_e32 v7, 0
	s_and_saveexec_b32 s16, vcc_lo
	s_cbranch_execz .LBB5_12
; %bb.11:                               ;   in Loop: Header=BB5_3 Depth=1
	v_mul_hi_u32 v0, v9, v34
	s_delay_alu instid0(VALU_DEP_1) | instskip(SKIP_1) | instid1(VALU_DEP_2)
	v_mul_lo_u32 v7, v0, s19
	v_add_nc_u32_e32 v8, 1, v0
	v_sub_nc_u32_e32 v7, v9, v7
	s_delay_alu instid0(VALU_DEP_1) | instskip(SKIP_1) | instid1(VALU_DEP_1)
	v_subrev_nc_u32_e32 v10, s19, v7
	v_cmp_le_u32_e64 s0, s19, v7
	v_cndmask_b32_e64 v0, v0, v8, s0
	s_delay_alu instid0(VALU_DEP_3) | instskip(NEXT) | instid1(VALU_DEP_2)
	v_cndmask_b32_e64 v7, v7, v10, s0
	v_add_nc_u32_e32 v8, 1, v0
	s_delay_alu instid0(VALU_DEP_2) | instskip(NEXT) | instid1(VALU_DEP_1)
	v_cmp_le_u32_e64 s0, s19, v7
	v_cndmask_b32_e64 v10, v0, v8, s0
	s_delay_alu instid0(VALU_DEP_1) | instskip(NEXT) | instid1(VALU_DEP_1)
	v_mul_lo_u32 v0, v10, s19
	v_sub_nc_u32_e32 v0, v9, v0
	s_delay_alu instid0(VALU_DEP_1) | instskip(NEXT) | instid1(VALU_DEP_1)
	v_mul_lo_u32 v0, v0, s3
	v_mad_u64_u32 v[7:8], null, v10, s2, v[0:1]
.LBB5_12:                               ;   in Loop: Header=BB5_3 Depth=1
	s_or_b32 exec_lo, exec_lo, s16
	s_and_saveexec_b32 s0, vcc_lo
	s_cbranch_execz .LBB5_17
; %bb.13:                               ;   in Loop: Header=BB5_3 Depth=1
	v_mov_b32_e32 v0, 0
	s_and_not1_b32 vcc_lo, exec_lo, s21
	s_cbranch_vccnz .LBB5_16
; %bb.14:                               ;   in Loop: Header=BB5_3 Depth=1
	v_mov_b32_e32 v0, 0
	s_mov_b64 s[16:17], s[14:15]
	s_mov_b32 s34, s25
	s_set_inst_prefetch_distance 0x1
	.p2align	6
.LBB5_15:                               ;   Parent Loop BB5_3 Depth=1
                                        ; =>  This Inner Loop Header: Depth=2
	s_clause 0x1
	s_load_b32 s35, s[16:17], 0x0
	s_load_b32 s36, s[16:17], 0x64
	s_add_i32 s34, s34, -1
	v_mov_b32_e32 v10, v9
	s_waitcnt lgkmcnt(0)
	v_cvt_f32_u32_e32 v3, s35
	s_sub_i32 s37, 0, s35
	s_add_u32 s16, s16, -4
	s_addc_u32 s17, s17, -1
	s_cmp_gt_u32 s34, 2
	v_rcp_iflag_f32_e32 v3, v3
	s_waitcnt_depctr 0xfff
	v_mul_f32_e32 v3, 0x4f7ffffe, v3
	s_delay_alu instid0(VALU_DEP_1) | instskip(NEXT) | instid1(VALU_DEP_1)
	v_cvt_u32_f32_e32 v3, v3
	v_mul_lo_u32 v8, s37, v3
	s_delay_alu instid0(VALU_DEP_1) | instskip(NEXT) | instid1(VALU_DEP_1)
	v_mul_hi_u32 v8, v3, v8
	v_add_nc_u32_e32 v3, v3, v8
	s_delay_alu instid0(VALU_DEP_1) | instskip(NEXT) | instid1(VALU_DEP_1)
	v_mul_hi_u32 v3, v10, v3
	v_mul_lo_u32 v8, v3, s35
	v_add_nc_u32_e32 v9, 1, v3
	s_delay_alu instid0(VALU_DEP_2) | instskip(NEXT) | instid1(VALU_DEP_1)
	v_sub_nc_u32_e32 v8, v10, v8
	v_subrev_nc_u32_e32 v11, s35, v8
	v_cmp_le_u32_e32 vcc_lo, s35, v8
	s_delay_alu instid0(VALU_DEP_2) | instskip(NEXT) | instid1(VALU_DEP_1)
	v_dual_cndmask_b32 v3, v3, v9 :: v_dual_cndmask_b32 v8, v8, v11
	v_add_nc_u32_e32 v9, 1, v3
	s_delay_alu instid0(VALU_DEP_2) | instskip(NEXT) | instid1(VALU_DEP_2)
	v_cmp_le_u32_e32 vcc_lo, s35, v8
	v_cndmask_b32_e32 v9, v3, v9, vcc_lo
	s_delay_alu instid0(VALU_DEP_1) | instskip(NEXT) | instid1(VALU_DEP_1)
	v_mul_lo_u32 v3, v9, s35
	v_sub_nc_u32_e32 v3, v10, v3
	s_delay_alu instid0(VALU_DEP_1) | instskip(NEXT) | instid1(VALU_DEP_1)
	v_mad_u64_u32 v[10:11], null, s36, v3, v[0:1]
	v_mov_b32_e32 v0, v10
	s_cbranch_scc1 .LBB5_15
.LBB5_16:                               ;   in Loop: Header=BB5_3 Depth=1
	s_set_inst_prefetch_distance 0x2
	s_delay_alu instid0(VALU_DEP_1) | instskip(NEXT) | instid1(VALU_DEP_1)
	v_mad_u64_u32 v[10:11], null, s20, v9, v[0:1]
	v_mov_b32_e32 v3, v10
.LBB5_17:                               ;   in Loop: Header=BB5_3 Depth=1
	s_or_b32 exec_lo, exec_lo, s0
	v_or_b32_e32 v11, 2, v32
	v_cmp_lt_i32_e32 vcc_lo, 2, v35
	v_mov_b32_e32 v8, 0
	s_and_saveexec_b32 s16, vcc_lo
	s_cbranch_execz .LBB5_19
; %bb.18:                               ;   in Loop: Header=BB5_3 Depth=1
	v_mul_hi_u32 v0, v11, v34
	s_delay_alu instid0(VALU_DEP_1) | instskip(SKIP_1) | instid1(VALU_DEP_2)
	v_mul_lo_u32 v8, v0, s19
	v_add_nc_u32_e32 v9, 1, v0
	v_sub_nc_u32_e32 v8, v11, v8
	s_delay_alu instid0(VALU_DEP_1) | instskip(SKIP_1) | instid1(VALU_DEP_1)
	v_subrev_nc_u32_e32 v10, s19, v8
	v_cmp_le_u32_e64 s0, s19, v8
	v_cndmask_b32_e64 v0, v0, v9, s0
	s_delay_alu instid0(VALU_DEP_3) | instskip(NEXT) | instid1(VALU_DEP_2)
	v_cndmask_b32_e64 v8, v8, v10, s0
	v_add_nc_u32_e32 v9, 1, v0
	s_delay_alu instid0(VALU_DEP_2) | instskip(NEXT) | instid1(VALU_DEP_1)
	v_cmp_le_u32_e64 s0, s19, v8
	v_cndmask_b32_e64 v10, v0, v9, s0
	s_delay_alu instid0(VALU_DEP_1) | instskip(NEXT) | instid1(VALU_DEP_1)
	v_mul_lo_u32 v0, v10, s19
	v_sub_nc_u32_e32 v0, v11, v0
	s_delay_alu instid0(VALU_DEP_1) | instskip(NEXT) | instid1(VALU_DEP_1)
	v_mul_lo_u32 v0, v0, s3
	v_mad_u64_u32 v[8:9], null, v10, s2, v[0:1]
.LBB5_19:                               ;   in Loop: Header=BB5_3 Depth=1
	s_or_b32 exec_lo, exec_lo, s16
	v_mov_b32_e32 v9, 0
	v_mov_b32_e32 v10, 0
	s_and_saveexec_b32 s0, vcc_lo
	s_cbranch_execz .LBB5_24
; %bb.20:                               ;   in Loop: Header=BB5_3 Depth=1
	v_mov_b32_e32 v0, 0
	s_and_not1_b32 vcc_lo, exec_lo, s21
	s_cbranch_vccnz .LBB5_23
; %bb.21:                               ;   in Loop: Header=BB5_3 Depth=1
	v_mov_b32_e32 v0, 0
	s_mov_b64 s[16:17], s[14:15]
	s_mov_b32 s34, s25
	s_set_inst_prefetch_distance 0x1
	.p2align	6
.LBB5_22:                               ;   Parent Loop BB5_3 Depth=1
                                        ; =>  This Inner Loop Header: Depth=2
	s_clause 0x1
	s_load_b32 s35, s[16:17], 0x0
	s_load_b32 s36, s[16:17], 0x64
	s_add_i32 s34, s34, -1
	v_mov_b32_e32 v12, v11
	s_waitcnt lgkmcnt(0)
	v_cvt_f32_u32_e32 v9, s35
	s_sub_i32 s37, 0, s35
	s_add_u32 s16, s16, -4
	s_addc_u32 s17, s17, -1
	s_cmp_gt_u32 s34, 2
	v_rcp_iflag_f32_e32 v9, v9
	s_waitcnt_depctr 0xfff
	v_mul_f32_e32 v9, 0x4f7ffffe, v9
	s_delay_alu instid0(VALU_DEP_1) | instskip(NEXT) | instid1(VALU_DEP_1)
	v_cvt_u32_f32_e32 v9, v9
	v_mul_lo_u32 v10, s37, v9
	s_delay_alu instid0(VALU_DEP_1) | instskip(NEXT) | instid1(VALU_DEP_1)
	v_mul_hi_u32 v10, v9, v10
	v_add_nc_u32_e32 v9, v9, v10
	s_delay_alu instid0(VALU_DEP_1) | instskip(NEXT) | instid1(VALU_DEP_1)
	v_mul_hi_u32 v9, v12, v9
	v_mul_lo_u32 v10, v9, s35
	v_add_nc_u32_e32 v11, 1, v9
	s_delay_alu instid0(VALU_DEP_2) | instskip(NEXT) | instid1(VALU_DEP_1)
	v_sub_nc_u32_e32 v10, v12, v10
	v_subrev_nc_u32_e32 v13, s35, v10
	v_cmp_le_u32_e32 vcc_lo, s35, v10
	s_delay_alu instid0(VALU_DEP_2) | instskip(NEXT) | instid1(VALU_DEP_1)
	v_dual_cndmask_b32 v9, v9, v11 :: v_dual_cndmask_b32 v10, v10, v13
	v_add_nc_u32_e32 v11, 1, v9
	s_delay_alu instid0(VALU_DEP_2) | instskip(NEXT) | instid1(VALU_DEP_2)
	v_cmp_le_u32_e32 vcc_lo, s35, v10
	v_cndmask_b32_e32 v11, v9, v11, vcc_lo
	s_delay_alu instid0(VALU_DEP_1) | instskip(NEXT) | instid1(VALU_DEP_1)
	v_mul_lo_u32 v9, v11, s35
	v_sub_nc_u32_e32 v12, v12, v9
	s_delay_alu instid0(VALU_DEP_1) | instskip(NEXT) | instid1(VALU_DEP_1)
	v_mad_u64_u32 v[9:10], null, s36, v12, v[0:1]
	v_mov_b32_e32 v0, v9
	s_cbranch_scc1 .LBB5_22
.LBB5_23:                               ;   in Loop: Header=BB5_3 Depth=1
	s_set_inst_prefetch_distance 0x2
	s_delay_alu instid0(VALU_DEP_1)
	v_mad_u64_u32 v[9:10], null, s20, v11, v[0:1]
	v_mov_b32_e32 v10, v4
.LBB5_24:                               ;   in Loop: Header=BB5_3 Depth=1
	s_or_b32 exec_lo, exec_lo, s0
	v_mov_b32_e32 v13, 0
	v_mov_b32_e32 v14, 0
	v_or_b32_e32 v15, 3, v32
	v_cmp_lt_i32_e32 vcc_lo, 3, v35
	s_delay_alu instid0(VALU_DEP_3)
	v_dual_mov_b32 v11, v13 :: v_dual_mov_b32 v12, v14
	s_and_saveexec_b32 s16, vcc_lo
	s_cbranch_execz .LBB5_26
; %bb.25:                               ;   in Loop: Header=BB5_3 Depth=1
	v_mul_hi_u32 v0, v15, v34
	s_delay_alu instid0(VALU_DEP_1) | instskip(SKIP_1) | instid1(VALU_DEP_2)
	v_mul_lo_u32 v11, v0, s19
	v_add_nc_u32_e32 v12, 1, v0
	v_sub_nc_u32_e32 v11, v15, v11
	s_delay_alu instid0(VALU_DEP_1) | instskip(SKIP_1) | instid1(VALU_DEP_1)
	v_subrev_nc_u32_e32 v16, s19, v11
	v_cmp_le_u32_e64 s0, s19, v11
	v_cndmask_b32_e64 v0, v0, v12, s0
	s_delay_alu instid0(VALU_DEP_3) | instskip(NEXT) | instid1(VALU_DEP_2)
	v_cndmask_b32_e64 v11, v11, v16, s0
	v_add_nc_u32_e32 v12, 1, v0
	s_delay_alu instid0(VALU_DEP_2) | instskip(NEXT) | instid1(VALU_DEP_1)
	v_cmp_le_u32_e64 s0, s19, v11
	v_cndmask_b32_e64 v16, v0, v12, s0
	s_delay_alu instid0(VALU_DEP_1) | instskip(NEXT) | instid1(VALU_DEP_1)
	v_mul_lo_u32 v0, v16, s19
	v_sub_nc_u32_e32 v0, v15, v0
	s_delay_alu instid0(VALU_DEP_1) | instskip(NEXT) | instid1(VALU_DEP_1)
	v_mul_lo_u32 v0, v0, s3
	v_mad_u64_u32 v[11:12], null, v16, s2, v[0:1]
	v_mov_b32_e32 v12, v4
.LBB5_26:                               ;   in Loop: Header=BB5_3 Depth=1
	s_or_b32 exec_lo, exec_lo, s16
	s_and_saveexec_b32 s0, vcc_lo
	s_cbranch_execz .LBB5_31
; %bb.27:                               ;   in Loop: Header=BB5_3 Depth=1
	v_mov_b32_e32 v0, 0
	s_and_not1_b32 vcc_lo, exec_lo, s21
	s_cbranch_vccnz .LBB5_30
; %bb.28:                               ;   in Loop: Header=BB5_3 Depth=1
	v_mov_b32_e32 v0, 0
	s_mov_b64 s[16:17], s[14:15]
	s_mov_b32 s34, s25
	s_set_inst_prefetch_distance 0x1
	.p2align	6
.LBB5_29:                               ;   Parent Loop BB5_3 Depth=1
                                        ; =>  This Inner Loop Header: Depth=2
	s_clause 0x1
	s_load_b32 s35, s[16:17], 0x0
	s_load_b32 s36, s[16:17], 0x64
	s_add_i32 s34, s34, -1
	v_mov_b32_e32 v16, v15
	s_waitcnt lgkmcnt(0)
	v_cvt_f32_u32_e32 v13, s35
	s_sub_i32 s37, 0, s35
	s_add_u32 s16, s16, -4
	s_addc_u32 s17, s17, -1
	s_cmp_gt_u32 s34, 2
	v_rcp_iflag_f32_e32 v13, v13
	s_waitcnt_depctr 0xfff
	v_mul_f32_e32 v13, 0x4f7ffffe, v13
	s_delay_alu instid0(VALU_DEP_1) | instskip(NEXT) | instid1(VALU_DEP_1)
	v_cvt_u32_f32_e32 v13, v13
	v_mul_lo_u32 v14, s37, v13
	s_delay_alu instid0(VALU_DEP_1) | instskip(NEXT) | instid1(VALU_DEP_1)
	v_mul_hi_u32 v14, v13, v14
	v_add_nc_u32_e32 v13, v13, v14
	s_delay_alu instid0(VALU_DEP_1) | instskip(NEXT) | instid1(VALU_DEP_1)
	v_mul_hi_u32 v13, v16, v13
	v_mul_lo_u32 v14, v13, s35
	v_add_nc_u32_e32 v15, 1, v13
	s_delay_alu instid0(VALU_DEP_2) | instskip(NEXT) | instid1(VALU_DEP_1)
	v_sub_nc_u32_e32 v14, v16, v14
	v_subrev_nc_u32_e32 v17, s35, v14
	v_cmp_le_u32_e32 vcc_lo, s35, v14
	s_delay_alu instid0(VALU_DEP_2) | instskip(NEXT) | instid1(VALU_DEP_1)
	v_dual_cndmask_b32 v13, v13, v15 :: v_dual_cndmask_b32 v14, v14, v17
	v_add_nc_u32_e32 v15, 1, v13
	s_delay_alu instid0(VALU_DEP_2) | instskip(NEXT) | instid1(VALU_DEP_2)
	v_cmp_le_u32_e32 vcc_lo, s35, v14
	v_cndmask_b32_e32 v15, v13, v15, vcc_lo
	s_delay_alu instid0(VALU_DEP_1) | instskip(NEXT) | instid1(VALU_DEP_1)
	v_mul_lo_u32 v13, v15, s35
	v_sub_nc_u32_e32 v16, v16, v13
	s_delay_alu instid0(VALU_DEP_1) | instskip(NEXT) | instid1(VALU_DEP_1)
	v_mad_u64_u32 v[13:14], null, s36, v16, v[0:1]
	v_mov_b32_e32 v0, v13
	s_cbranch_scc1 .LBB5_29
.LBB5_30:                               ;   in Loop: Header=BB5_3 Depth=1
	s_set_inst_prefetch_distance 0x2
	s_delay_alu instid0(VALU_DEP_1)
	v_mad_u64_u32 v[13:14], null, s20, v15, v[0:1]
	v_mov_b32_e32 v14, v4
.LBB5_31:                               ;   in Loop: Header=BB5_3 Depth=1
	s_or_b32 exec_lo, exec_lo, s0
	s_delay_alu instid0(VALU_DEP_1) | instskip(SKIP_3) | instid1(VALU_DEP_3)
	v_lshlrev_b64 v[13:14], 3, v[13:14]
	s_waitcnt lgkmcnt(0)
	v_dual_mov_b32 v20, s7 :: v_dual_mov_b32 v19, s6
	v_dual_mov_b32 v22, s5 :: v_dual_mov_b32 v21, s4
	v_add_co_u32 v13, vcc_lo, s8, v13
	s_delay_alu instid0(VALU_DEP_4)
	v_add_co_ci_u32_e32 v14, vcc_lo, s9, v14, vcc_lo
	s_and_not1_b32 vcc_lo, exec_lo, s22
	global_load_b64 v[15:16], v[13:14], off
	s_cbranch_vccnz .LBB5_33
; %bb.32:                               ;   in Loop: Header=BB5_3 Depth=1
	v_dual_mov_b32 v14, s7 :: v_dual_mov_b32 v13, s6
	v_dual_mov_b32 v18, s5 :: v_dual_mov_b32 v17, s4
	flat_load_b64 v[13:14], v[13:14]
	flat_load_b64 v[21:22], v[17:18]
	s_waitcnt vmcnt(1) lgkmcnt(1)
	v_add_co_u32 v19, vcc_lo, v13, s12
	v_add_co_ci_u32_e32 v20, vcc_lo, s13, v14, vcc_lo
.LBB5_33:                               ;   in Loop: Header=BB5_3 Depth=1
	s_delay_alu instid0(VALU_DEP_1)
	v_alignbit_b32 v0, v20, v19, 2
	v_lshrrev_b32_e32 v17, 2, v20
	s_waitcnt vmcnt(0) lgkmcnt(0)
	v_add_nc_u32_e32 v37, 0xbb67ae85, v22
	v_add_nc_u32_e32 v38, 0x3c6ef372, v21
	;; [unrolled: 1-line block ×3, first 2 shown]
	v_add_co_u32 v18, vcc_lo, v0, 1
	s_delay_alu instid0(VALU_DEP_1) | instskip(SKIP_4) | instid1(VALU_DEP_4)
	v_cndmask_b32_e64 v13, 0, 1, vcc_lo
	v_add_co_ci_u32_e32 v20, vcc_lo, 0, v17, vcc_lo
	v_xor3_b32 v25, v33, v21, v17
	v_add_nc_u32_e32 v41, 0xed9eba14, v22
	v_add_nc_u32_e32 v42, 0x1fd5c5a3, v22
	v_cmp_eq_u32_e32 vcc_lo, 0, v20
	s_mov_b32 s0, exec_lo
	v_dual_cndmask_b32 v23, 0, v13 :: v_dual_add_nc_u32 v40, 0x32370b8f, v22
	v_mad_u64_u32 v[13:14], null, 0xd2511f53, v18, 0
	v_mad_u64_u32 v[17:18], null, 0xd2511f53, v0, 0
	s_delay_alu instid0(VALU_DEP_3) | instskip(NEXT) | instid1(VALU_DEP_3)
	v_add_nc_u32_e32 v27, v23, v1
	v_xor_b32_e32 v14, v14, v22
	s_delay_alu instid0(VALU_DEP_2) | instskip(SKIP_1) | instid1(VALU_DEP_1)
	v_cmp_eq_u32_e32 vcc_lo, 0, v27
	v_dual_cndmask_b32 v23, 0, v23 :: v_dual_add_nc_u32 v36, 0x9e3779b9, v21
	v_xor_b32_e32 v0, v23, v14
	v_mad_u64_u32 v[23:24], null, 0xd2511f53, v25, 0
	v_mad_u64_u32 v[25:26], null, 0xcd9e8d57, v27, 0
	s_delay_alu instid0(VALU_DEP_3) | instskip(SKIP_1) | instid1(VALU_DEP_4)
	v_mad_u64_u32 v[27:28], null, 0xcd9e8d57, v0, 0
	v_xor_b32_e32 v0, v18, v22
	v_xor3_b32 v14, v37, v24, v17
	s_delay_alu instid0(VALU_DEP_2) | instskip(SKIP_2) | instid1(VALU_DEP_4)
	v_mad_u64_u32 v[17:18], null, 0xcd9e8d57, v0, 0
	v_xor3_b32 v0, v26, v21, v20
	v_xor3_b32 v20, v36, v28, v25
	v_mad_u64_u32 v[24:25], null, 0xcd9e8d57, v14, 0
	s_delay_alu instid0(VALU_DEP_3) | instskip(NEXT) | instid1(VALU_DEP_3)
	v_mad_u64_u32 v[28:29], null, 0xd2511f53, v0, 0
	v_mad_u64_u32 v[30:31], null, 0xd2511f53, v20, 0
	v_xor3_b32 v0, v2, v18, v36
	s_delay_alu instid0(VALU_DEP_4) | instskip(SKIP_1) | instid1(VALU_DEP_3)
	v_xor3_b32 v25, v38, v25, v17
	v_add_nc_u32_e32 v20, 0xdaa66d2b, v21
	v_mad_u64_u32 v[17:18], null, 0xd2511f53, v0, 0
	v_xor3_b32 v0, v37, v29, v13
	v_xor3_b32 v31, v39, v31, v28
	v_mad_u64_u32 v[13:14], null, 0xd2511f53, v25, 0
	s_delay_alu instid0(VALU_DEP_3) | instskip(NEXT) | instid1(VALU_DEP_3)
	v_mad_u64_u32 v[25:26], null, 0xcd9e8d57, v0, 0
	v_mad_u64_u32 v[28:29], null, 0xcd9e8d57, v31, 0
	v_xor3_b32 v0, v39, v18, v23
	s_delay_alu instid0(VALU_DEP_4) | instskip(SKIP_1) | instid1(VALU_DEP_3)
	v_xor3_b32 v14, v40, v14, v17
	v_add_nc_u32_e32 v31, 0x78dde6e4, v21
	v_mad_u64_u32 v[17:18], null, 0xcd9e8d57, v0, 0
	v_xor3_b32 v0, v38, v26, v27
	v_xor3_b32 v23, v20, v29, v25
	v_mad_u64_u32 v[25:26], null, 0xcd9e8d57, v14, 0
	v_add_nc_u32_e32 v27, 0xa9066899, v22
	s_delay_alu instid0(VALU_DEP_4) | instskip(NEXT) | instid1(VALU_DEP_4)
	v_mad_u64_u32 v[36:37], null, 0xd2511f53, v0, 0
	v_mad_u64_u32 v[38:39], null, 0xd2511f53, v23, 0
	v_xor3_b32 v0, v20, v18, v24
	v_xor3_b32 v14, v31, v26, v17
	v_add_nc_u32_e32 v20, 0x1715609d, v21
	s_delay_alu instid0(VALU_DEP_3) | instskip(SKIP_4) | instid1(VALU_DEP_4)
	v_mad_u64_u32 v[17:18], null, 0xd2511f53, v0, 0
	v_xor3_b32 v0, v40, v37, v30
	v_xor3_b32 v26, v41, v39, v36
	v_mad_u64_u32 v[29:30], null, 0xd2511f53, v14, 0
	v_add_nc_u32_e32 v37, 0xb54cda56, v21
	v_mad_u64_u32 v[23:24], null, 0xcd9e8d57, v0, 0
	s_delay_alu instid0(VALU_DEP_4) | instskip(SKIP_3) | instid1(VALU_DEP_3)
	v_mad_u64_u32 v[39:40], null, 0xcd9e8d57, v26, 0
	v_xor3_b32 v0, v41, v18, v13
	v_xor3_b32 v26, v27, v30, v17
	v_add_nc_u32_e32 v36, 0x646e171e, v22
	v_mad_u64_u32 v[13:14], null, 0xcd9e8d57, v0, 0
	v_xor3_b32 v0, v31, v24, v28
	v_xor3_b32 v28, v20, v40, v23
	v_mad_u64_u32 v[17:18], null, 0xcd9e8d57, v26, 0
	s_delay_alu instid0(VALU_DEP_3) | instskip(NEXT) | instid1(VALU_DEP_3)
	v_mad_u64_u32 v[23:24], null, 0xd2511f53, v0, 0
	v_mad_u64_u32 v[40:41], null, 0xd2511f53, v28, 0
	v_xor3_b32 v0, v20, v14, v25
	s_delay_alu instid0(VALU_DEP_4) | instskip(SKIP_1) | instid1(VALU_DEP_3)
	v_xor3_b32 v18, v37, v18, v13
	v_add_nc_u32_e32 v20, 0x5384540f, v21
	v_mad_u64_u32 v[13:14], null, 0xd2511f53, v0, 0
	v_xor3_b32 v0, v27, v24, v38
	v_xor3_b32 v25, v36, v41, v23
	v_mad_u64_u32 v[23:24], null, 0xd2511f53, v18, 0
	s_delay_alu instid0(VALU_DEP_3) | instskip(NEXT) | instid1(VALU_DEP_3)
	v_mad_u64_u32 v[30:31], null, 0xcd9e8d57, v0, 0
	v_mad_u64_u32 v[26:27], null, 0xcd9e8d57, v25, 0
	v_xor3_b32 v0, v36, v14, v29
	s_delay_alu instid0(VALU_DEP_4) | instskip(SKIP_1) | instid1(VALU_DEP_3)
	v_xor3_b32 v18, v42, v24, v13
	v_add_co_u32 v36, null, 0xf1bbcdc8, v21
	v_mad_u64_u32 v[13:14], null, 0xcd9e8d57, v0, 0
	v_xor3_b32 v0, v37, v31, v39
	v_xor3_b32 v27, v20, v27, v30
	v_mad_u64_u32 v[24:25], null, 0xcd9e8d57, v18, 0
	v_add_nc_u32_e32 v37, 0xdb3d7428, v22
	s_delay_alu instid0(VALU_DEP_4) | instskip(NEXT) | instid1(VALU_DEP_4)
	v_mad_u64_u32 v[38:39], null, 0xd2511f53, v0, 0
	v_mad_u64_u32 v[29:30], null, 0xd2511f53, v27, 0
	v_xor3_b32 v0, v20, v14, v17
	v_xor3_b32 v17, v36, v25, v13
	v_add_nc_u32_e32 v25, 0x96a522ad, v22
	v_add_nc_u32_e32 v22, 0x8ff34781, v21
	v_and_b32_e32 v21, 3, v19
	v_mad_u64_u32 v[27:28], null, 0xd2511f53, v0, 0
	v_xor3_b32 v0, v42, v39, v40
	v_xor3_b32 v20, v37, v30, v38
	v_mad_u64_u32 v[13:14], null, 0xd2511f53, v17, 0
	s_delay_alu instid0(VALU_DEP_3) | instskip(NEXT) | instid1(VALU_DEP_3)
	v_mad_u64_u32 v[30:31], null, 0xcd9e8d57, v0, 0
	v_mad_u64_u32 v[17:18], null, 0xcd9e8d57, v20, 0
                                        ; implicit-def: $vgpr20
	s_delay_alu instid0(VALU_DEP_3) | instskip(NEXT) | instid1(VALU_DEP_2)
	v_xor3_b32 v14, v14, v27, v25
	v_xor3_b32 v0, v18, v30, v22
	v_cmpx_lt_i32_e32 1, v21
	s_xor_b32 s0, exec_lo, s0
	s_cbranch_execz .LBB5_39
; %bb.34:                               ;   in Loop: Header=BB5_3 Depth=1
	s_mov_b32 s16, exec_lo
                                        ; implicit-def: $vgpr20
	v_cmpx_lt_i32_e32 2, v21
	s_xor_b32 s16, exec_lo, s16
; %bb.35:                               ;   in Loop: Header=BB5_3 Depth=1
	v_xor3_b32 v14, v36, v31, v26
	s_delay_alu instid0(VALU_DEP_1) | instskip(NEXT) | instid1(VALU_DEP_1)
	v_mul_hi_u32 v14, 0xd2511f53, v14
	v_xor3_b32 v20, v14, v29, v25
                                        ; implicit-def: $vgpr14
; %bb.36:                               ;   in Loop: Header=BB5_3 Depth=1
	s_and_not1_saveexec_b32 s16, s16
; %bb.37:                               ;   in Loop: Header=BB5_3 Depth=1
	v_dual_mov_b32 v20, v17 :: v_dual_mov_b32 v17, v0
	v_dual_mov_b32 v0, v13 :: v_dual_mov_b32 v13, v14
; %bb.38:                               ;   in Loop: Header=BB5_3 Depth=1
	s_or_b32 exec_lo, exec_lo, s16
                                        ; implicit-def: $vgpr23_vgpr24
                                        ; implicit-def: $vgpr21
                                        ; implicit-def: $vgpr14
                                        ; implicit-def: $vgpr37
                                        ; implicit-def: $vgpr27_vgpr28
                                        ; implicit-def: $vgpr22
                                        ; implicit-def: $vgpr24_vgpr25
.LBB5_39:                               ;   in Loop: Header=BB5_3 Depth=1
	s_and_not1_saveexec_b32 s0, s0
	s_cbranch_execz .LBB5_43
; %bb.40:                               ;   in Loop: Header=BB5_3 Depth=1
	v_xor3_b32 v17, v37, v28, v23
	v_cmp_eq_u32_e32 vcc_lo, 1, v21
	v_mov_b32_e32 v20, v13
	s_delay_alu instid0(VALU_DEP_3) | instskip(SKIP_1) | instid1(VALU_DEP_2)
	v_mad_u64_u32 v[18:19], null, 0xcd9e8d57, v17, 0
	v_mov_b32_e32 v17, v14
	v_xor3_b32 v21, v19, v24, v22
	s_delay_alu instid0(VALU_DEP_3)
	v_mov_b32_e32 v19, v18
	s_and_saveexec_b32 s16, vcc_lo
; %bb.41:                               ;   in Loop: Header=BB5_3 Depth=1
	v_dual_mov_b32 v20, v0 :: v_dual_mov_b32 v17, v13
	v_mov_b32_e32 v19, v14
	v_mov_b32_e32 v21, v18
; %bb.42:                               ;   in Loop: Header=BB5_3 Depth=1
	s_or_b32 exec_lo, exec_lo, s16
	s_delay_alu instid0(VALU_DEP_1)
	v_dual_mov_b32 v13, v21 :: v_dual_mov_b32 v0, v19
.LBB5_43:                               ;   in Loop: Header=BB5_3 Depth=1
	s_or_b32 exec_lo, exec_lo, s0
	v_min_i32_e32 v14, 4, v35
	s_mov_b32 s16, 0
	s_mov_b32 s39, 0
	;; [unrolled: 1-line block ×3, first 2 shown]
                                        ; implicit-def: $sgpr34
                                        ; implicit-def: $sgpr35
                                        ; implicit-def: $sgpr36
	s_mov_b32 s0, exec_lo
	v_cmpx_lt_i32_e32 2, v14
	s_xor_b32 s37, exec_lo, s0
	s_cbranch_execz .LBB5_55
; %bb.44:                               ;   in Loop: Header=BB5_3 Depth=1
	s_mov_b32 s0, -1
	s_mov_b32 s38, 0
	s_mov_b32 s35, exec_lo
                                        ; implicit-def: $sgpr17
                                        ; implicit-def: $sgpr34
	v_cmpx_lt_i32_e32 3, v14
	s_cbranch_execz .LBB5_50
; %bb.45:                               ;   in Loop: Header=BB5_3 Depth=1
	s_mov_b32 s0, 0
	s_mov_b32 s39, -1
	s_mov_b32 s36, exec_lo
                                        ; implicit-def: $sgpr17
                                        ; implicit-def: $sgpr34
	v_cmpx_eq_u32_e32 4, v14
	s_cbranch_execz .LBB5_49
; %bb.46:                               ;   in Loop: Header=BB5_3 Depth=1
	v_cmp_le_f64_e32 vcc_lo, 0, v[15:16]
	v_cmp_ge_f64_e64 s0, 1.0, v[15:16]
	s_mov_b32 s17, 0
	s_delay_alu instid0(VALU_DEP_1)
	s_and_b32 s39, vcc_lo, s0
	s_mov_b32 s0, 0
	s_and_saveexec_b32 s34, s39
	s_cbranch_execz .LBB5_48
; %bb.47:                               ;   in Loop: Header=BB5_3 Depth=1
	v_cvt_f32_u32_e32 v18, v20
	v_lshlrev_b64 v[11:12], 3, v[11:12]
	s_mov_b32 s0, exec_lo
	s_delay_alu instid0(VALU_DEP_2) | instskip(NEXT) | instid1(VALU_DEP_2)
	v_fmaak_f32 v18, 0x2f800000, v18, 0x2f800000
	v_add_co_u32 v11, vcc_lo, s10, v11
	s_delay_alu instid0(VALU_DEP_3) | instskip(NEXT) | instid1(VALU_DEP_3)
	v_add_co_ci_u32_e32 v12, vcc_lo, s11, v12, vcc_lo
	v_cvt_f64_f32_e32 v[18:19], v18
	s_delay_alu instid0(VALU_DEP_1)
	v_cmp_ge_f64_e32 vcc_lo, v[15:16], v[18:19]
	v_mov_b32_e32 v15, v4
	v_cndmask_b32_e64 v16, 0, 0x3ff00000, vcc_lo
	global_store_b64 v[11:12], v[15:16], off
.LBB5_48:                               ;   in Loop: Header=BB5_3 Depth=1
	s_or_b32 exec_lo, exec_lo, s34
	s_mov_b32 s34, -1
	s_xor_b32 s39, exec_lo, -1
	s_and_b32 s0, s0, exec_lo
.LBB5_49:                               ;   in Loop: Header=BB5_3 Depth=1
	s_or_b32 exec_lo, exec_lo, s36
	s_delay_alu instid0(SALU_CYCLE_1)
	s_and_b32 s39, s39, exec_lo
	s_or_not1_b32 s0, s0, exec_lo
.LBB5_50:                               ;   in Loop: Header=BB5_3 Depth=1
	s_or_b32 exec_lo, exec_lo, s35
	s_mov_b32 s36, s17
	s_and_saveexec_b32 s35, s0
	s_cbranch_execz .LBB5_54
; %bb.51:                               ;   in Loop: Header=BB5_3 Depth=1
	v_lshlrev_b64 v[9:10], 3, v[9:10]
	s_delay_alu instid0(VALU_DEP_1) | instskip(NEXT) | instid1(VALU_DEP_2)
	v_add_co_u32 v9, vcc_lo, s8, v9
	v_add_co_ci_u32_e32 v10, vcc_lo, s9, v10, vcc_lo
	global_load_b64 v[10:11], v[9:10], off
	s_waitcnt vmcnt(0)
	v_cmp_le_f64_e32 vcc_lo, 0, v[10:11]
	v_cmp_ge_f64_e64 s0, 1.0, v[10:11]
	s_delay_alu instid0(VALU_DEP_1) | instskip(SKIP_2) | instid1(SALU_CYCLE_1)
	s_and_b32 s36, vcc_lo, s0
	s_mov_b32 s0, 0
	s_and_saveexec_b32 s38, s36
	s_xor_b32 s36, exec_lo, s38
	s_cbranch_execz .LBB5_53
; %bb.52:                               ;   in Loop: Header=BB5_3 Depth=1
	v_cvt_f32_u32_e32 v9, v17
	s_mov_b32 s0, exec_lo
	s_delay_alu instid0(VALU_DEP_1) | instskip(NEXT) | instid1(VALU_DEP_1)
	v_fmaak_f32 v9, 0x2f800000, v9, 0x2f800000
	v_cvt_f64_f32_e32 v[15:16], v9
	v_mov_b32_e32 v9, v4
	s_delay_alu instid0(VALU_DEP_1) | instskip(NEXT) | instid1(VALU_DEP_1)
	v_lshlrev_b64 v[8:9], 3, v[8:9]
	v_add_co_u32 v8, vcc_lo, s10, v8
	s_delay_alu instid0(VALU_DEP_2)
	v_add_co_ci_u32_e32 v9, vcc_lo, s11, v9, vcc_lo
	v_cmp_ge_f64_e32 vcc_lo, v[10:11], v[15:16]
	v_mov_b32_e32 v10, v4
	v_cndmask_b32_e64 v11, 0, 0x3ff00000, vcc_lo
	global_store_b64 v[8:9], v[10:11], off
.LBB5_53:                               ;   in Loop: Header=BB5_3 Depth=1
	s_or_b32 exec_lo, exec_lo, s36
	s_delay_alu instid0(SALU_CYCLE_1)
	s_and_not1_b32 s36, s17, exec_lo
	s_or_b32 s17, s17, exec_lo
	s_and_not1_b32 s34, s34, exec_lo
	s_and_b32 s38, s0, exec_lo
.LBB5_54:                               ;   in Loop: Header=BB5_3 Depth=1
	s_or_b32 exec_lo, exec_lo, s35
	s_delay_alu instid0(SALU_CYCLE_1)
	s_and_b32 s36, s36, exec_lo
	s_and_b32 s35, s17, exec_lo
	;; [unrolled: 1-line block ×5, first 2 shown]
.LBB5_55:                               ;   in Loop: Header=BB5_3 Depth=1
	s_and_not1_saveexec_b32 s0, s37
; %bb.56:                               ;   in Loop: Header=BB5_3 Depth=1
	v_cmp_lt_i32_e32 vcc_lo, 1, v14
	s_and_not1_b32 s37, s39, exec_lo
	s_mov_b32 s16, exec_lo
	s_and_not1_b32 s36, s36, exec_lo
	s_and_not1_b32 s35, s35, exec_lo
	s_and_b32 s38, vcc_lo, exec_lo
	s_and_not1_b32 s34, s34, exec_lo
	s_or_b32 s39, s37, s38
; %bb.57:                               ;   in Loop: Header=BB5_3 Depth=1
	s_or_b32 exec_lo, exec_lo, s0
	s_mov_b32 s0, 0
	s_mov_b32 s37, s36
	s_and_saveexec_b32 s38, s39
	s_cbranch_execnz .LBB5_60
; %bb.58:                               ;   in Loop: Header=BB5_3 Depth=1
	s_or_b32 exec_lo, exec_lo, s38
	s_and_saveexec_b32 s38, s16
	s_cbranch_execnz .LBB5_63
.LBB5_59:                               ;   in Loop: Header=BB5_3 Depth=1
	s_or_b32 exec_lo, exec_lo, s38
	s_and_saveexec_b32 s16, s0
	s_cbranch_execnz .LBB5_64
	s_branch .LBB5_67
.LBB5_60:                               ;   in Loop: Header=BB5_3 Depth=1
	v_lshlrev_b64 v[8:9], 3, v[3:4]
	s_mov_b32 s39, 0
	s_delay_alu instid0(VALU_DEP_1) | instskip(NEXT) | instid1(VALU_DEP_2)
	v_add_co_u32 v8, vcc_lo, s8, v8
	v_add_co_ci_u32_e32 v9, vcc_lo, s9, v9, vcc_lo
	global_load_b64 v[9:10], v[8:9], off
	s_waitcnt vmcnt(0)
	v_cmp_le_f64_e32 vcc_lo, 0, v[9:10]
	v_cmp_ge_f64_e64 s0, 1.0, v[9:10]
	s_delay_alu instid0(VALU_DEP_1) | instskip(NEXT) | instid1(SALU_CYCLE_1)
	s_and_b32 s0, vcc_lo, s0
	s_and_saveexec_b32 s37, s0
	s_delay_alu instid0(SALU_CYCLE_1)
	s_xor_b32 s0, exec_lo, s37
	s_cbranch_execz .LBB5_62
; %bb.61:                               ;   in Loop: Header=BB5_3 Depth=1
	v_cvt_f32_u32_e32 v0, v0
	v_mov_b32_e32 v8, v4
	s_mov_b32 s39, exec_lo
	s_delay_alu instid0(VALU_DEP_2) | instskip(NEXT) | instid1(VALU_DEP_2)
	v_fmaak_f32 v0, 0x2f800000, v0, 0x2f800000
	v_lshlrev_b64 v[7:8], 3, v[7:8]
	s_delay_alu instid0(VALU_DEP_2) | instskip(NEXT) | instid1(VALU_DEP_2)
	v_cvt_f64_f32_e32 v[11:12], v0
	v_add_co_u32 v7, vcc_lo, s10, v7
	s_delay_alu instid0(VALU_DEP_3) | instskip(NEXT) | instid1(VALU_DEP_3)
	v_add_co_ci_u32_e32 v8, vcc_lo, s11, v8, vcc_lo
	v_cmp_ge_f64_e32 vcc_lo, v[9:10], v[11:12]
	v_mov_b32_e32 v9, v4
	v_cndmask_b32_e64 v10, 0, 0x3ff00000, vcc_lo
	global_store_b64 v[7:8], v[9:10], off
.LBB5_62:                               ;   in Loop: Header=BB5_3 Depth=1
	s_or_b32 exec_lo, exec_lo, s0
	s_delay_alu instid0(SALU_CYCLE_1)
	s_and_not1_b32 s37, s36, exec_lo
	s_or_b32 s36, s36, exec_lo
	s_and_not1_b32 s35, s35, exec_lo
	s_and_not1_b32 s34, s34, exec_lo
	s_and_b32 s0, s39, exec_lo
	s_and_not1_b32 s16, s16, exec_lo
	s_or_b32 exec_lo, exec_lo, s38
	s_and_saveexec_b32 s38, s16
	s_cbranch_execz .LBB5_59
.LBB5_63:                               ;   in Loop: Header=BB5_3 Depth=1
	v_cmp_eq_u32_e32 vcc_lo, 1, v14
	s_and_not1_b32 s0, s0, exec_lo
	s_and_not1_b32 s37, s37, exec_lo
	;; [unrolled: 1-line block ×4, first 2 shown]
	s_and_b32 s16, vcc_lo, exec_lo
	s_and_not1_b32 s34, s34, exec_lo
	s_or_b32 s17, s17, exec_lo
	s_or_b32 s0, s0, s16
	s_or_b32 exec_lo, exec_lo, s38
	s_and_saveexec_b32 s16, s0
	s_cbranch_execz .LBB5_67
.LBB5_64:                               ;   in Loop: Header=BB5_3 Depth=1
	v_mov_b32_e32 v7, v4
	s_mov_b32 s38, 0
	s_delay_alu instid0(VALU_DEP_1) | instskip(NEXT) | instid1(VALU_DEP_1)
	v_lshlrev_b64 v[6:7], 3, v[6:7]
	v_add_co_u32 v6, vcc_lo, s8, v6
	s_delay_alu instid0(VALU_DEP_2) | instskip(SKIP_4) | instid1(VALU_DEP_1)
	v_add_co_ci_u32_e32 v7, vcc_lo, s9, v7, vcc_lo
	global_load_b64 v[7:8], v[6:7], off
	s_waitcnt vmcnt(0)
	v_cmp_le_f64_e32 vcc_lo, 0, v[7:8]
	v_cmp_ge_f64_e64 s0, 1.0, v[7:8]
	s_and_b32 s39, vcc_lo, s0
	s_delay_alu instid0(SALU_CYCLE_1)
	s_and_saveexec_b32 s0, s39
	s_cbranch_execz .LBB5_66
; %bb.65:                               ;   in Loop: Header=BB5_3 Depth=1
	v_cvt_f32_u32_e32 v0, v13
	v_mov_b32_e32 v6, v4
	s_mov_b32 s38, exec_lo
	s_delay_alu instid0(VALU_DEP_2) | instskip(NEXT) | instid1(VALU_DEP_2)
	v_fmaak_f32 v0, 0x2f800000, v0, 0x2f800000
	v_lshlrev_b64 v[5:6], 3, v[5:6]
	s_delay_alu instid0(VALU_DEP_2) | instskip(NEXT) | instid1(VALU_DEP_2)
	v_cvt_f64_f32_e32 v[9:10], v0
	v_add_co_u32 v5, vcc_lo, s10, v5
	s_delay_alu instid0(VALU_DEP_3) | instskip(NEXT) | instid1(VALU_DEP_3)
	v_add_co_ci_u32_e32 v6, vcc_lo, s11, v6, vcc_lo
	v_cmp_ge_f64_e32 vcc_lo, v[7:8], v[9:10]
	v_mov_b32_e32 v7, v4
	v_cndmask_b32_e64 v8, 0, 0x3ff00000, vcc_lo
	global_store_b64 v[5:6], v[7:8], off
.LBB5_66:                               ;   in Loop: Header=BB5_3 Depth=1
	s_or_b32 exec_lo, exec_lo, s0
	s_delay_alu instid0(SALU_CYCLE_1)
	s_and_not1_b32 s0, s17, exec_lo
	s_and_b32 s17, s38, exec_lo
	s_or_b32 s37, s37, exec_lo
	s_and_not1_b32 s36, s36, exec_lo
	s_and_not1_b32 s35, s35, exec_lo
	;; [unrolled: 1-line block ×3, first 2 shown]
	s_or_b32 s17, s0, s17
.LBB5_67:                               ;   in Loop: Header=BB5_3 Depth=1
	s_or_b32 exec_lo, exec_lo, s16
	s_delay_alu instid0(SALU_CYCLE_1)
	s_and_not1_b32 s16, s33, exec_lo
	s_and_b32 s33, s37, exec_lo
	s_and_not1_b32 s30, s30, exec_lo
	s_and_b32 s36, s36, exec_lo
	s_or_b32 s33, s16, s33
	s_and_not1_b32 s16, s31, exec_lo
	s_and_b32 s31, s35, exec_lo
	s_and_not1_b32 s29, s29, exec_lo
	s_and_b32 s34, s34, exec_lo
	s_mov_b32 s0, -1
	s_or_b32 s30, s30, s36
	s_or_b32 s31, s16, s31
	;; [unrolled: 1-line block ×3, first 2 shown]
	s_and_saveexec_b32 s16, s17
	s_cbranch_execz .LBB5_2
; %bb.68:                               ;   in Loop: Header=BB5_3 Depth=1
	v_add_nc_u32_e32 v32, s24, v32
	s_and_not1_b32 s33, s33, exec_lo
	s_and_not1_b32 s30, s30, exec_lo
	;; [unrolled: 1-line block ×4, first 2 shown]
	v_cmp_le_u32_e32 vcc_lo, s18, v32
	s_or_not1_b32 s0, vcc_lo, exec_lo
	s_branch .LBB5_2
.LBB5_69:
	s_or_b32 exec_lo, exec_lo, s1
	s_xor_b32 s3, s27, -1
	s_xor_b32 s4, s28, -1
	s_xor_b32 s0, s26, -1
	s_mov_b32 s1, 0
	s_and_saveexec_b32 s2, s0
	s_delay_alu instid0(SALU_CYCLE_1)
	s_xor_b32 s0, exec_lo, s2
	s_cbranch_execz .LBB5_78
; %bb.70:
	s_mov_b32 s2, 0
	s_and_saveexec_b32 s1, s4
	s_delay_alu instid0(SALU_CYCLE_1)
	s_xor_b32 s1, exec_lo, s1
	s_cbranch_execz .LBB5_76
; %bb.71:
	s_and_saveexec_b32 s4, s3
	s_delay_alu instid0(SALU_CYCLE_1)
	s_xor_b32 s3, exec_lo, s4
	s_cbranch_execz .LBB5_74
; %bb.72:
	s_and_saveexec_b32 s4, s23
	s_delay_alu instid0(SALU_CYCLE_1)
	s_xor_b32 s4, exec_lo, s4
	s_cbranch_execnz .LBB5_92
.LBB5_73:
	s_or_b32 exec_lo, exec_lo, s4
	s_delay_alu instid0(SALU_CYCLE_1)
	s_and_b32 s2, s2, exec_lo
.LBB5_74:
	s_and_not1_saveexec_b32 s3, s3
	s_cbranch_execnz .LBB5_88
.LBB5_75:
	s_or_b32 exec_lo, exec_lo, s3
	s_delay_alu instid0(SALU_CYCLE_1)
	s_and_b32 s2, s2, exec_lo
.LBB5_76:
	s_and_not1_saveexec_b32 s1, s1
	s_cbranch_execnz .LBB5_84
.LBB5_77:
	s_or_b32 exec_lo, exec_lo, s1
	s_delay_alu instid0(SALU_CYCLE_1)
	s_and_b32 s1, s2, exec_lo
.LBB5_78:
	s_and_not1_saveexec_b32 s0, s0
	s_cbranch_execnz .LBB5_82
; %bb.79:
	s_or_b32 exec_lo, exec_lo, s0
	s_delay_alu instid0(SALU_CYCLE_1)
	s_and_b32 exec_lo, exec_lo, s1
.LBB5_80:
	; divergent unreachable
.LBB5_81:
	s_nop 0
	s_sendmsg sendmsg(MSG_DEALLOC_VGPRS)
	s_endpgm
.LBB5_82:
	s_cbranch_execnz .LBB5_86
; %bb.83:
	s_or_b32 s1, s1, exec_lo
	s_or_b32 exec_lo, exec_lo, s0
	s_delay_alu instid0(SALU_CYCLE_1)
	s_and_b32 exec_lo, exec_lo, s1
	s_cbranch_execnz .LBB5_80
	s_branch .LBB5_81
.LBB5_84:
	s_cbranch_execnz .LBB5_90
; %bb.85:
	s_or_b32 s2, s2, exec_lo
	s_branch .LBB5_77
.LBB5_86:
	s_trap 2
	s_sendmsg_rtn_b32 s0, sendmsg(MSG_RTN_GET_DOORBELL)
	s_mov_b32 ttmp2, m0
	s_waitcnt lgkmcnt(0)
	s_and_b32 s0, s0, 0x3ff
	s_delay_alu instid0(SALU_CYCLE_1) | instskip(NEXT) | instid1(SALU_CYCLE_1)
	s_bitset1_b32 s0, 10
	s_mov_b32 m0, s0
	s_sendmsg sendmsg(MSG_INTERRUPT)
	s_mov_b32 m0, ttmp2
.LBB5_87:                               ; =>This Inner Loop Header: Depth=1
	s_sethalt 5
	s_branch .LBB5_87
.LBB5_88:
	s_cbranch_execnz .LBB5_94
; %bb.89:
	s_or_b32 s2, s2, exec_lo
	s_branch .LBB5_75
.LBB5_90:
	s_trap 2
	s_sendmsg_rtn_b32 s0, sendmsg(MSG_RTN_GET_DOORBELL)
	s_mov_b32 ttmp2, m0
	s_waitcnt lgkmcnt(0)
	s_and_b32 s0, s0, 0x3ff
	s_delay_alu instid0(SALU_CYCLE_1) | instskip(NEXT) | instid1(SALU_CYCLE_1)
	s_bitset1_b32 s0, 10
	s_mov_b32 m0, s0
	s_sendmsg sendmsg(MSG_INTERRUPT)
	s_mov_b32 m0, ttmp2
.LBB5_91:                               ; =>This Inner Loop Header: Depth=1
	s_sethalt 5
	s_branch .LBB5_91
.LBB5_92:
	s_cbranch_execnz .LBB5_96
; %bb.93:
	s_mov_b32 s2, exec_lo
	s_branch .LBB5_73
.LBB5_94:
	s_trap 2
	s_sendmsg_rtn_b32 s0, sendmsg(MSG_RTN_GET_DOORBELL)
	s_mov_b32 ttmp2, m0
	s_waitcnt lgkmcnt(0)
	s_and_b32 s0, s0, 0x3ff
	s_delay_alu instid0(SALU_CYCLE_1) | instskip(NEXT) | instid1(SALU_CYCLE_1)
	s_bitset1_b32 s0, 10
	s_mov_b32 m0, s0
	s_sendmsg sendmsg(MSG_INTERRUPT)
	s_mov_b32 m0, ttmp2
.LBB5_95:                               ; =>This Inner Loop Header: Depth=1
	s_sethalt 5
	s_branch .LBB5_95
.LBB5_96:
	s_trap 2
	s_sendmsg_rtn_b32 s0, sendmsg(MSG_RTN_GET_DOORBELL)
	s_mov_b32 ttmp2, m0
	s_waitcnt lgkmcnt(0)
	s_and_b32 s0, s0, 0x3ff
	s_delay_alu instid0(SALU_CYCLE_1) | instskip(NEXT) | instid1(SALU_CYCLE_1)
	s_bitset1_b32 s0, 10
	s_mov_b32 m0, s0
	s_sendmsg sendmsg(MSG_INTERRUPT)
	s_mov_b32 m0, ttmp2
.LBB5_97:                               ; =>This Inner Loop Header: Depth=1
	s_sethalt 5
	s_branch .LBB5_97
	.section	.rodata,"a",@progbits
	.p2align	6, 0x0
	.amdhsa_kernel _ZN2at4cuda12_GLOBAL__N_121kernelPointwiseApply2IZNS_6native9templates4cuda28bernoulli_tensor_cuda_kernelIddEEvRKNS_10TensorBaseES9_NS_15PhiloxCudaStateEEUliRdSB_SB_SB_RKdSD_SD_SD_E_dSC_jLi2ELin1ELi4ELi512ELi2EEEvNS0_6detail10TensorInfoIT0_T2_EENSG_IT1_SI_EESI_T_
		.amdhsa_group_segment_fixed_size 0
		.amdhsa_private_segment_fixed_size 0
		.amdhsa_kernarg_size 728
		.amdhsa_user_sgpr_count 15
		.amdhsa_user_sgpr_dispatch_ptr 0
		.amdhsa_user_sgpr_queue_ptr 0
		.amdhsa_user_sgpr_kernarg_segment_ptr 1
		.amdhsa_user_sgpr_dispatch_id 0
		.amdhsa_user_sgpr_private_segment_size 0
		.amdhsa_wavefront_size32 1
		.amdhsa_uses_dynamic_stack 0
		.amdhsa_enable_private_segment 0
		.amdhsa_system_sgpr_workgroup_id_x 1
		.amdhsa_system_sgpr_workgroup_id_y 0
		.amdhsa_system_sgpr_workgroup_id_z 0
		.amdhsa_system_sgpr_workgroup_info 0
		.amdhsa_system_vgpr_workitem_id 0
		.amdhsa_next_free_vgpr 43
		.amdhsa_next_free_sgpr 40
		.amdhsa_reserve_vcc 1
		.amdhsa_float_round_mode_32 0
		.amdhsa_float_round_mode_16_64 0
		.amdhsa_float_denorm_mode_32 3
		.amdhsa_float_denorm_mode_16_64 3
		.amdhsa_dx10_clamp 1
		.amdhsa_ieee_mode 1
		.amdhsa_fp16_overflow 0
		.amdhsa_workgroup_processor_mode 1
		.amdhsa_memory_ordered 1
		.amdhsa_forward_progress 0
		.amdhsa_shared_vgpr_count 0
		.amdhsa_exception_fp_ieee_invalid_op 0
		.amdhsa_exception_fp_denorm_src 0
		.amdhsa_exception_fp_ieee_div_zero 0
		.amdhsa_exception_fp_ieee_overflow 0
		.amdhsa_exception_fp_ieee_underflow 0
		.amdhsa_exception_fp_ieee_inexact 0
		.amdhsa_exception_int_div_zero 0
	.end_amdhsa_kernel
	.section	.text._ZN2at4cuda12_GLOBAL__N_121kernelPointwiseApply2IZNS_6native9templates4cuda28bernoulli_tensor_cuda_kernelIddEEvRKNS_10TensorBaseES9_NS_15PhiloxCudaStateEEUliRdSB_SB_SB_RKdSD_SD_SD_E_dSC_jLi2ELin1ELi4ELi512ELi2EEEvNS0_6detail10TensorInfoIT0_T2_EENSG_IT1_SI_EESI_T_,"axG",@progbits,_ZN2at4cuda12_GLOBAL__N_121kernelPointwiseApply2IZNS_6native9templates4cuda28bernoulli_tensor_cuda_kernelIddEEvRKNS_10TensorBaseES9_NS_15PhiloxCudaStateEEUliRdSB_SB_SB_RKdSD_SD_SD_E_dSC_jLi2ELin1ELi4ELi512ELi2EEEvNS0_6detail10TensorInfoIT0_T2_EENSG_IT1_SI_EESI_T_,comdat
.Lfunc_end5:
	.size	_ZN2at4cuda12_GLOBAL__N_121kernelPointwiseApply2IZNS_6native9templates4cuda28bernoulli_tensor_cuda_kernelIddEEvRKNS_10TensorBaseES9_NS_15PhiloxCudaStateEEUliRdSB_SB_SB_RKdSD_SD_SD_E_dSC_jLi2ELin1ELi4ELi512ELi2EEEvNS0_6detail10TensorInfoIT0_T2_EENSG_IT1_SI_EESI_T_, .Lfunc_end5-_ZN2at4cuda12_GLOBAL__N_121kernelPointwiseApply2IZNS_6native9templates4cuda28bernoulli_tensor_cuda_kernelIddEEvRKNS_10TensorBaseES9_NS_15PhiloxCudaStateEEUliRdSB_SB_SB_RKdSD_SD_SD_E_dSC_jLi2ELin1ELi4ELi512ELi2EEEvNS0_6detail10TensorInfoIT0_T2_EENSG_IT1_SI_EESI_T_
                                        ; -- End function
	.section	.AMDGPU.csdata,"",@progbits
; Kernel info:
; codeLenInByte = 4924
; NumSgprs: 42
; NumVgprs: 43
; ScratchSize: 0
; MemoryBound: 0
; FloatMode: 240
; IeeeMode: 1
; LDSByteSize: 0 bytes/workgroup (compile time only)
; SGPRBlocks: 5
; VGPRBlocks: 5
; NumSGPRsForWavesPerEU: 42
; NumVGPRsForWavesPerEU: 43
; Occupancy: 16
; WaveLimiterHint : 1
; COMPUTE_PGM_RSRC2:SCRATCH_EN: 0
; COMPUTE_PGM_RSRC2:USER_SGPR: 15
; COMPUTE_PGM_RSRC2:TRAP_HANDLER: 0
; COMPUTE_PGM_RSRC2:TGID_X_EN: 1
; COMPUTE_PGM_RSRC2:TGID_Y_EN: 0
; COMPUTE_PGM_RSRC2:TGID_Z_EN: 0
; COMPUTE_PGM_RSRC2:TIDIG_COMP_CNT: 0
	.section	.text._ZN2at4cuda12_GLOBAL__N_121kernelPointwiseApply2IZNS_6native9templates4cuda28bernoulli_tensor_cuda_kernelIddEEvRKNS_10TensorBaseES9_NS_15PhiloxCudaStateEEUliRdSB_SB_SB_RKdSD_SD_SD_E_dSC_jLin1ELi1ELi4ELi512ELi2EEEvNS0_6detail10TensorInfoIT0_T2_EENSG_IT1_SI_EESI_T_,"axG",@progbits,_ZN2at4cuda12_GLOBAL__N_121kernelPointwiseApply2IZNS_6native9templates4cuda28bernoulli_tensor_cuda_kernelIddEEvRKNS_10TensorBaseES9_NS_15PhiloxCudaStateEEUliRdSB_SB_SB_RKdSD_SD_SD_E_dSC_jLin1ELi1ELi4ELi512ELi2EEEvNS0_6detail10TensorInfoIT0_T2_EENSG_IT1_SI_EESI_T_,comdat
	.globl	_ZN2at4cuda12_GLOBAL__N_121kernelPointwiseApply2IZNS_6native9templates4cuda28bernoulli_tensor_cuda_kernelIddEEvRKNS_10TensorBaseES9_NS_15PhiloxCudaStateEEUliRdSB_SB_SB_RKdSD_SD_SD_E_dSC_jLin1ELi1ELi4ELi512ELi2EEEvNS0_6detail10TensorInfoIT0_T2_EENSG_IT1_SI_EESI_T_ ; -- Begin function _ZN2at4cuda12_GLOBAL__N_121kernelPointwiseApply2IZNS_6native9templates4cuda28bernoulli_tensor_cuda_kernelIddEEvRKNS_10TensorBaseES9_NS_15PhiloxCudaStateEEUliRdSB_SB_SB_RKdSD_SD_SD_E_dSC_jLin1ELi1ELi4ELi512ELi2EEEvNS0_6detail10TensorInfoIT0_T2_EENSG_IT1_SI_EESI_T_
	.p2align	8
	.type	_ZN2at4cuda12_GLOBAL__N_121kernelPointwiseApply2IZNS_6native9templates4cuda28bernoulli_tensor_cuda_kernelIddEEvRKNS_10TensorBaseES9_NS_15PhiloxCudaStateEEUliRdSB_SB_SB_RKdSD_SD_SD_E_dSC_jLin1ELi1ELi4ELi512ELi2EEEvNS0_6detail10TensorInfoIT0_T2_EENSG_IT1_SI_EESI_T_,@function
_ZN2at4cuda12_GLOBAL__N_121kernelPointwiseApply2IZNS_6native9templates4cuda28bernoulli_tensor_cuda_kernelIddEEvRKNS_10TensorBaseES9_NS_15PhiloxCudaStateEEUliRdSB_SB_SB_RKdSD_SD_SD_E_dSC_jLin1ELi1ELi4ELi512ELi2EEEvNS0_6detail10TensorInfoIT0_T2_EENSG_IT1_SI_EESI_T_: ; @_ZN2at4cuda12_GLOBAL__N_121kernelPointwiseApply2IZNS_6native9templates4cuda28bernoulli_tensor_cuda_kernelIddEEvRKNS_10TensorBaseES9_NS_15PhiloxCudaStateEEUliRdSB_SB_SB_RKdSD_SD_SD_E_dSC_jLin1ELi1ELi4ELi512ELi2EEEvNS0_6detail10TensorInfoIT0_T2_EENSG_IT1_SI_EESI_T_
; %bb.0:
	s_clause 0x1
	s_load_b32 s4, s[0:1], 0x1e4
	s_load_b32 s20, s[0:1], 0x1b0
	s_add_u32 s2, s0, 0x1d8
	s_addc_u32 s3, s1, 0
	s_waitcnt lgkmcnt(0)
	s_and_b32 s14, s4, 0xffff
	s_mov_b32 s4, exec_lo
	v_mad_u64_u32 v[1:2], null, s15, s14, v[0:1]
	s_delay_alu instid0(VALU_DEP_1) | instskip(NEXT) | instid1(VALU_DEP_1)
	v_lshlrev_b32_e32 v31, 2, v1
	v_cmpx_gt_u32_e64 s20, v31
	s_cbranch_execz .LBB6_73
; %bb.1:
	s_load_b32 s16, s[0:1], 0xd0
	s_load_b32 s2, s[2:3], 0x0
	s_clause 0x6
	s_load_b32 s3, s[0:1], 0x1d0
	s_load_b64 s[8:9], s[0:1], 0xd8
	s_load_b64 s[10:11], s[0:1], 0x1c8
	s_load_b32 s21, s[0:1], 0x144
	s_load_b128 s[4:7], s[0:1], 0x1b8
	s_load_b32 s22, s[0:1], 0x6c
	s_load_b64 s[12:13], s[0:1], 0x0
	v_mad_u64_u32 v[2:3], null, 0xcd9e8d57, v1, 0
	s_mov_b32 s15, 0
	v_mov_b32_e32 v4, 0
                                        ; implicit-def: $sgpr27
                                        ; implicit-def: $sgpr29
                                        ; implicit-def: $sgpr28
                                        ; implicit-def: $sgpr30
                                        ; implicit-def: $sgpr33
                                        ; implicit-def: $sgpr31
                                        ; implicit-def: $sgpr34
	s_delay_alu instid0(VALU_DEP_2)
	v_mov_b32_e32 v32, v3
	s_waitcnt lgkmcnt(0)
	s_cmp_gt_i32 s16, 1
	s_mul_i32 s2, s2, s14
	s_cselect_b32 s23, -1, 0
	s_bitcmp1_b32 s3, 0
	s_cselect_b32 s24, -1, 0
	s_add_i32 s14, s16, -1
	s_lshl_b32 s25, s2, 2
	s_lshl_b64 s[2:3], s[14:15], 2
	s_add_i32 s26, s16, 1
	s_add_u32 s0, s2, s0
	s_addc_u32 s1, s3, s1
	s_add_u32 s16, s0, 8
	s_addc_u32 s17, s1, 0
                                        ; implicit-def: $sgpr14
	s_branch .LBB6_3
.LBB6_2:                                ;   in Loop: Header=BB6_3 Depth=1
	s_or_b32 exec_lo, exec_lo, s1
	s_delay_alu instid0(SALU_CYCLE_1) | instskip(NEXT) | instid1(SALU_CYCLE_1)
	s_and_b32 s0, exec_lo, s0
	s_or_b32 s15, s0, s15
	s_and_not1_b32 s0, s14, exec_lo
	s_and_b32 s1, s34, exec_lo
	s_and_not1_b32 s2, s28, exec_lo
	s_and_b32 s3, s31, exec_lo
	s_or_b32 s14, s0, s1
	s_or_b32 s28, s2, s3
	s_and_not1_b32 s0, s29, exec_lo
	s_and_b32 s1, s33, exec_lo
	s_and_not1_b32 s2, s27, exec_lo
	s_and_b32 s3, s30, exec_lo
	s_or_b32 s29, s0, s1
	s_or_b32 s27, s2, s3
	s_and_not1_b32 exec_lo, exec_lo, s15
	s_cbranch_execz .LBB6_61
.LBB6_3:                                ; =>This Loop Header: Depth=1
                                        ;     Child Loop BB6_6 Depth 2
                                        ;     Child Loop BB6_11 Depth 2
	;; [unrolled: 1-line block ×4, first 2 shown]
	v_sub_nc_u32_e32 v33, s20, v31
	v_mov_b32_e32 v5, 0
	s_delay_alu instid0(VALU_DEP_2) | instskip(NEXT) | instid1(VALU_DEP_1)
	v_cmp_lt_i32_e64 s0, 0, v33
	s_and_saveexec_b32 s1, s0
	s_cbranch_execz .LBB6_8
; %bb.4:                                ;   in Loop: Header=BB6_3 Depth=1
	v_dual_mov_b32 v0, 0 :: v_dual_mov_b32 v3, v31
	s_and_not1_b32 vcc_lo, exec_lo, s23
	s_cbranch_vccnz .LBB6_7
; %bb.5:                                ;   in Loop: Header=BB6_3 Depth=1
	v_dual_mov_b32 v0, 0 :: v_dual_mov_b32 v3, v31
	s_mov_b64 s[2:3], s[16:17]
	s_mov_b32 s18, s26
	s_set_inst_prefetch_distance 0x1
	.p2align	6
.LBB6_6:                                ;   Parent Loop BB6_3 Depth=1
                                        ; =>  This Inner Loop Header: Depth=2
	s_clause 0x1
	s_load_b32 s19, s[2:3], 0x0
	s_load_b32 s35, s[2:3], 0x64
	v_mov_b32_e32 v7, v3
	s_add_i32 s18, s18, -1
	s_waitcnt lgkmcnt(0)
	v_cvt_f32_u32_e32 v5, s19
	s_sub_i32 s36, 0, s19
	s_add_u32 s2, s2, -4
	s_addc_u32 s3, s3, -1
	s_cmp_gt_u32 s18, 2
	v_rcp_iflag_f32_e32 v5, v5
	s_waitcnt_depctr 0xfff
	v_mul_f32_e32 v5, 0x4f7ffffe, v5
	s_delay_alu instid0(VALU_DEP_1) | instskip(NEXT) | instid1(VALU_DEP_1)
	v_cvt_u32_f32_e32 v5, v5
	v_mul_lo_u32 v6, s36, v5
	s_delay_alu instid0(VALU_DEP_1) | instskip(NEXT) | instid1(VALU_DEP_1)
	v_mul_hi_u32 v6, v5, v6
	v_add_nc_u32_e32 v3, v5, v6
	s_delay_alu instid0(VALU_DEP_1) | instskip(NEXT) | instid1(VALU_DEP_1)
	v_mul_hi_u32 v3, v7, v3
	v_add_nc_u32_e32 v6, 1, v3
	v_mul_lo_u32 v5, v3, s19
	s_delay_alu instid0(VALU_DEP_1) | instskip(NEXT) | instid1(VALU_DEP_1)
	v_sub_nc_u32_e32 v5, v7, v5
	v_subrev_nc_u32_e32 v8, s19, v5
	v_cmp_le_u32_e32 vcc_lo, s19, v5
	v_cndmask_b32_e32 v3, v3, v6, vcc_lo
	s_delay_alu instid0(VALU_DEP_1) | instskip(NEXT) | instid1(VALU_DEP_1)
	v_dual_cndmask_b32 v5, v5, v8 :: v_dual_add_nc_u32 v6, 1, v3
	v_cmp_le_u32_e32 vcc_lo, s19, v5
	s_delay_alu instid0(VALU_DEP_2) | instskip(NEXT) | instid1(VALU_DEP_1)
	v_cndmask_b32_e32 v3, v3, v6, vcc_lo
	v_mul_lo_u32 v5, v3, s19
	s_delay_alu instid0(VALU_DEP_1) | instskip(NEXT) | instid1(VALU_DEP_1)
	v_sub_nc_u32_e32 v7, v7, v5
	v_mad_u64_u32 v[5:6], null, s35, v7, v[0:1]
	s_delay_alu instid0(VALU_DEP_1)
	v_mov_b32_e32 v0, v5
	s_cbranch_scc1 .LBB6_6
.LBB6_7:                                ;   in Loop: Header=BB6_3 Depth=1
	s_set_inst_prefetch_distance 0x2
	s_delay_alu instid0(VALU_DEP_1)
	v_mad_u64_u32 v[5:6], null, s22, v3, v[0:1]
.LBB6_8:                                ;   in Loop: Header=BB6_3 Depth=1
	s_or_b32 exec_lo, exec_lo, s1
	v_mov_b32_e32 v6, 0
	v_mov_b32_e32 v7, 0
	v_cmp_lt_i32_e64 s1, 1, v33
	s_delay_alu instid0(VALU_DEP_1)
	s_and_saveexec_b32 s18, s1
	s_cbranch_execz .LBB6_13
; %bb.9:                                ;   in Loop: Header=BB6_3 Depth=1
	v_or_b32_e32 v3, 1, v31
	v_mov_b32_e32 v0, 0
	s_and_not1_b32 vcc_lo, exec_lo, s23
	s_cbranch_vccnz .LBB6_12
; %bb.10:                               ;   in Loop: Header=BB6_3 Depth=1
	v_mov_b32_e32 v0, 0
	s_mov_b64 s[2:3], s[16:17]
	s_mov_b32 s19, s26
	s_set_inst_prefetch_distance 0x1
	.p2align	6
.LBB6_11:                               ;   Parent Loop BB6_3 Depth=1
                                        ; =>  This Inner Loop Header: Depth=2
	s_clause 0x1
	s_load_b32 s35, s[2:3], 0x0
	s_load_b32 s36, s[2:3], 0x64
	s_add_i32 s19, s19, -1
	s_waitcnt lgkmcnt(0)
	v_cvt_f32_u32_e32 v6, s35
	s_sub_i32 s37, 0, s35
	s_add_u32 s2, s2, -4
	s_addc_u32 s3, s3, -1
	s_cmp_gt_u32 s19, 2
	v_rcp_iflag_f32_e32 v6, v6
	s_waitcnt_depctr 0xfff
	v_mul_f32_e32 v6, 0x4f7ffffe, v6
	s_delay_alu instid0(VALU_DEP_1) | instskip(NEXT) | instid1(VALU_DEP_1)
	v_cvt_u32_f32_e32 v6, v6
	v_mul_lo_u32 v7, s37, v6
	s_delay_alu instid0(VALU_DEP_1) | instskip(NEXT) | instid1(VALU_DEP_1)
	v_mul_hi_u32 v7, v6, v7
	v_dual_mov_b32 v8, v3 :: v_dual_add_nc_u32 v3, v6, v7
	s_delay_alu instid0(VALU_DEP_1) | instskip(NEXT) | instid1(VALU_DEP_1)
	v_mul_hi_u32 v3, v8, v3
	v_mul_lo_u32 v6, v3, s35
	v_add_nc_u32_e32 v7, 1, v3
	s_delay_alu instid0(VALU_DEP_2) | instskip(NEXT) | instid1(VALU_DEP_1)
	v_sub_nc_u32_e32 v6, v8, v6
	v_subrev_nc_u32_e32 v9, s35, v6
	v_cmp_le_u32_e32 vcc_lo, s35, v6
	s_delay_alu instid0(VALU_DEP_2) | instskip(NEXT) | instid1(VALU_DEP_1)
	v_dual_cndmask_b32 v3, v3, v7 :: v_dual_cndmask_b32 v6, v6, v9
	v_add_nc_u32_e32 v7, 1, v3
	s_delay_alu instid0(VALU_DEP_2) | instskip(NEXT) | instid1(VALU_DEP_2)
	v_cmp_le_u32_e32 vcc_lo, s35, v6
	v_cndmask_b32_e32 v3, v3, v7, vcc_lo
	s_delay_alu instid0(VALU_DEP_1) | instskip(NEXT) | instid1(VALU_DEP_1)
	v_mul_lo_u32 v6, v3, s35
	v_sub_nc_u32_e32 v8, v8, v6
	s_delay_alu instid0(VALU_DEP_1) | instskip(NEXT) | instid1(VALU_DEP_1)
	v_mad_u64_u32 v[6:7], null, s36, v8, v[0:1]
	v_mov_b32_e32 v0, v6
	s_cbranch_scc1 .LBB6_11
.LBB6_12:                               ;   in Loop: Header=BB6_3 Depth=1
	s_set_inst_prefetch_distance 0x2
	s_delay_alu instid0(VALU_DEP_1)
	v_mad_u64_u32 v[6:7], null, s22, v3, v[0:1]
	v_mov_b32_e32 v7, v4
.LBB6_13:                               ;   in Loop: Header=BB6_3 Depth=1
	s_or_b32 exec_lo, exec_lo, s18
	v_mov_b32_e32 v8, 0
	v_mov_b32_e32 v9, 0
	v_cmp_lt_i32_e64 s2, 2, v33
	s_delay_alu instid0(VALU_DEP_1)
	s_and_saveexec_b32 s3, s2
	s_cbranch_execz .LBB6_18
; %bb.14:                               ;   in Loop: Header=BB6_3 Depth=1
	v_or_b32_e32 v3, 2, v31
	v_mov_b32_e32 v0, 0
	s_and_not1_b32 vcc_lo, exec_lo, s23
	s_cbranch_vccnz .LBB6_17
; %bb.15:                               ;   in Loop: Header=BB6_3 Depth=1
	v_mov_b32_e32 v0, 0
	s_mov_b64 s[18:19], s[16:17]
	s_mov_b32 s35, s26
	s_set_inst_prefetch_distance 0x1
	.p2align	6
.LBB6_16:                               ;   Parent Loop BB6_3 Depth=1
                                        ; =>  This Inner Loop Header: Depth=2
	s_clause 0x1
	s_load_b32 s36, s[18:19], 0x0
	s_load_b32 s37, s[18:19], 0x64
	s_add_i32 s35, s35, -1
	s_waitcnt lgkmcnt(0)
	v_cvt_f32_u32_e32 v8, s36
	s_sub_i32 s38, 0, s36
	s_add_u32 s18, s18, -4
	s_addc_u32 s19, s19, -1
	s_cmp_gt_u32 s35, 2
	v_rcp_iflag_f32_e32 v8, v8
	s_waitcnt_depctr 0xfff
	v_mul_f32_e32 v8, 0x4f7ffffe, v8
	s_delay_alu instid0(VALU_DEP_1) | instskip(NEXT) | instid1(VALU_DEP_1)
	v_cvt_u32_f32_e32 v8, v8
	v_mul_lo_u32 v9, s38, v8
	s_delay_alu instid0(VALU_DEP_1) | instskip(NEXT) | instid1(VALU_DEP_1)
	v_mul_hi_u32 v9, v8, v9
	v_dual_mov_b32 v10, v3 :: v_dual_add_nc_u32 v3, v8, v9
	s_delay_alu instid0(VALU_DEP_1) | instskip(NEXT) | instid1(VALU_DEP_1)
	v_mul_hi_u32 v3, v10, v3
	v_mul_lo_u32 v8, v3, s36
	v_add_nc_u32_e32 v9, 1, v3
	s_delay_alu instid0(VALU_DEP_2) | instskip(NEXT) | instid1(VALU_DEP_1)
	v_sub_nc_u32_e32 v8, v10, v8
	v_subrev_nc_u32_e32 v11, s36, v8
	v_cmp_le_u32_e32 vcc_lo, s36, v8
	s_delay_alu instid0(VALU_DEP_2) | instskip(NEXT) | instid1(VALU_DEP_1)
	v_dual_cndmask_b32 v3, v3, v9 :: v_dual_cndmask_b32 v8, v8, v11
	v_add_nc_u32_e32 v9, 1, v3
	s_delay_alu instid0(VALU_DEP_2) | instskip(NEXT) | instid1(VALU_DEP_2)
	v_cmp_le_u32_e32 vcc_lo, s36, v8
	v_cndmask_b32_e32 v3, v3, v9, vcc_lo
	s_delay_alu instid0(VALU_DEP_1) | instskip(NEXT) | instid1(VALU_DEP_1)
	v_mul_lo_u32 v8, v3, s36
	v_sub_nc_u32_e32 v10, v10, v8
	s_delay_alu instid0(VALU_DEP_1) | instskip(NEXT) | instid1(VALU_DEP_1)
	v_mad_u64_u32 v[8:9], null, s37, v10, v[0:1]
	v_mov_b32_e32 v0, v8
	s_cbranch_scc1 .LBB6_16
.LBB6_17:                               ;   in Loop: Header=BB6_3 Depth=1
	s_set_inst_prefetch_distance 0x2
	s_delay_alu instid0(VALU_DEP_1)
	v_mad_u64_u32 v[8:9], null, s22, v3, v[0:1]
	v_mov_b32_e32 v9, v4
.LBB6_18:                               ;   in Loop: Header=BB6_3 Depth=1
	s_or_b32 exec_lo, exec_lo, s3
	v_mov_b32_e32 v12, 0
	v_mov_b32_e32 v13, 0
	v_cmp_lt_i32_e64 s3, 3, v33
	s_delay_alu instid0(VALU_DEP_1)
	s_and_saveexec_b32 s35, s3
	s_cbranch_execz .LBB6_23
; %bb.19:                               ;   in Loop: Header=BB6_3 Depth=1
	v_or_b32_e32 v3, 3, v31
	v_mov_b32_e32 v0, 0
	s_and_not1_b32 vcc_lo, exec_lo, s23
	s_cbranch_vccnz .LBB6_22
; %bb.20:                               ;   in Loop: Header=BB6_3 Depth=1
	v_mov_b32_e32 v0, 0
	s_mov_b64 s[18:19], s[16:17]
	s_mov_b32 s36, s26
	s_set_inst_prefetch_distance 0x1
	.p2align	6
.LBB6_21:                               ;   Parent Loop BB6_3 Depth=1
                                        ; =>  This Inner Loop Header: Depth=2
	s_clause 0x1
	s_load_b32 s37, s[18:19], 0x0
	s_load_b32 s38, s[18:19], 0x64
	s_add_i32 s36, s36, -1
	s_waitcnt lgkmcnt(0)
	v_cvt_f32_u32_e32 v10, s37
	s_sub_i32 s39, 0, s37
	s_add_u32 s18, s18, -4
	s_addc_u32 s19, s19, -1
	s_cmp_gt_u32 s36, 2
	v_rcp_iflag_f32_e32 v10, v10
	s_waitcnt_depctr 0xfff
	v_mul_f32_e32 v10, 0x4f7ffffe, v10
	s_delay_alu instid0(VALU_DEP_1) | instskip(NEXT) | instid1(VALU_DEP_1)
	v_cvt_u32_f32_e32 v10, v10
	v_mul_lo_u32 v11, s39, v10
	s_delay_alu instid0(VALU_DEP_1) | instskip(NEXT) | instid1(VALU_DEP_1)
	v_mul_hi_u32 v11, v10, v11
	v_dual_mov_b32 v12, v3 :: v_dual_add_nc_u32 v3, v10, v11
	s_delay_alu instid0(VALU_DEP_1) | instskip(NEXT) | instid1(VALU_DEP_1)
	v_mul_hi_u32 v3, v12, v3
	v_mul_lo_u32 v10, v3, s37
	v_add_nc_u32_e32 v11, 1, v3
	s_delay_alu instid0(VALU_DEP_2) | instskip(NEXT) | instid1(VALU_DEP_1)
	v_sub_nc_u32_e32 v10, v12, v10
	v_subrev_nc_u32_e32 v13, s37, v10
	v_cmp_le_u32_e32 vcc_lo, s37, v10
	s_delay_alu instid0(VALU_DEP_2) | instskip(NEXT) | instid1(VALU_DEP_1)
	v_dual_cndmask_b32 v3, v3, v11 :: v_dual_cndmask_b32 v10, v10, v13
	v_add_nc_u32_e32 v11, 1, v3
	s_delay_alu instid0(VALU_DEP_2) | instskip(NEXT) | instid1(VALU_DEP_2)
	v_cmp_le_u32_e32 vcc_lo, s37, v10
	v_cndmask_b32_e32 v3, v3, v11, vcc_lo
	s_delay_alu instid0(VALU_DEP_1) | instskip(NEXT) | instid1(VALU_DEP_1)
	v_mul_lo_u32 v10, v3, s37
	v_sub_nc_u32_e32 v12, v12, v10
	s_delay_alu instid0(VALU_DEP_1) | instskip(NEXT) | instid1(VALU_DEP_1)
	v_mad_u64_u32 v[10:11], null, s38, v12, v[0:1]
	v_mov_b32_e32 v0, v10
	s_cbranch_scc1 .LBB6_21
.LBB6_22:                               ;   in Loop: Header=BB6_3 Depth=1
	s_set_inst_prefetch_distance 0x2
	s_delay_alu instid0(VALU_DEP_1)
	v_mad_u64_u32 v[12:13], null, s22, v3, v[0:1]
	v_mov_b32_e32 v13, v4
.LBB6_23:                               ;   in Loop: Header=BB6_3 Depth=1
	s_or_b32 exec_lo, exec_lo, s35
	v_mul_lo_u32 v0, v31, s21
	v_mov_b32_e32 v21, s5
	v_dual_mov_b32 v19, s7 :: v_dual_mov_b32 v18, s6
	v_mov_b32_e32 v20, s4
	s_delay_alu instid0(VALU_DEP_4) | instskip(NEXT) | instid1(VALU_DEP_1)
	v_add_nc_u32_e32 v34, s21, v0
	v_add_nc_u32_e32 v35, s21, v34
	s_delay_alu instid0(VALU_DEP_1) | instskip(NEXT) | instid1(VALU_DEP_1)
	v_add_nc_u32_e32 v3, s21, v35
	v_cndmask_b32_e64 v3, 0, v3, s3
	s_delay_alu instid0(VALU_DEP_1) | instskip(NEXT) | instid1(VALU_DEP_1)
	v_lshlrev_b64 v[10:11], 3, v[3:4]
	v_add_co_u32 v10, vcc_lo, s8, v10
	s_delay_alu instid0(VALU_DEP_2)
	v_add_co_ci_u32_e32 v11, vcc_lo, s9, v11, vcc_lo
	s_and_not1_b32 vcc_lo, exec_lo, s24
	global_load_b64 v[14:15], v[10:11], off
	s_cbranch_vccnz .LBB6_25
; %bb.24:                               ;   in Loop: Header=BB6_3 Depth=1
	v_dual_mov_b32 v11, s7 :: v_dual_mov_b32 v10, s6
	v_dual_mov_b32 v17, s5 :: v_dual_mov_b32 v16, s4
	flat_load_b64 v[10:11], v[10:11]
	flat_load_b64 v[20:21], v[16:17]
	s_waitcnt vmcnt(1) lgkmcnt(1)
	v_add_co_u32 v18, vcc_lo, v10, s10
	v_add_co_ci_u32_e32 v19, vcc_lo, s11, v11, vcc_lo
.LBB6_25:                               ;   in Loop: Header=BB6_3 Depth=1
	s_delay_alu instid0(VALU_DEP_1)
	v_alignbit_b32 v3, v19, v18, 2
	v_lshrrev_b32_e32 v16, 2, v19
	s_waitcnt vmcnt(0) lgkmcnt(0)
	v_add_nc_u32_e32 v36, 0x9e3779b9, v20
	v_add_nc_u32_e32 v38, 0x3c6ef372, v20
	;; [unrolled: 1-line block ×3, first 2 shown]
	v_add_co_u32 v17, vcc_lo, v3, 1
	s_delay_alu instid0(VALU_DEP_1) | instskip(SKIP_4) | instid1(VALU_DEP_4)
	v_cndmask_b32_e64 v10, 0, 1, vcc_lo
	v_add_co_ci_u32_e32 v19, vcc_lo, 0, v16, vcc_lo
	v_xor3_b32 v24, v32, v20, v16
	v_add_nc_u32_e32 v41, 0xed9eba14, v21
	v_add_nc_u32_e32 v42, 0x1fd5c5a3, v21
	v_cmp_eq_u32_e32 vcc_lo, 0, v19
	s_mov_b32 s3, exec_lo
	v_add_nc_u32_e32 v37, 0xbb67ae85, v21
	v_dual_cndmask_b32 v22, 0, v10 :: v_dual_add_nc_u32 v39, 0x76cf5d0a, v21
	v_mad_u64_u32 v[10:11], null, 0xd2511f53, v17, 0
	v_mad_u64_u32 v[16:17], null, 0xd2511f53, v3, 0
	s_delay_alu instid0(VALU_DEP_3) | instskip(NEXT) | instid1(VALU_DEP_3)
	v_add_nc_u32_e32 v26, v22, v1
	v_xor_b32_e32 v11, v11, v21
	s_delay_alu instid0(VALU_DEP_2) | instskip(SKIP_1) | instid1(VALU_DEP_1)
	v_cmp_eq_u32_e32 vcc_lo, 0, v26
	v_cndmask_b32_e32 v22, 0, v22, vcc_lo
	v_xor_b32_e32 v3, v22, v11
	v_mad_u64_u32 v[22:23], null, 0xd2511f53, v24, 0
	v_mad_u64_u32 v[24:25], null, 0xcd9e8d57, v26, 0
	s_delay_alu instid0(VALU_DEP_3) | instskip(SKIP_1) | instid1(VALU_DEP_4)
	v_mad_u64_u32 v[26:27], null, 0xcd9e8d57, v3, 0
	v_xor_b32_e32 v3, v17, v21
	v_xor3_b32 v11, v37, v23, v16
	s_delay_alu instid0(VALU_DEP_2) | instskip(SKIP_2) | instid1(VALU_DEP_4)
	v_mad_u64_u32 v[16:17], null, 0xcd9e8d57, v3, 0
	v_xor3_b32 v3, v25, v20, v19
	v_xor3_b32 v19, v36, v27, v24
	v_mad_u64_u32 v[23:24], null, 0xcd9e8d57, v11, 0
	s_delay_alu instid0(VALU_DEP_3) | instskip(NEXT) | instid1(VALU_DEP_3)
	v_mad_u64_u32 v[27:28], null, 0xd2511f53, v3, 0
	v_mad_u64_u32 v[29:30], null, 0xd2511f53, v19, 0
	v_xor3_b32 v3, v2, v17, v36
	s_delay_alu instid0(VALU_DEP_4) | instskip(SKIP_1) | instid1(VALU_DEP_3)
	v_xor3_b32 v24, v38, v24, v16
	v_add_nc_u32_e32 v19, 0xdaa66d2b, v20
	v_mad_u64_u32 v[16:17], null, 0xd2511f53, v3, 0
	v_xor3_b32 v3, v37, v28, v10
	v_xor3_b32 v30, v39, v30, v27
	v_mad_u64_u32 v[10:11], null, 0xd2511f53, v24, 0
	s_delay_alu instid0(VALU_DEP_3) | instskip(NEXT) | instid1(VALU_DEP_3)
	v_mad_u64_u32 v[24:25], null, 0xcd9e8d57, v3, 0
	v_mad_u64_u32 v[27:28], null, 0xcd9e8d57, v30, 0
	v_xor3_b32 v3, v39, v17, v22
	s_delay_alu instid0(VALU_DEP_4) | instskip(SKIP_1) | instid1(VALU_DEP_3)
	v_xor3_b32 v11, v40, v11, v16
	v_add_nc_u32_e32 v30, 0x78dde6e4, v20
	v_mad_u64_u32 v[16:17], null, 0xcd9e8d57, v3, 0
	v_xor3_b32 v3, v38, v25, v26
	v_xor3_b32 v22, v19, v28, v24
	v_mad_u64_u32 v[24:25], null, 0xcd9e8d57, v11, 0
	v_add_nc_u32_e32 v26, 0xa9066899, v21
	s_delay_alu instid0(VALU_DEP_4) | instskip(NEXT) | instid1(VALU_DEP_4)
	v_mad_u64_u32 v[36:37], null, 0xd2511f53, v3, 0
	v_mad_u64_u32 v[38:39], null, 0xd2511f53, v22, 0
	v_xor3_b32 v3, v19, v17, v23
	v_xor3_b32 v11, v30, v25, v16
	v_add_nc_u32_e32 v19, 0x1715609d, v20
	s_delay_alu instid0(VALU_DEP_3) | instskip(SKIP_4) | instid1(VALU_DEP_4)
	v_mad_u64_u32 v[16:17], null, 0xd2511f53, v3, 0
	v_xor3_b32 v3, v40, v37, v29
	v_xor3_b32 v25, v41, v39, v36
	v_mad_u64_u32 v[28:29], null, 0xd2511f53, v11, 0
	v_add_nc_u32_e32 v37, 0xb54cda56, v20
	v_mad_u64_u32 v[22:23], null, 0xcd9e8d57, v3, 0
	s_delay_alu instid0(VALU_DEP_4) | instskip(SKIP_3) | instid1(VALU_DEP_3)
	v_mad_u64_u32 v[39:40], null, 0xcd9e8d57, v25, 0
	v_xor3_b32 v3, v41, v17, v10
	v_xor3_b32 v25, v26, v29, v16
	v_add_nc_u32_e32 v36, 0x646e171e, v21
	v_mad_u64_u32 v[10:11], null, 0xcd9e8d57, v3, 0
	v_xor3_b32 v3, v30, v23, v27
	v_xor3_b32 v27, v19, v40, v22
	v_mad_u64_u32 v[16:17], null, 0xcd9e8d57, v25, 0
	s_delay_alu instid0(VALU_DEP_3) | instskip(NEXT) | instid1(VALU_DEP_3)
	v_mad_u64_u32 v[22:23], null, 0xd2511f53, v3, 0
	v_mad_u64_u32 v[40:41], null, 0xd2511f53, v27, 0
	v_xor3_b32 v3, v19, v11, v24
	s_delay_alu instid0(VALU_DEP_4) | instskip(SKIP_1) | instid1(VALU_DEP_3)
	v_xor3_b32 v17, v37, v17, v10
	v_add_nc_u32_e32 v19, 0x5384540f, v20
	v_mad_u64_u32 v[10:11], null, 0xd2511f53, v3, 0
	v_xor3_b32 v3, v26, v23, v38
	v_xor3_b32 v24, v36, v41, v22
	v_mad_u64_u32 v[22:23], null, 0xd2511f53, v17, 0
	s_delay_alu instid0(VALU_DEP_3) | instskip(NEXT) | instid1(VALU_DEP_3)
	v_mad_u64_u32 v[29:30], null, 0xcd9e8d57, v3, 0
	v_mad_u64_u32 v[25:26], null, 0xcd9e8d57, v24, 0
	v_xor3_b32 v3, v36, v11, v28
	s_delay_alu instid0(VALU_DEP_4) | instskip(SKIP_1) | instid1(VALU_DEP_3)
	v_xor3_b32 v17, v42, v23, v10
	v_add_co_u32 v36, null, 0xf1bbcdc8, v20
	v_mad_u64_u32 v[10:11], null, 0xcd9e8d57, v3, 0
	v_xor3_b32 v3, v37, v30, v39
	v_xor3_b32 v26, v19, v26, v29
	v_mad_u64_u32 v[23:24], null, 0xcd9e8d57, v17, 0
	v_add_nc_u32_e32 v37, 0xdb3d7428, v21
	s_delay_alu instid0(VALU_DEP_4) | instskip(NEXT) | instid1(VALU_DEP_4)
	v_mad_u64_u32 v[38:39], null, 0xd2511f53, v3, 0
	v_mad_u64_u32 v[28:29], null, 0xd2511f53, v26, 0
	v_xor3_b32 v3, v19, v11, v16
	v_xor3_b32 v16, v36, v24, v10
	v_add_nc_u32_e32 v24, 0x96a522ad, v21
	v_add_nc_u32_e32 v21, 0x8ff34781, v20
	v_and_b32_e32 v20, 3, v18
	v_mad_u64_u32 v[26:27], null, 0xd2511f53, v3, 0
	v_xor3_b32 v3, v42, v39, v40
	v_xor3_b32 v19, v37, v29, v38
	v_mad_u64_u32 v[10:11], null, 0xd2511f53, v16, 0
	s_delay_alu instid0(VALU_DEP_3) | instskip(NEXT) | instid1(VALU_DEP_3)
	v_mad_u64_u32 v[29:30], null, 0xcd9e8d57, v3, 0
	v_mad_u64_u32 v[16:17], null, 0xcd9e8d57, v19, 0
                                        ; implicit-def: $vgpr3
	s_delay_alu instid0(VALU_DEP_3) | instskip(NEXT) | instid1(VALU_DEP_2)
	v_xor3_b32 v11, v11, v26, v24
	v_xor3_b32 v19, v17, v29, v21
	v_cmpx_lt_i32_e32 1, v20
	s_xor_b32 s3, exec_lo, s3
	s_cbranch_execz .LBB6_31
; %bb.26:                               ;   in Loop: Header=BB6_3 Depth=1
	s_mov_b32 s18, exec_lo
                                        ; implicit-def: $vgpr3
	v_cmpx_lt_i32_e32 2, v20
	s_xor_b32 s18, exec_lo, s18
; %bb.27:                               ;   in Loop: Header=BB6_3 Depth=1
	v_xor3_b32 v3, v36, v30, v25
                                        ; implicit-def: $vgpr11
	s_delay_alu instid0(VALU_DEP_1) | instskip(NEXT) | instid1(VALU_DEP_1)
	v_mul_hi_u32 v3, 0xd2511f53, v3
	v_xor3_b32 v3, v3, v28, v24
; %bb.28:                               ;   in Loop: Header=BB6_3 Depth=1
	s_and_not1_saveexec_b32 s18, s18
; %bb.29:                               ;   in Loop: Header=BB6_3 Depth=1
	v_dual_mov_b32 v3, v16 :: v_dual_mov_b32 v16, v19
	v_dual_mov_b32 v19, v10 :: v_dual_mov_b32 v10, v11
; %bb.30:                               ;   in Loop: Header=BB6_3 Depth=1
	s_or_b32 exec_lo, exec_lo, s18
                                        ; implicit-def: $vgpr22_vgpr23
                                        ; implicit-def: $vgpr20
                                        ; implicit-def: $vgpr11
                                        ; implicit-def: $vgpr37
                                        ; implicit-def: $vgpr26_vgpr27
                                        ; implicit-def: $vgpr21
                                        ; implicit-def: $vgpr23_vgpr24
.LBB6_31:                               ;   in Loop: Header=BB6_3 Depth=1
	s_and_not1_saveexec_b32 s3, s3
	s_cbranch_execz .LBB6_35
; %bb.32:                               ;   in Loop: Header=BB6_3 Depth=1
	v_xor3_b32 v3, v37, v27, v22
	v_cmp_eq_u32_e32 vcc_lo, 1, v20
	v_mov_b32_e32 v16, v11
	s_delay_alu instid0(VALU_DEP_3) | instskip(SKIP_1) | instid1(VALU_DEP_2)
	v_mad_u64_u32 v[17:18], null, 0xcd9e8d57, v3, 0
	v_mov_b32_e32 v3, v10
	v_xor3_b32 v20, v18, v23, v21
	s_delay_alu instid0(VALU_DEP_3)
	v_mov_b32_e32 v18, v17
	s_and_saveexec_b32 s18, vcc_lo
; %bb.33:                               ;   in Loop: Header=BB6_3 Depth=1
	v_dual_mov_b32 v3, v19 :: v_dual_mov_b32 v16, v10
	v_mov_b32_e32 v18, v11
	v_mov_b32_e32 v20, v17
; %bb.34:                               ;   in Loop: Header=BB6_3 Depth=1
	s_or_b32 exec_lo, exec_lo, s18
	s_delay_alu instid0(VALU_DEP_1)
	v_dual_mov_b32 v10, v20 :: v_dual_mov_b32 v19, v18
.LBB6_35:                               ;   in Loop: Header=BB6_3 Depth=1
	s_or_b32 exec_lo, exec_lo, s3
	v_min_i32_e32 v17, 4, v33
	s_mov_b32 s18, 0
	s_mov_b32 s39, 0
	;; [unrolled: 1-line block ×3, first 2 shown]
	s_mov_b32 s37, exec_lo
                                        ; implicit-def: $sgpr19
                                        ; implicit-def: $sgpr35
                                        ; implicit-def: $sgpr36
	v_cmpx_lt_i32_e32 2, v17
	s_xor_b32 s37, exec_lo, s37
	s_cbranch_execz .LBB6_47
; %bb.36:                               ;   in Loop: Header=BB6_3 Depth=1
	s_mov_b32 s36, -1
	s_mov_b32 s38, 0
	s_mov_b32 s35, exec_lo
                                        ; implicit-def: $sgpr19
                                        ; implicit-def: $sgpr3
	v_cmpx_lt_i32_e32 3, v17
	s_cbranch_execz .LBB6_42
; %bb.37:                               ;   in Loop: Header=BB6_3 Depth=1
	s_mov_b32 s40, 0
	s_mov_b32 s41, -1
	s_mov_b32 s36, exec_lo
                                        ; implicit-def: $sgpr19
                                        ; implicit-def: $sgpr3
	v_cmpx_eq_u32_e32 4, v17
	s_cbranch_execz .LBB6_41
; %bb.38:                               ;   in Loop: Header=BB6_3 Depth=1
	v_cmp_le_f64_e32 vcc_lo, 0, v[14:15]
	v_cmp_ge_f64_e64 s3, 1.0, v[14:15]
	s_mov_b32 s19, 0
	s_delay_alu instid0(VALU_DEP_1) | instskip(NEXT) | instid1(SALU_CYCLE_1)
	s_and_b32 s40, vcc_lo, s3
	s_and_saveexec_b32 s3, s40
	s_cbranch_execz .LBB6_40
; %bb.39:                               ;   in Loop: Header=BB6_3 Depth=1
	v_cvt_f32_u32_e32 v3, v3
	v_lshlrev_b64 v[11:12], 3, v[12:13]
	v_mov_b32_e32 v13, v4
	s_mov_b32 s39, exec_lo
	s_delay_alu instid0(VALU_DEP_3) | instskip(NEXT) | instid1(VALU_DEP_3)
	v_fmaak_f32 v3, 0x2f800000, v3, 0x2f800000
	v_add_co_u32 v11, vcc_lo, s12, v11
	s_delay_alu instid0(VALU_DEP_4) | instskip(NEXT) | instid1(VALU_DEP_3)
	v_add_co_ci_u32_e32 v12, vcc_lo, s13, v12, vcc_lo
	v_cvt_f64_f32_e32 v[20:21], v3
	s_delay_alu instid0(VALU_DEP_1)
	v_cmp_ge_f64_e32 vcc_lo, v[14:15], v[20:21]
	v_cndmask_b32_e64 v14, 0, 0x3ff00000, vcc_lo
	global_store_b64 v[11:12], v[13:14], off
.LBB6_40:                               ;   in Loop: Header=BB6_3 Depth=1
	s_or_b32 exec_lo, exec_lo, s3
	s_mov_b32 s3, -1
	s_xor_b32 s41, exec_lo, -1
	s_and_b32 s40, s39, exec_lo
.LBB6_41:                               ;   in Loop: Header=BB6_3 Depth=1
	s_or_b32 exec_lo, exec_lo, s36
	s_delay_alu instid0(SALU_CYCLE_1)
	s_and_b32 s39, s41, exec_lo
	s_or_not1_b32 s36, s40, exec_lo
.LBB6_42:                               ;   in Loop: Header=BB6_3 Depth=1
	s_or_b32 exec_lo, exec_lo, s35
	s_mov_b32 s40, s19
	s_and_saveexec_b32 s35, s36
	s_cbranch_execz .LBB6_46
; %bb.43:                               ;   in Loop: Header=BB6_3 Depth=1
	v_cndmask_b32_e64 v3, 0, v35, s2
	s_mov_b32 s36, 0
	s_delay_alu instid0(VALU_DEP_1) | instskip(NEXT) | instid1(VALU_DEP_1)
	v_lshlrev_b64 v[11:12], 3, v[3:4]
	v_add_co_u32 v11, vcc_lo, s8, v11
	s_delay_alu instid0(VALU_DEP_2) | instskip(SKIP_4) | instid1(VALU_DEP_1)
	v_add_co_ci_u32_e32 v12, vcc_lo, s9, v12, vcc_lo
	global_load_b64 v[11:12], v[11:12], off
	s_waitcnt vmcnt(0)
	v_cmp_le_f64_e32 vcc_lo, 0, v[11:12]
	v_cmp_ge_f64_e64 s2, 1.0, v[11:12]
	s_and_b32 s2, vcc_lo, s2
	s_delay_alu instid0(SALU_CYCLE_1) | instskip(NEXT) | instid1(SALU_CYCLE_1)
	s_and_saveexec_b32 s38, s2
	s_xor_b32 s2, exec_lo, s38
	s_cbranch_execz .LBB6_45
; %bb.44:                               ;   in Loop: Header=BB6_3 Depth=1
	v_cvt_f32_u32_e32 v3, v16
	v_lshlrev_b64 v[8:9], 3, v[8:9]
	s_mov_b32 s36, exec_lo
	s_delay_alu instid0(VALU_DEP_2) | instskip(NEXT) | instid1(VALU_DEP_2)
	v_fmaak_f32 v3, 0x2f800000, v3, 0x2f800000
	v_add_co_u32 v8, vcc_lo, s12, v8
	s_delay_alu instid0(VALU_DEP_3) | instskip(NEXT) | instid1(VALU_DEP_3)
	v_add_co_ci_u32_e32 v9, vcc_lo, s13, v9, vcc_lo
	v_cvt_f64_f32_e32 v[13:14], v3
	s_delay_alu instid0(VALU_DEP_1)
	v_cmp_ge_f64_e32 vcc_lo, v[11:12], v[13:14]
	v_mov_b32_e32 v11, v4
	v_cndmask_b32_e64 v12, 0, 0x3ff00000, vcc_lo
	global_store_b64 v[8:9], v[11:12], off
.LBB6_45:                               ;   in Loop: Header=BB6_3 Depth=1
	s_or_b32 exec_lo, exec_lo, s2
	s_delay_alu instid0(SALU_CYCLE_1)
	s_and_not1_b32 s40, s19, exec_lo
	s_or_b32 s19, s19, exec_lo
	s_and_not1_b32 s3, s3, exec_lo
	s_and_b32 s38, s36, exec_lo
.LBB6_46:                               ;   in Loop: Header=BB6_3 Depth=1
	s_or_b32 exec_lo, exec_lo, s35
	s_delay_alu instid0(SALU_CYCLE_1)
	s_and_b32 s36, s40, exec_lo
	s_and_b32 s35, s19, exec_lo
	;; [unrolled: 1-line block ×5, first 2 shown]
.LBB6_47:                               ;   in Loop: Header=BB6_3 Depth=1
	s_and_not1_saveexec_b32 s2, s37
; %bb.48:                               ;   in Loop: Header=BB6_3 Depth=1
	v_cmp_lt_i32_e32 vcc_lo, 1, v17
	s_and_not1_b32 s37, s39, exec_lo
	s_mov_b32 s18, exec_lo
	s_and_not1_b32 s36, s36, exec_lo
	s_and_not1_b32 s35, s35, exec_lo
	s_and_b32 s38, vcc_lo, exec_lo
	s_and_not1_b32 s19, s19, exec_lo
	s_or_b32 s39, s37, s38
; %bb.49:                               ;   in Loop: Header=BB6_3 Depth=1
	s_or_b32 exec_lo, exec_lo, s2
	s_mov_b32 s37, 0
	s_mov_b32 s2, s36
	s_and_saveexec_b32 s38, s39
	s_cbranch_execnz .LBB6_52
; %bb.50:                               ;   in Loop: Header=BB6_3 Depth=1
	s_or_b32 exec_lo, exec_lo, s38
	s_and_saveexec_b32 s1, s18
	s_cbranch_execnz .LBB6_55
.LBB6_51:                               ;   in Loop: Header=BB6_3 Depth=1
	s_or_b32 exec_lo, exec_lo, s1
	s_and_saveexec_b32 s1, s37
	s_cbranch_execnz .LBB6_56
	s_branch .LBB6_59
.LBB6_52:                               ;   in Loop: Header=BB6_3 Depth=1
	v_cndmask_b32_e64 v3, 0, v34, s1
	s_delay_alu instid0(VALU_DEP_1) | instskip(NEXT) | instid1(VALU_DEP_1)
	v_lshlrev_b64 v[8:9], 3, v[3:4]
	v_add_co_u32 v8, vcc_lo, s8, v8
	s_delay_alu instid0(VALU_DEP_2) | instskip(SKIP_4) | instid1(VALU_DEP_1)
	v_add_co_ci_u32_e32 v9, vcc_lo, s9, v9, vcc_lo
	global_load_b64 v[8:9], v[8:9], off
	s_waitcnt vmcnt(0)
	v_cmp_le_f64_e32 vcc_lo, 0, v[8:9]
	v_cmp_ge_f64_e64 s1, 1.0, v[8:9]
	s_and_b32 s1, vcc_lo, s1
	s_delay_alu instid0(SALU_CYCLE_1) | instskip(NEXT) | instid1(SALU_CYCLE_1)
	s_and_saveexec_b32 s2, s1
	s_xor_b32 s1, exec_lo, s2
	s_cbranch_execz .LBB6_54
; %bb.53:                               ;   in Loop: Header=BB6_3 Depth=1
	v_cvt_f32_u32_e32 v3, v19
	v_lshlrev_b64 v[6:7], 3, v[6:7]
	s_mov_b32 s37, exec_lo
	s_delay_alu instid0(VALU_DEP_2) | instskip(NEXT) | instid1(VALU_DEP_2)
	v_fmaak_f32 v3, 0x2f800000, v3, 0x2f800000
	v_add_co_u32 v6, vcc_lo, s12, v6
	s_delay_alu instid0(VALU_DEP_3) | instskip(NEXT) | instid1(VALU_DEP_3)
	v_add_co_ci_u32_e32 v7, vcc_lo, s13, v7, vcc_lo
	v_cvt_f64_f32_e32 v[11:12], v3
	s_delay_alu instid0(VALU_DEP_1)
	v_cmp_ge_f64_e32 vcc_lo, v[8:9], v[11:12]
	v_mov_b32_e32 v8, v4
	v_cndmask_b32_e64 v9, 0, 0x3ff00000, vcc_lo
	global_store_b64 v[6:7], v[8:9], off
.LBB6_54:                               ;   in Loop: Header=BB6_3 Depth=1
	s_or_b32 exec_lo, exec_lo, s1
	s_delay_alu instid0(SALU_CYCLE_1)
	s_and_not1_b32 s2, s36, exec_lo
	s_or_b32 s36, s36, exec_lo
	s_and_not1_b32 s35, s35, exec_lo
	s_and_not1_b32 s19, s19, exec_lo
	s_and_b32 s37, s37, exec_lo
	s_and_not1_b32 s18, s18, exec_lo
	s_or_b32 exec_lo, exec_lo, s38
	s_and_saveexec_b32 s1, s18
	s_cbranch_execz .LBB6_51
.LBB6_55:                               ;   in Loop: Header=BB6_3 Depth=1
	v_cmp_eq_u32_e32 vcc_lo, 1, v17
	s_and_not1_b32 s18, s37, exec_lo
	s_and_not1_b32 s2, s2, exec_lo
	;; [unrolled: 1-line block ×4, first 2 shown]
	s_and_b32 s37, vcc_lo, exec_lo
	s_and_not1_b32 s19, s19, exec_lo
	s_or_b32 s3, s3, exec_lo
	s_or_b32 s37, s18, s37
	s_or_b32 exec_lo, exec_lo, s1
	s_and_saveexec_b32 s1, s37
	s_cbranch_execz .LBB6_59
.LBB6_56:                               ;   in Loop: Header=BB6_3 Depth=1
	v_cndmask_b32_e64 v3, 0, v0, s0
	s_mov_b32 s18, 0
	s_delay_alu instid0(VALU_DEP_1) | instskip(NEXT) | instid1(VALU_DEP_1)
	v_lshlrev_b64 v[6:7], 3, v[3:4]
	v_add_co_u32 v6, vcc_lo, s8, v6
	s_delay_alu instid0(VALU_DEP_2) | instskip(SKIP_4) | instid1(VALU_DEP_1)
	v_add_co_ci_u32_e32 v7, vcc_lo, s9, v7, vcc_lo
	global_load_b64 v[7:8], v[6:7], off
	s_waitcnt vmcnt(0)
	v_cmp_le_f64_e32 vcc_lo, 0, v[7:8]
	v_cmp_ge_f64_e64 s0, 1.0, v[7:8]
	s_and_b32 s37, vcc_lo, s0
	s_delay_alu instid0(SALU_CYCLE_1)
	s_and_saveexec_b32 s0, s37
	s_cbranch_execz .LBB6_58
; %bb.57:                               ;   in Loop: Header=BB6_3 Depth=1
	v_cvt_f32_u32_e32 v0, v10
	v_mov_b32_e32 v6, v4
	s_mov_b32 s18, exec_lo
	s_delay_alu instid0(VALU_DEP_2) | instskip(NEXT) | instid1(VALU_DEP_2)
	v_fmaak_f32 v0, 0x2f800000, v0, 0x2f800000
	v_lshlrev_b64 v[5:6], 3, v[5:6]
	s_delay_alu instid0(VALU_DEP_2) | instskip(NEXT) | instid1(VALU_DEP_2)
	v_cvt_f64_f32_e32 v[9:10], v0
	v_add_co_u32 v5, vcc_lo, s12, v5
	s_delay_alu instid0(VALU_DEP_3) | instskip(NEXT) | instid1(VALU_DEP_3)
	v_add_co_ci_u32_e32 v6, vcc_lo, s13, v6, vcc_lo
	v_cmp_ge_f64_e32 vcc_lo, v[7:8], v[9:10]
	v_mov_b32_e32 v7, v4
	v_cndmask_b32_e64 v8, 0, 0x3ff00000, vcc_lo
	global_store_b64 v[5:6], v[7:8], off
.LBB6_58:                               ;   in Loop: Header=BB6_3 Depth=1
	s_or_b32 exec_lo, exec_lo, s0
	s_delay_alu instid0(SALU_CYCLE_1)
	s_and_not1_b32 s0, s3, exec_lo
	s_and_b32 s3, s18, exec_lo
	s_or_b32 s2, s2, exec_lo
	s_and_not1_b32 s36, s36, exec_lo
	s_and_not1_b32 s35, s35, exec_lo
	;; [unrolled: 1-line block ×3, first 2 shown]
	s_or_b32 s3, s0, s3
.LBB6_59:                               ;   in Loop: Header=BB6_3 Depth=1
	s_or_b32 exec_lo, exec_lo, s1
	s_delay_alu instid0(SALU_CYCLE_1)
	s_and_not1_b32 s1, s34, exec_lo
	s_and_b32 s2, s2, exec_lo
	s_and_not1_b32 s18, s31, exec_lo
	s_and_b32 s31, s36, exec_lo
	s_or_b32 s34, s1, s2
	s_or_b32 s31, s18, s31
	s_and_not1_b32 s1, s33, exec_lo
	s_and_b32 s2, s35, exec_lo
	s_and_not1_b32 s18, s30, exec_lo
	s_and_b32 s19, s19, exec_lo
	s_mov_b32 s0, -1
	s_or_b32 s33, s1, s2
	s_or_b32 s30, s18, s19
	s_and_saveexec_b32 s1, s3
	s_cbranch_execz .LBB6_2
; %bb.60:                               ;   in Loop: Header=BB6_3 Depth=1
	v_add_nc_u32_e32 v31, s25, v31
	s_and_not1_b32 s34, s34, exec_lo
	s_and_not1_b32 s31, s31, exec_lo
	;; [unrolled: 1-line block ×4, first 2 shown]
	v_cmp_le_u32_e32 vcc_lo, s20, v31
	s_or_not1_b32 s0, vcc_lo, exec_lo
	s_branch .LBB6_2
.LBB6_61:
	s_or_b32 exec_lo, exec_lo, s15
	s_xor_b32 s3, s28, -1
	s_xor_b32 s4, s29, -1
	;; [unrolled: 1-line block ×3, first 2 shown]
	s_mov_b32 s1, 0
	s_and_saveexec_b32 s2, s0
	s_delay_alu instid0(SALU_CYCLE_1)
	s_xor_b32 s0, exec_lo, s2
	s_cbranch_execz .LBB6_70
; %bb.62:
	s_mov_b32 s2, 0
	s_and_saveexec_b32 s1, s4
	s_delay_alu instid0(SALU_CYCLE_1)
	s_xor_b32 s1, exec_lo, s1
	s_cbranch_execz .LBB6_68
; %bb.63:
	s_and_saveexec_b32 s4, s3
	s_delay_alu instid0(SALU_CYCLE_1)
	s_xor_b32 s3, exec_lo, s4
	s_cbranch_execz .LBB6_66
; %bb.64:
	s_and_saveexec_b32 s4, s14
	s_delay_alu instid0(SALU_CYCLE_1)
	s_xor_b32 s4, exec_lo, s4
	s_cbranch_execnz .LBB6_84
.LBB6_65:
	s_or_b32 exec_lo, exec_lo, s4
	s_delay_alu instid0(SALU_CYCLE_1)
	s_and_b32 s2, s2, exec_lo
.LBB6_66:
	s_and_not1_saveexec_b32 s3, s3
	s_cbranch_execnz .LBB6_80
.LBB6_67:
	s_or_b32 exec_lo, exec_lo, s3
	s_delay_alu instid0(SALU_CYCLE_1)
	s_and_b32 s2, s2, exec_lo
.LBB6_68:
	s_and_not1_saveexec_b32 s1, s1
	s_cbranch_execnz .LBB6_76
.LBB6_69:
	s_or_b32 exec_lo, exec_lo, s1
	s_delay_alu instid0(SALU_CYCLE_1)
	s_and_b32 s1, s2, exec_lo
.LBB6_70:
	s_and_not1_saveexec_b32 s0, s0
	s_cbranch_execnz .LBB6_74
; %bb.71:
	s_or_b32 exec_lo, exec_lo, s0
	s_delay_alu instid0(SALU_CYCLE_1)
	s_and_b32 exec_lo, exec_lo, s1
.LBB6_72:
	; divergent unreachable
.LBB6_73:
	s_nop 0
	s_sendmsg sendmsg(MSG_DEALLOC_VGPRS)
	s_endpgm
.LBB6_74:
	s_cbranch_execnz .LBB6_78
; %bb.75:
	s_or_b32 s1, s1, exec_lo
	s_or_b32 exec_lo, exec_lo, s0
	s_delay_alu instid0(SALU_CYCLE_1)
	s_and_b32 exec_lo, exec_lo, s1
	s_cbranch_execnz .LBB6_72
	s_branch .LBB6_73
.LBB6_76:
	s_cbranch_execnz .LBB6_82
; %bb.77:
	s_or_b32 s2, s2, exec_lo
	s_branch .LBB6_69
.LBB6_78:
	s_trap 2
	s_sendmsg_rtn_b32 s0, sendmsg(MSG_RTN_GET_DOORBELL)
	s_mov_b32 ttmp2, m0
	s_waitcnt lgkmcnt(0)
	s_and_b32 s0, s0, 0x3ff
	s_delay_alu instid0(SALU_CYCLE_1) | instskip(NEXT) | instid1(SALU_CYCLE_1)
	s_bitset1_b32 s0, 10
	s_mov_b32 m0, s0
	s_sendmsg sendmsg(MSG_INTERRUPT)
	s_mov_b32 m0, ttmp2
.LBB6_79:                               ; =>This Inner Loop Header: Depth=1
	s_sethalt 5
	s_branch .LBB6_79
.LBB6_80:
	s_cbranch_execnz .LBB6_86
; %bb.81:
	s_or_b32 s2, s2, exec_lo
	s_branch .LBB6_67
.LBB6_82:
	s_trap 2
	s_sendmsg_rtn_b32 s0, sendmsg(MSG_RTN_GET_DOORBELL)
	s_mov_b32 ttmp2, m0
	s_waitcnt lgkmcnt(0)
	s_and_b32 s0, s0, 0x3ff
	s_delay_alu instid0(SALU_CYCLE_1) | instskip(NEXT) | instid1(SALU_CYCLE_1)
	s_bitset1_b32 s0, 10
	s_mov_b32 m0, s0
	s_sendmsg sendmsg(MSG_INTERRUPT)
	s_mov_b32 m0, ttmp2
.LBB6_83:                               ; =>This Inner Loop Header: Depth=1
	s_sethalt 5
	s_branch .LBB6_83
.LBB6_84:
	s_cbranch_execnz .LBB6_88
; %bb.85:
	s_mov_b32 s2, exec_lo
	s_branch .LBB6_65
.LBB6_86:
	s_trap 2
	s_sendmsg_rtn_b32 s0, sendmsg(MSG_RTN_GET_DOORBELL)
	s_mov_b32 ttmp2, m0
	s_waitcnt lgkmcnt(0)
	s_and_b32 s0, s0, 0x3ff
	s_delay_alu instid0(SALU_CYCLE_1) | instskip(NEXT) | instid1(SALU_CYCLE_1)
	s_bitset1_b32 s0, 10
	s_mov_b32 m0, s0
	s_sendmsg sendmsg(MSG_INTERRUPT)
	s_mov_b32 m0, ttmp2
.LBB6_87:                               ; =>This Inner Loop Header: Depth=1
	s_sethalt 5
	s_branch .LBB6_87
.LBB6_88:
	s_trap 2
	s_sendmsg_rtn_b32 s0, sendmsg(MSG_RTN_GET_DOORBELL)
	s_mov_b32 ttmp2, m0
	s_waitcnt lgkmcnt(0)
	s_and_b32 s0, s0, 0x3ff
	s_delay_alu instid0(SALU_CYCLE_1) | instskip(NEXT) | instid1(SALU_CYCLE_1)
	s_bitset1_b32 s0, 10
	s_mov_b32 m0, s0
	s_sendmsg sendmsg(MSG_INTERRUPT)
	s_mov_b32 m0, ttmp2
.LBB6_89:                               ; =>This Inner Loop Header: Depth=1
	s_sethalt 5
	s_branch .LBB6_89
	.section	.rodata,"a",@progbits
	.p2align	6, 0x0
	.amdhsa_kernel _ZN2at4cuda12_GLOBAL__N_121kernelPointwiseApply2IZNS_6native9templates4cuda28bernoulli_tensor_cuda_kernelIddEEvRKNS_10TensorBaseES9_NS_15PhiloxCudaStateEEUliRdSB_SB_SB_RKdSD_SD_SD_E_dSC_jLin1ELi1ELi4ELi512ELi2EEEvNS0_6detail10TensorInfoIT0_T2_EENSG_IT1_SI_EESI_T_
		.amdhsa_group_segment_fixed_size 0
		.amdhsa_private_segment_fixed_size 0
		.amdhsa_kernarg_size 728
		.amdhsa_user_sgpr_count 15
		.amdhsa_user_sgpr_dispatch_ptr 0
		.amdhsa_user_sgpr_queue_ptr 0
		.amdhsa_user_sgpr_kernarg_segment_ptr 1
		.amdhsa_user_sgpr_dispatch_id 0
		.amdhsa_user_sgpr_private_segment_size 0
		.amdhsa_wavefront_size32 1
		.amdhsa_uses_dynamic_stack 0
		.amdhsa_enable_private_segment 0
		.amdhsa_system_sgpr_workgroup_id_x 1
		.amdhsa_system_sgpr_workgroup_id_y 0
		.amdhsa_system_sgpr_workgroup_id_z 0
		.amdhsa_system_sgpr_workgroup_info 0
		.amdhsa_system_vgpr_workitem_id 0
		.amdhsa_next_free_vgpr 43
		.amdhsa_next_free_sgpr 42
		.amdhsa_reserve_vcc 1
		.amdhsa_float_round_mode_32 0
		.amdhsa_float_round_mode_16_64 0
		.amdhsa_float_denorm_mode_32 3
		.amdhsa_float_denorm_mode_16_64 3
		.amdhsa_dx10_clamp 1
		.amdhsa_ieee_mode 1
		.amdhsa_fp16_overflow 0
		.amdhsa_workgroup_processor_mode 1
		.amdhsa_memory_ordered 1
		.amdhsa_forward_progress 0
		.amdhsa_shared_vgpr_count 0
		.amdhsa_exception_fp_ieee_invalid_op 0
		.amdhsa_exception_fp_denorm_src 0
		.amdhsa_exception_fp_ieee_div_zero 0
		.amdhsa_exception_fp_ieee_overflow 0
		.amdhsa_exception_fp_ieee_underflow 0
		.amdhsa_exception_fp_ieee_inexact 0
		.amdhsa_exception_int_div_zero 0
	.end_amdhsa_kernel
	.section	.text._ZN2at4cuda12_GLOBAL__N_121kernelPointwiseApply2IZNS_6native9templates4cuda28bernoulli_tensor_cuda_kernelIddEEvRKNS_10TensorBaseES9_NS_15PhiloxCudaStateEEUliRdSB_SB_SB_RKdSD_SD_SD_E_dSC_jLin1ELi1ELi4ELi512ELi2EEEvNS0_6detail10TensorInfoIT0_T2_EENSG_IT1_SI_EESI_T_,"axG",@progbits,_ZN2at4cuda12_GLOBAL__N_121kernelPointwiseApply2IZNS_6native9templates4cuda28bernoulli_tensor_cuda_kernelIddEEvRKNS_10TensorBaseES9_NS_15PhiloxCudaStateEEUliRdSB_SB_SB_RKdSD_SD_SD_E_dSC_jLin1ELi1ELi4ELi512ELi2EEEvNS0_6detail10TensorInfoIT0_T2_EENSG_IT1_SI_EESI_T_,comdat
.Lfunc_end6:
	.size	_ZN2at4cuda12_GLOBAL__N_121kernelPointwiseApply2IZNS_6native9templates4cuda28bernoulli_tensor_cuda_kernelIddEEvRKNS_10TensorBaseES9_NS_15PhiloxCudaStateEEUliRdSB_SB_SB_RKdSD_SD_SD_E_dSC_jLin1ELi1ELi4ELi512ELi2EEEvNS0_6detail10TensorInfoIT0_T2_EENSG_IT1_SI_EESI_T_, .Lfunc_end6-_ZN2at4cuda12_GLOBAL__N_121kernelPointwiseApply2IZNS_6native9templates4cuda28bernoulli_tensor_cuda_kernelIddEEvRKNS_10TensorBaseES9_NS_15PhiloxCudaStateEEUliRdSB_SB_SB_RKdSD_SD_SD_E_dSC_jLin1ELi1ELi4ELi512ELi2EEEvNS0_6detail10TensorInfoIT0_T2_EENSG_IT1_SI_EESI_T_
                                        ; -- End function
	.section	.AMDGPU.csdata,"",@progbits
; Kernel info:
; codeLenInByte = 4336
; NumSgprs: 44
; NumVgprs: 43
; ScratchSize: 0
; MemoryBound: 0
; FloatMode: 240
; IeeeMode: 1
; LDSByteSize: 0 bytes/workgroup (compile time only)
; SGPRBlocks: 5
; VGPRBlocks: 5
; NumSGPRsForWavesPerEU: 44
; NumVGPRsForWavesPerEU: 43
; Occupancy: 16
; WaveLimiterHint : 1
; COMPUTE_PGM_RSRC2:SCRATCH_EN: 0
; COMPUTE_PGM_RSRC2:USER_SGPR: 15
; COMPUTE_PGM_RSRC2:TRAP_HANDLER: 0
; COMPUTE_PGM_RSRC2:TGID_X_EN: 1
; COMPUTE_PGM_RSRC2:TGID_Y_EN: 0
; COMPUTE_PGM_RSRC2:TGID_Z_EN: 0
; COMPUTE_PGM_RSRC2:TIDIG_COMP_CNT: 0
	.section	.text._ZN2at4cuda12_GLOBAL__N_121kernelPointwiseApply2IZNS_6native9templates4cuda28bernoulli_tensor_cuda_kernelIddEEvRKNS_10TensorBaseES9_NS_15PhiloxCudaStateEEUliRdSB_SB_SB_RKdSD_SD_SD_E_dSC_jLin1ELi2ELi4ELi512ELi2EEEvNS0_6detail10TensorInfoIT0_T2_EENSG_IT1_SI_EESI_T_,"axG",@progbits,_ZN2at4cuda12_GLOBAL__N_121kernelPointwiseApply2IZNS_6native9templates4cuda28bernoulli_tensor_cuda_kernelIddEEvRKNS_10TensorBaseES9_NS_15PhiloxCudaStateEEUliRdSB_SB_SB_RKdSD_SD_SD_E_dSC_jLin1ELi2ELi4ELi512ELi2EEEvNS0_6detail10TensorInfoIT0_T2_EENSG_IT1_SI_EESI_T_,comdat
	.globl	_ZN2at4cuda12_GLOBAL__N_121kernelPointwiseApply2IZNS_6native9templates4cuda28bernoulli_tensor_cuda_kernelIddEEvRKNS_10TensorBaseES9_NS_15PhiloxCudaStateEEUliRdSB_SB_SB_RKdSD_SD_SD_E_dSC_jLin1ELi2ELi4ELi512ELi2EEEvNS0_6detail10TensorInfoIT0_T2_EENSG_IT1_SI_EESI_T_ ; -- Begin function _ZN2at4cuda12_GLOBAL__N_121kernelPointwiseApply2IZNS_6native9templates4cuda28bernoulli_tensor_cuda_kernelIddEEvRKNS_10TensorBaseES9_NS_15PhiloxCudaStateEEUliRdSB_SB_SB_RKdSD_SD_SD_E_dSC_jLin1ELi2ELi4ELi512ELi2EEEvNS0_6detail10TensorInfoIT0_T2_EENSG_IT1_SI_EESI_T_
	.p2align	8
	.type	_ZN2at4cuda12_GLOBAL__N_121kernelPointwiseApply2IZNS_6native9templates4cuda28bernoulli_tensor_cuda_kernelIddEEvRKNS_10TensorBaseES9_NS_15PhiloxCudaStateEEUliRdSB_SB_SB_RKdSD_SD_SD_E_dSC_jLin1ELi2ELi4ELi512ELi2EEEvNS0_6detail10TensorInfoIT0_T2_EENSG_IT1_SI_EESI_T_,@function
_ZN2at4cuda12_GLOBAL__N_121kernelPointwiseApply2IZNS_6native9templates4cuda28bernoulli_tensor_cuda_kernelIddEEvRKNS_10TensorBaseES9_NS_15PhiloxCudaStateEEUliRdSB_SB_SB_RKdSD_SD_SD_E_dSC_jLin1ELi2ELi4ELi512ELi2EEEvNS0_6detail10TensorInfoIT0_T2_EENSG_IT1_SI_EESI_T_: ; @_ZN2at4cuda12_GLOBAL__N_121kernelPointwiseApply2IZNS_6native9templates4cuda28bernoulli_tensor_cuda_kernelIddEEvRKNS_10TensorBaseES9_NS_15PhiloxCudaStateEEUliRdSB_SB_SB_RKdSD_SD_SD_E_dSC_jLin1ELi2ELi4ELi512ELi2EEEvNS0_6detail10TensorInfoIT0_T2_EENSG_IT1_SI_EESI_T_
; %bb.0:
	s_clause 0x1
	s_load_b32 s2, s[0:1], 0x1e4
	s_load_b32 s20, s[0:1], 0x1b0
	s_add_u32 s4, s0, 0x1d8
	s_addc_u32 s5, s1, 0
	s_waitcnt lgkmcnt(0)
	s_and_b32 s12, s2, 0xffff
	s_mov_b32 s2, exec_lo
	v_mad_u64_u32 v[1:2], null, s15, s12, v[0:1]
	s_delay_alu instid0(VALU_DEP_1) | instskip(NEXT) | instid1(VALU_DEP_1)
	v_lshlrev_b32_e32 v34, 2, v1
	v_cmpx_gt_u32_e64 s20, v34
	s_cbranch_execz .LBB7_81
; %bb.1:
	s_clause 0x3
	s_load_b32 s21, s[0:1], 0xe4
	s_load_b32 s18, s[0:1], 0xd0
	s_load_b64 s[2:3], s[0:1], 0x144
	s_load_b32 s6, s[0:1], 0x1d0
	v_mad_u64_u32 v[2:3], null, 0xcd9e8d57, v1, 0
	s_load_b32 s16, s[4:5], 0x0
	s_clause 0x2
	s_load_b32 s22, s[0:1], 0x6c
	s_load_b64 s[8:9], s[0:1], 0xd8
	s_load_b64 s[14:15], s[0:1], 0x0
	v_mov_b32_e32 v4, 0
                                        ; implicit-def: $sgpr26
                                        ; implicit-def: $sgpr28
                                        ; implicit-def: $sgpr27
                                        ; implicit-def: $sgpr29
                                        ; implicit-def: $sgpr31
                                        ; implicit-def: $sgpr30
                                        ; implicit-def: $sgpr33
	s_delay_alu instid0(VALU_DEP_2)
	v_mov_b32_e32 v35, v3
	s_waitcnt lgkmcnt(0)
	v_cvt_f32_u32_e32 v0, s21
	s_cmp_gt_i32 s18, 1
	s_cselect_b32 s23, -1, 0
	s_bitcmp1_b32 s6, 0
	s_delay_alu instid0(VALU_DEP_1)
	v_rcp_iflag_f32_e32 v0, v0
	s_cselect_b32 s24, -1, 0
	s_sub_i32 s13, 0, s21
	s_clause 0x1
	s_load_b64 s[10:11], s[0:1], 0x1c8
	s_load_b128 s[4:7], s[0:1], 0x1b8
	s_mul_i32 s16, s16, s12
	s_add_i32 s12, s18, -1
	s_lshl_b32 s25, s16, 2
	s_waitcnt_depctr 0xfff
	v_mul_f32_e32 v0, 0x4f7ffffe, v0
	s_delay_alu instid0(VALU_DEP_1) | instskip(NEXT) | instid1(VALU_DEP_1)
	v_cvt_u32_f32_e32 v0, v0
	v_mul_lo_u32 v5, s13, v0
	s_mov_b32 s13, 0
	s_delay_alu instid0(SALU_CYCLE_1) | instskip(SKIP_4) | instid1(VALU_DEP_1)
	s_lshl_b64 s[16:17], s[12:13], 2
	s_add_i32 s12, s18, 1
	s_add_u32 s0, s16, s0
	s_addc_u32 s1, s17, s1
	s_add_u32 s16, s0, 8
	v_mul_hi_u32 v5, v0, v5
	s_addc_u32 s17, s1, 0
                                        ; implicit-def: $sgpr1
	s_delay_alu instid0(VALU_DEP_1)
	v_add_nc_u32_e32 v36, v0, v5
	s_branch .LBB7_3
.LBB7_2:                                ;   in Loop: Header=BB7_3 Depth=1
	s_or_b32 exec_lo, exec_lo, s18
	s_delay_alu instid0(SALU_CYCLE_1) | instskip(NEXT) | instid1(SALU_CYCLE_1)
	s_and_b32 s0, exec_lo, s0
	s_or_b32 s13, s0, s13
	s_and_not1_b32 s0, s1, exec_lo
	s_and_b32 s1, s33, exec_lo
	s_and_not1_b32 s18, s27, exec_lo
	s_and_b32 s19, s30, exec_lo
	s_or_b32 s1, s0, s1
	s_or_b32 s27, s18, s19
	s_and_not1_b32 s0, s28, exec_lo
	s_and_b32 s18, s31, exec_lo
	s_and_not1_b32 s19, s26, exec_lo
	s_and_b32 s26, s29, exec_lo
	s_or_b32 s28, s0, s18
	s_or_b32 s26, s19, s26
	s_and_not1_b32 exec_lo, exec_lo, s13
	s_cbranch_execz .LBB7_69
.LBB7_3:                                ; =>This Loop Header: Depth=1
                                        ;     Child Loop BB7_6 Depth 2
                                        ;     Child Loop BB7_13 Depth 2
	;; [unrolled: 1-line block ×4, first 2 shown]
	v_sub_nc_u32_e32 v37, s20, v34
	v_mov_b32_e32 v5, 0
	s_delay_alu instid0(VALU_DEP_2) | instskip(NEXT) | instid1(VALU_DEP_1)
	v_cmp_lt_i32_e64 s0, 0, v37
	s_and_saveexec_b32 s34, s0
	s_cbranch_execz .LBB7_8
; %bb.4:                                ;   in Loop: Header=BB7_3 Depth=1
	v_dual_mov_b32 v0, 0 :: v_dual_mov_b32 v3, v34
	s_and_not1_b32 vcc_lo, exec_lo, s23
	s_cbranch_vccnz .LBB7_7
; %bb.5:                                ;   in Loop: Header=BB7_3 Depth=1
	v_dual_mov_b32 v0, 0 :: v_dual_mov_b32 v3, v34
	s_mov_b64 s[18:19], s[16:17]
	s_mov_b32 s35, s12
	s_set_inst_prefetch_distance 0x1
	.p2align	6
.LBB7_6:                                ;   Parent Loop BB7_3 Depth=1
                                        ; =>  This Inner Loop Header: Depth=2
	s_clause 0x1
	s_load_b32 s36, s[18:19], 0x0
	s_load_b32 s37, s[18:19], 0x64
	v_mov_b32_e32 v7, v3
	s_add_i32 s35, s35, -1
	s_waitcnt lgkmcnt(0)
	v_cvt_f32_u32_e32 v5, s36
	s_sub_i32 s38, 0, s36
	s_add_u32 s18, s18, -4
	s_addc_u32 s19, s19, -1
	s_cmp_gt_u32 s35, 2
	v_rcp_iflag_f32_e32 v5, v5
	s_waitcnt_depctr 0xfff
	v_mul_f32_e32 v5, 0x4f7ffffe, v5
	s_delay_alu instid0(VALU_DEP_1) | instskip(NEXT) | instid1(VALU_DEP_1)
	v_cvt_u32_f32_e32 v5, v5
	v_mul_lo_u32 v6, s38, v5
	s_delay_alu instid0(VALU_DEP_1) | instskip(NEXT) | instid1(VALU_DEP_1)
	v_mul_hi_u32 v6, v5, v6
	v_add_nc_u32_e32 v3, v5, v6
	s_delay_alu instid0(VALU_DEP_1) | instskip(NEXT) | instid1(VALU_DEP_1)
	v_mul_hi_u32 v3, v7, v3
	v_add_nc_u32_e32 v6, 1, v3
	v_mul_lo_u32 v5, v3, s36
	s_delay_alu instid0(VALU_DEP_1) | instskip(NEXT) | instid1(VALU_DEP_1)
	v_sub_nc_u32_e32 v5, v7, v5
	v_subrev_nc_u32_e32 v8, s36, v5
	v_cmp_le_u32_e32 vcc_lo, s36, v5
	v_cndmask_b32_e32 v3, v3, v6, vcc_lo
	s_delay_alu instid0(VALU_DEP_1) | instskip(NEXT) | instid1(VALU_DEP_1)
	v_dual_cndmask_b32 v5, v5, v8 :: v_dual_add_nc_u32 v6, 1, v3
	v_cmp_le_u32_e32 vcc_lo, s36, v5
	s_delay_alu instid0(VALU_DEP_2) | instskip(NEXT) | instid1(VALU_DEP_1)
	v_cndmask_b32_e32 v3, v3, v6, vcc_lo
	v_mul_lo_u32 v5, v3, s36
	s_delay_alu instid0(VALU_DEP_1) | instskip(NEXT) | instid1(VALU_DEP_1)
	v_sub_nc_u32_e32 v7, v7, v5
	v_mad_u64_u32 v[5:6], null, s37, v7, v[0:1]
	s_delay_alu instid0(VALU_DEP_1)
	v_mov_b32_e32 v0, v5
	s_cbranch_scc1 .LBB7_6
.LBB7_7:                                ;   in Loop: Header=BB7_3 Depth=1
	s_set_inst_prefetch_distance 0x2
	s_delay_alu instid0(VALU_DEP_1)
	v_mad_u64_u32 v[5:6], null, s22, v3, v[0:1]
.LBB7_8:                                ;   in Loop: Header=BB7_3 Depth=1
	s_or_b32 exec_lo, exec_lo, s34
	v_mov_b32_e32 v8, 0
	v_mov_b32_e32 v6, 0
	s_and_saveexec_b32 s18, s0
	s_cbranch_execz .LBB7_10
; %bb.9:                                ;   in Loop: Header=BB7_3 Depth=1
	v_mul_hi_u32 v0, v34, v36
	s_delay_alu instid0(VALU_DEP_1) | instskip(NEXT) | instid1(VALU_DEP_1)
	v_mul_lo_u32 v3, v0, s21
	v_sub_nc_u32_e32 v3, v34, v3
	s_delay_alu instid0(VALU_DEP_1) | instskip(SKIP_1) | instid1(VALU_DEP_2)
	v_subrev_nc_u32_e32 v7, s21, v3
	v_cmp_le_u32_e32 vcc_lo, s21, v3
	v_dual_cndmask_b32 v3, v3, v7 :: v_dual_add_nc_u32 v6, 1, v0
	s_delay_alu instid0(VALU_DEP_1) | instskip(NEXT) | instid1(VALU_DEP_2)
	v_cndmask_b32_e32 v0, v0, v6, vcc_lo
	v_cmp_le_u32_e32 vcc_lo, s21, v3
	s_delay_alu instid0(VALU_DEP_2) | instskip(NEXT) | instid1(VALU_DEP_1)
	v_add_nc_u32_e32 v6, 1, v0
	v_cndmask_b32_e32 v3, v0, v6, vcc_lo
	s_delay_alu instid0(VALU_DEP_1) | instskip(NEXT) | instid1(VALU_DEP_1)
	v_mul_lo_u32 v0, v3, s21
	v_sub_nc_u32_e32 v0, v34, v0
	s_delay_alu instid0(VALU_DEP_1) | instskip(NEXT) | instid1(VALU_DEP_1)
	v_mul_lo_u32 v0, v0, s3
	v_mad_u64_u32 v[6:7], null, v3, s2, v[0:1]
.LBB7_10:                               ;   in Loop: Header=BB7_3 Depth=1
	s_or_b32 exec_lo, exec_lo, s18
	v_or_b32_e32 v7, 1, v34
	v_cmp_lt_i32_e64 s0, 1, v37
	s_delay_alu instid0(VALU_DEP_1)
	s_and_saveexec_b32 s34, s0
	s_cbranch_execz .LBB7_15
; %bb.11:                               ;   in Loop: Header=BB7_3 Depth=1
	s_delay_alu instid0(VALU_DEP_2)
	v_dual_mov_b32 v0, 0 :: v_dual_mov_b32 v3, v7
	s_and_not1_b32 vcc_lo, exec_lo, s23
	s_cbranch_vccnz .LBB7_14
; %bb.12:                               ;   in Loop: Header=BB7_3 Depth=1
	v_dual_mov_b32 v0, 0 :: v_dual_mov_b32 v3, v7
	s_mov_b64 s[18:19], s[16:17]
	s_mov_b32 s35, s12
	s_set_inst_prefetch_distance 0x1
	.p2align	6
.LBB7_13:                               ;   Parent Loop BB7_3 Depth=1
                                        ; =>  This Inner Loop Header: Depth=2
	s_clause 0x1
	s_load_b32 s36, s[18:19], 0x0
	s_load_b32 s37, s[18:19], 0x64
	s_add_i32 s35, s35, -1
	s_waitcnt lgkmcnt(0)
	v_cvt_f32_u32_e32 v8, s36
	s_sub_i32 s38, 0, s36
	s_add_u32 s18, s18, -4
	s_addc_u32 s19, s19, -1
	s_cmp_gt_u32 s35, 2
	v_rcp_iflag_f32_e32 v8, v8
	s_waitcnt_depctr 0xfff
	v_mul_f32_e32 v8, 0x4f7ffffe, v8
	s_delay_alu instid0(VALU_DEP_1) | instskip(NEXT) | instid1(VALU_DEP_1)
	v_cvt_u32_f32_e32 v8, v8
	v_mul_lo_u32 v9, s38, v8
	s_delay_alu instid0(VALU_DEP_1) | instskip(NEXT) | instid1(VALU_DEP_1)
	v_mul_hi_u32 v9, v8, v9
	v_dual_mov_b32 v10, v3 :: v_dual_add_nc_u32 v3, v8, v9
	s_delay_alu instid0(VALU_DEP_1) | instskip(NEXT) | instid1(VALU_DEP_1)
	v_mul_hi_u32 v3, v10, v3
	v_mul_lo_u32 v8, v3, s36
	v_add_nc_u32_e32 v9, 1, v3
	s_delay_alu instid0(VALU_DEP_2) | instskip(NEXT) | instid1(VALU_DEP_1)
	v_sub_nc_u32_e32 v8, v10, v8
	v_subrev_nc_u32_e32 v11, s36, v8
	v_cmp_le_u32_e32 vcc_lo, s36, v8
	s_delay_alu instid0(VALU_DEP_2) | instskip(NEXT) | instid1(VALU_DEP_1)
	v_dual_cndmask_b32 v3, v3, v9 :: v_dual_cndmask_b32 v8, v8, v11
	v_add_nc_u32_e32 v9, 1, v3
	s_delay_alu instid0(VALU_DEP_2) | instskip(NEXT) | instid1(VALU_DEP_2)
	v_cmp_le_u32_e32 vcc_lo, s36, v8
	v_cndmask_b32_e32 v3, v3, v9, vcc_lo
	s_delay_alu instid0(VALU_DEP_1) | instskip(NEXT) | instid1(VALU_DEP_1)
	v_mul_lo_u32 v8, v3, s36
	v_sub_nc_u32_e32 v10, v10, v8
	s_delay_alu instid0(VALU_DEP_1) | instskip(NEXT) | instid1(VALU_DEP_1)
	v_mad_u64_u32 v[8:9], null, s37, v10, v[0:1]
	v_mov_b32_e32 v0, v8
	s_cbranch_scc1 .LBB7_13
.LBB7_14:                               ;   in Loop: Header=BB7_3 Depth=1
	s_set_inst_prefetch_distance 0x2
	s_delay_alu instid0(VALU_DEP_1)
	v_mad_u64_u32 v[8:9], null, s22, v3, v[0:1]
.LBB7_15:                               ;   in Loop: Header=BB7_3 Depth=1
	s_or_b32 exec_lo, exec_lo, s34
	v_mov_b32_e32 v3, 0
	s_and_saveexec_b32 s18, s0
	s_cbranch_execz .LBB7_17
; %bb.16:                               ;   in Loop: Header=BB7_3 Depth=1
	v_mul_hi_u32 v0, v7, v36
	s_delay_alu instid0(VALU_DEP_1) | instskip(SKIP_1) | instid1(VALU_DEP_2)
	v_mul_lo_u32 v3, v0, s21
	v_add_nc_u32_e32 v9, 1, v0
	v_sub_nc_u32_e32 v3, v7, v3
	s_delay_alu instid0(VALU_DEP_1) | instskip(SKIP_1) | instid1(VALU_DEP_2)
	v_subrev_nc_u32_e32 v10, s21, v3
	v_cmp_le_u32_e32 vcc_lo, s21, v3
	v_dual_cndmask_b32 v0, v0, v9 :: v_dual_cndmask_b32 v3, v3, v10
	s_delay_alu instid0(VALU_DEP_1) | instskip(NEXT) | instid1(VALU_DEP_2)
	v_add_nc_u32_e32 v9, 1, v0
	v_cmp_le_u32_e32 vcc_lo, s21, v3
	s_delay_alu instid0(VALU_DEP_2) | instskip(NEXT) | instid1(VALU_DEP_1)
	v_cndmask_b32_e32 v3, v0, v9, vcc_lo
	v_mul_lo_u32 v0, v3, s21
	s_delay_alu instid0(VALU_DEP_1) | instskip(NEXT) | instid1(VALU_DEP_1)
	v_sub_nc_u32_e32 v0, v7, v0
	v_mul_lo_u32 v0, v0, s3
	s_delay_alu instid0(VALU_DEP_1) | instskip(NEXT) | instid1(VALU_DEP_1)
	v_mad_u64_u32 v[9:10], null, v3, s2, v[0:1]
	v_mov_b32_e32 v3, v9
.LBB7_17:                               ;   in Loop: Header=BB7_3 Depth=1
	s_or_b32 exec_lo, exec_lo, s18
	v_mov_b32_e32 v9, 0
	v_or_b32_e32 v7, 2, v34
	v_mov_b32_e32 v10, 0
	v_cmp_lt_i32_e64 s0, 2, v37
	s_delay_alu instid0(VALU_DEP_1)
	s_and_saveexec_b32 s34, s0
	s_cbranch_execz .LBB7_22
; %bb.18:                               ;   in Loop: Header=BB7_3 Depth=1
	v_dual_mov_b32 v0, 0 :: v_dual_mov_b32 v11, v7
	s_and_not1_b32 vcc_lo, exec_lo, s23
	s_cbranch_vccnz .LBB7_21
; %bb.19:                               ;   in Loop: Header=BB7_3 Depth=1
	v_dual_mov_b32 v0, 0 :: v_dual_mov_b32 v11, v7
	s_mov_b64 s[18:19], s[16:17]
	s_mov_b32 s35, s12
	s_set_inst_prefetch_distance 0x1
	.p2align	6
.LBB7_20:                               ;   Parent Loop BB7_3 Depth=1
                                        ; =>  This Inner Loop Header: Depth=2
	s_clause 0x1
	s_load_b32 s36, s[18:19], 0x0
	s_load_b32 s37, s[18:19], 0x64
	s_add_i32 s35, s35, -1
	v_mov_b32_e32 v12, v11
	s_waitcnt lgkmcnt(0)
	v_cvt_f32_u32_e32 v9, s36
	s_sub_i32 s38, 0, s36
	s_add_u32 s18, s18, -4
	s_addc_u32 s19, s19, -1
	s_cmp_gt_u32 s35, 2
	v_rcp_iflag_f32_e32 v9, v9
	s_waitcnt_depctr 0xfff
	v_mul_f32_e32 v9, 0x4f7ffffe, v9
	s_delay_alu instid0(VALU_DEP_1) | instskip(NEXT) | instid1(VALU_DEP_1)
	v_cvt_u32_f32_e32 v9, v9
	v_mul_lo_u32 v10, s38, v9
	s_delay_alu instid0(VALU_DEP_1) | instskip(NEXT) | instid1(VALU_DEP_1)
	v_mul_hi_u32 v10, v9, v10
	v_add_nc_u32_e32 v9, v9, v10
	s_delay_alu instid0(VALU_DEP_1) | instskip(NEXT) | instid1(VALU_DEP_1)
	v_mul_hi_u32 v9, v12, v9
	v_mul_lo_u32 v10, v9, s36
	v_add_nc_u32_e32 v11, 1, v9
	s_delay_alu instid0(VALU_DEP_2) | instskip(NEXT) | instid1(VALU_DEP_1)
	v_sub_nc_u32_e32 v10, v12, v10
	v_subrev_nc_u32_e32 v13, s36, v10
	v_cmp_le_u32_e32 vcc_lo, s36, v10
	s_delay_alu instid0(VALU_DEP_2) | instskip(NEXT) | instid1(VALU_DEP_1)
	v_dual_cndmask_b32 v9, v9, v11 :: v_dual_cndmask_b32 v10, v10, v13
	v_add_nc_u32_e32 v11, 1, v9
	s_delay_alu instid0(VALU_DEP_2) | instskip(NEXT) | instid1(VALU_DEP_2)
	v_cmp_le_u32_e32 vcc_lo, s36, v10
	v_cndmask_b32_e32 v11, v9, v11, vcc_lo
	s_delay_alu instid0(VALU_DEP_1) | instskip(NEXT) | instid1(VALU_DEP_1)
	v_mul_lo_u32 v9, v11, s36
	v_sub_nc_u32_e32 v12, v12, v9
	s_delay_alu instid0(VALU_DEP_1) | instskip(NEXT) | instid1(VALU_DEP_1)
	v_mad_u64_u32 v[9:10], null, s37, v12, v[0:1]
	v_mov_b32_e32 v0, v9
	s_cbranch_scc1 .LBB7_20
.LBB7_21:                               ;   in Loop: Header=BB7_3 Depth=1
	s_set_inst_prefetch_distance 0x2
	s_delay_alu instid0(VALU_DEP_1)
	v_mad_u64_u32 v[9:10], null, s22, v11, v[0:1]
	v_mov_b32_e32 v10, v4
.LBB7_22:                               ;   in Loop: Header=BB7_3 Depth=1
	s_or_b32 exec_lo, exec_lo, s34
	v_mov_b32_e32 v15, 0
	v_mov_b32_e32 v16, 0
	s_delay_alu instid0(VALU_DEP_1)
	v_dual_mov_b32 v11, v15 :: v_dual_mov_b32 v12, v16
	s_and_saveexec_b32 s18, s0
	s_cbranch_execz .LBB7_24
; %bb.23:                               ;   in Loop: Header=BB7_3 Depth=1
	v_mul_hi_u32 v0, v7, v36
	s_delay_alu instid0(VALU_DEP_1) | instskip(NEXT) | instid1(VALU_DEP_1)
	v_mul_lo_u32 v11, v0, s21
	v_sub_nc_u32_e32 v11, v7, v11
	s_delay_alu instid0(VALU_DEP_1) | instskip(SKIP_1) | instid1(VALU_DEP_2)
	v_subrev_nc_u32_e32 v13, s21, v11
	v_cmp_le_u32_e32 vcc_lo, s21, v11
	v_dual_cndmask_b32 v11, v11, v13 :: v_dual_add_nc_u32 v12, 1, v0
	s_delay_alu instid0(VALU_DEP_1) | instskip(NEXT) | instid1(VALU_DEP_2)
	v_cndmask_b32_e32 v0, v0, v12, vcc_lo
	v_cmp_le_u32_e32 vcc_lo, s21, v11
	s_delay_alu instid0(VALU_DEP_2) | instskip(NEXT) | instid1(VALU_DEP_1)
	v_add_nc_u32_e32 v12, 1, v0
	v_cndmask_b32_e32 v13, v0, v12, vcc_lo
	s_delay_alu instid0(VALU_DEP_1) | instskip(NEXT) | instid1(VALU_DEP_1)
	v_mul_lo_u32 v0, v13, s21
	v_sub_nc_u32_e32 v0, v7, v0
	s_delay_alu instid0(VALU_DEP_1) | instskip(NEXT) | instid1(VALU_DEP_1)
	v_mul_lo_u32 v0, v0, s3
	v_mad_u64_u32 v[11:12], null, v13, s2, v[0:1]
	v_mov_b32_e32 v12, v4
.LBB7_24:                               ;   in Loop: Header=BB7_3 Depth=1
	s_or_b32 exec_lo, exec_lo, s18
	v_or_b32_e32 v7, 3, v34
	v_cmp_lt_i32_e64 s0, 3, v37
	s_delay_alu instid0(VALU_DEP_1)
	s_and_saveexec_b32 s34, s0
	s_cbranch_execz .LBB7_29
; %bb.25:                               ;   in Loop: Header=BB7_3 Depth=1
	s_delay_alu instid0(VALU_DEP_2)
	v_dual_mov_b32 v0, 0 :: v_dual_mov_b32 v13, v7
	s_and_not1_b32 vcc_lo, exec_lo, s23
	s_cbranch_vccnz .LBB7_28
; %bb.26:                               ;   in Loop: Header=BB7_3 Depth=1
	v_dual_mov_b32 v0, 0 :: v_dual_mov_b32 v13, v7
	s_mov_b64 s[18:19], s[16:17]
	s_mov_b32 s35, s12
	s_set_inst_prefetch_distance 0x1
	.p2align	6
.LBB7_27:                               ;   Parent Loop BB7_3 Depth=1
                                        ; =>  This Inner Loop Header: Depth=2
	s_clause 0x1
	s_load_b32 s36, s[18:19], 0x0
	s_load_b32 s37, s[18:19], 0x64
	s_add_i32 s35, s35, -1
	s_waitcnt lgkmcnt(0)
	v_cvt_f32_u32_e32 v14, s36
	s_sub_i32 s38, 0, s36
	s_add_u32 s18, s18, -4
	s_addc_u32 s19, s19, -1
	s_cmp_gt_u32 s35, 2
	v_rcp_iflag_f32_e32 v14, v14
	s_waitcnt_depctr 0xfff
	v_mul_f32_e32 v14, 0x4f7ffffe, v14
	s_delay_alu instid0(VALU_DEP_1) | instskip(NEXT) | instid1(VALU_DEP_1)
	v_cvt_u32_f32_e32 v14, v14
	v_mul_lo_u32 v15, s38, v14
	s_delay_alu instid0(VALU_DEP_1) | instskip(NEXT) | instid1(VALU_DEP_1)
	v_mul_hi_u32 v15, v14, v15
	v_dual_mov_b32 v16, v13 :: v_dual_add_nc_u32 v13, v14, v15
	s_delay_alu instid0(VALU_DEP_1) | instskip(NEXT) | instid1(VALU_DEP_1)
	v_mul_hi_u32 v13, v16, v13
	v_mul_lo_u32 v14, v13, s36
	v_add_nc_u32_e32 v15, 1, v13
	s_delay_alu instid0(VALU_DEP_2) | instskip(NEXT) | instid1(VALU_DEP_1)
	v_sub_nc_u32_e32 v14, v16, v14
	v_subrev_nc_u32_e32 v17, s36, v14
	v_cmp_le_u32_e32 vcc_lo, s36, v14
	s_delay_alu instid0(VALU_DEP_2) | instskip(NEXT) | instid1(VALU_DEP_1)
	v_dual_cndmask_b32 v13, v13, v15 :: v_dual_cndmask_b32 v14, v14, v17
	v_add_nc_u32_e32 v15, 1, v13
	s_delay_alu instid0(VALU_DEP_2) | instskip(NEXT) | instid1(VALU_DEP_2)
	v_cmp_le_u32_e32 vcc_lo, s36, v14
	v_cndmask_b32_e32 v13, v13, v15, vcc_lo
	s_delay_alu instid0(VALU_DEP_1) | instskip(NEXT) | instid1(VALU_DEP_1)
	v_mul_lo_u32 v14, v13, s36
	v_sub_nc_u32_e32 v16, v16, v14
	s_delay_alu instid0(VALU_DEP_1) | instskip(NEXT) | instid1(VALU_DEP_1)
	v_mad_u64_u32 v[14:15], null, s37, v16, v[0:1]
	v_mov_b32_e32 v0, v14
	s_cbranch_scc1 .LBB7_27
.LBB7_28:                               ;   in Loop: Header=BB7_3 Depth=1
	s_set_inst_prefetch_distance 0x2
	s_delay_alu instid0(VALU_DEP_1)
	v_mad_u64_u32 v[15:16], null, s22, v13, v[0:1]
	v_mov_b32_e32 v16, v4
.LBB7_29:                               ;   in Loop: Header=BB7_3 Depth=1
	s_or_b32 exec_lo, exec_lo, s34
	v_mov_b32_e32 v13, 0
	v_mov_b32_e32 v14, 0
	s_and_saveexec_b32 s18, s0
	s_cbranch_execz .LBB7_31
; %bb.30:                               ;   in Loop: Header=BB7_3 Depth=1
	v_mul_hi_u32 v0, v7, v36
	s_delay_alu instid0(VALU_DEP_1) | instskip(NEXT) | instid1(VALU_DEP_1)
	v_mul_lo_u32 v13, v0, s21
	v_sub_nc_u32_e32 v13, v7, v13
	s_delay_alu instid0(VALU_DEP_1) | instskip(SKIP_1) | instid1(VALU_DEP_2)
	v_subrev_nc_u32_e32 v17, s21, v13
	v_cmp_le_u32_e32 vcc_lo, s21, v13
	v_dual_cndmask_b32 v13, v13, v17 :: v_dual_add_nc_u32 v14, 1, v0
	s_delay_alu instid0(VALU_DEP_1) | instskip(NEXT) | instid1(VALU_DEP_2)
	v_cndmask_b32_e32 v0, v0, v14, vcc_lo
	v_cmp_le_u32_e32 vcc_lo, s21, v13
	s_delay_alu instid0(VALU_DEP_2) | instskip(NEXT) | instid1(VALU_DEP_1)
	v_add_nc_u32_e32 v14, 1, v0
	v_cndmask_b32_e32 v17, v0, v14, vcc_lo
	s_delay_alu instid0(VALU_DEP_1) | instskip(NEXT) | instid1(VALU_DEP_1)
	v_mul_lo_u32 v0, v17, s21
	v_sub_nc_u32_e32 v0, v7, v0
	s_delay_alu instid0(VALU_DEP_1) | instskip(NEXT) | instid1(VALU_DEP_1)
	v_mul_lo_u32 v0, v0, s3
	v_mad_u64_u32 v[13:14], null, v17, s2, v[0:1]
	v_mov_b32_e32 v14, v4
.LBB7_31:                               ;   in Loop: Header=BB7_3 Depth=1
	s_or_b32 exec_lo, exec_lo, s18
	s_delay_alu instid0(VALU_DEP_1) | instskip(SKIP_3) | instid1(VALU_DEP_3)
	v_lshlrev_b64 v[13:14], 3, v[13:14]
	s_waitcnt lgkmcnt(0)
	v_dual_mov_b32 v22, s7 :: v_dual_mov_b32 v21, s6
	v_dual_mov_b32 v24, s5 :: v_dual_mov_b32 v23, s4
	v_add_co_u32 v13, vcc_lo, s8, v13
	s_delay_alu instid0(VALU_DEP_4)
	v_add_co_ci_u32_e32 v14, vcc_lo, s9, v14, vcc_lo
	s_and_not1_b32 vcc_lo, exec_lo, s24
	global_load_b64 v[17:18], v[13:14], off
	s_cbranch_vccnz .LBB7_33
; %bb.32:                               ;   in Loop: Header=BB7_3 Depth=1
	v_dual_mov_b32 v14, s7 :: v_dual_mov_b32 v13, s6
	v_dual_mov_b32 v20, s5 :: v_dual_mov_b32 v19, s4
	flat_load_b64 v[13:14], v[13:14]
	flat_load_b64 v[23:24], v[19:20]
	s_waitcnt vmcnt(1) lgkmcnt(1)
	v_add_co_u32 v21, vcc_lo, v13, s10
	v_add_co_ci_u32_e32 v22, vcc_lo, s11, v14, vcc_lo
.LBB7_33:                               ;   in Loop: Header=BB7_3 Depth=1
	s_delay_alu instid0(VALU_DEP_1)
	v_alignbit_b32 v0, v22, v21, 2
	v_lshrrev_b32_e32 v7, 2, v22
	s_waitcnt vmcnt(0) lgkmcnt(0)
	v_add_nc_u32_e32 v40, 0x76cf5d0a, v24
	v_add_nc_u32_e32 v42, 0x32370b8f, v24
	;; [unrolled: 1-line block ×3, first 2 shown]
	v_add_co_u32 v19, vcc_lo, v0, 1
	s_delay_alu instid0(VALU_DEP_1) | instskip(SKIP_4) | instid1(VALU_DEP_3)
	v_cndmask_b32_e64 v13, 0, 1, vcc_lo
	v_add_co_ci_u32_e32 v22, vcc_lo, 0, v7, vcc_lo
	v_xor3_b32 v7, v35, v23, v7
	v_add_nc_u32_e32 v44, 0x1fd5c5a3, v24
	s_mov_b32 s0, exec_lo
	v_cmp_eq_u32_e32 vcc_lo, 0, v22
	v_dual_cndmask_b32 v20, 0, v13 :: v_dual_add_nc_u32 v39, 0xbb67ae85, v24
	v_mad_u64_u32 v[13:14], null, 0xd2511f53, v19, 0
	s_delay_alu instid0(VALU_DEP_2) | instskip(NEXT) | instid1(VALU_DEP_2)
	v_add_nc_u32_e32 v29, v20, v1
	v_xor_b32_e32 v14, v14, v24
	s_delay_alu instid0(VALU_DEP_2) | instskip(SKIP_4) | instid1(VALU_DEP_2)
	v_cmp_eq_u32_e32 vcc_lo, 0, v29
	v_add_nc_u32_e32 v38, 0x9e3779b9, v23
	v_mad_u64_u32 v[27:28], null, 0xcd9e8d57, v29, 0
	v_cndmask_b32_e32 v25, 0, v20, vcc_lo
	v_mad_u64_u32 v[19:20], null, 0xd2511f53, v0, 0
	v_xor_b32_e32 v0, v25, v14
	v_mad_u64_u32 v[25:26], null, 0xd2511f53, v7, 0
	v_add_nc_u32_e32 v7, 0x3c6ef372, v23
	s_delay_alu instid0(VALU_DEP_3) | instskip(SKIP_1) | instid1(VALU_DEP_4)
	v_mad_u64_u32 v[29:30], null, 0xcd9e8d57, v0, 0
	v_xor_b32_e32 v0, v20, v24
	v_xor3_b32 v14, v39, v26, v19
	s_delay_alu instid0(VALU_DEP_2) | instskip(SKIP_2) | instid1(VALU_DEP_4)
	v_mad_u64_u32 v[19:20], null, 0xcd9e8d57, v0, 0
	v_xor3_b32 v0, v28, v23, v22
	v_xor3_b32 v22, v38, v30, v27
	v_mad_u64_u32 v[26:27], null, 0xcd9e8d57, v14, 0
	s_delay_alu instid0(VALU_DEP_3) | instskip(NEXT) | instid1(VALU_DEP_3)
	v_mad_u64_u32 v[30:31], null, 0xd2511f53, v0, 0
	v_mad_u64_u32 v[32:33], null, 0xd2511f53, v22, 0
	v_xor3_b32 v0, v2, v20, v38
	s_delay_alu instid0(VALU_DEP_4) | instskip(SKIP_1) | instid1(VALU_DEP_3)
	v_xor3_b32 v27, v7, v27, v19
	v_add_nc_u32_e32 v22, 0xdaa66d2b, v23
	v_mad_u64_u32 v[19:20], null, 0xd2511f53, v0, 0
	v_xor3_b32 v0, v39, v31, v13
	v_xor3_b32 v33, v40, v33, v30
	v_mad_u64_u32 v[13:14], null, 0xd2511f53, v27, 0
	s_delay_alu instid0(VALU_DEP_3) | instskip(NEXT) | instid1(VALU_DEP_3)
	v_mad_u64_u32 v[27:28], null, 0xcd9e8d57, v0, 0
	v_mad_u64_u32 v[30:31], null, 0xcd9e8d57, v33, 0
	v_xor3_b32 v0, v40, v20, v25
	s_delay_alu instid0(VALU_DEP_4) | instskip(SKIP_1) | instid1(VALU_DEP_3)
	v_xor3_b32 v14, v42, v14, v19
	v_add_nc_u32_e32 v33, 0x78dde6e4, v23
	v_mad_u64_u32 v[19:20], null, 0xcd9e8d57, v0, 0
	v_xor3_b32 v0, v7, v28, v29
	v_xor3_b32 v7, v22, v31, v27
	v_mad_u64_u32 v[27:28], null, 0xcd9e8d57, v14, 0
	s_delay_alu instid0(VALU_DEP_3) | instskip(NEXT) | instid1(VALU_DEP_3)
	v_mad_u64_u32 v[38:39], null, 0xd2511f53, v0, 0
	v_mad_u64_u32 v[40:41], null, 0xd2511f53, v7, 0
	v_xor3_b32 v0, v22, v20, v26
	s_delay_alu instid0(VALU_DEP_4) | instskip(SKIP_2) | instid1(VALU_DEP_4)
	v_xor3_b32 v14, v33, v28, v19
	v_add_nc_u32_e32 v7, 0x1715609d, v23
	v_add_nc_u32_e32 v22, 0xa9066899, v24
	v_mad_u64_u32 v[19:20], null, 0xd2511f53, v0, 0
	v_xor3_b32 v0, v42, v39, v32
	v_xor3_b32 v28, v43, v41, v38
	v_mad_u64_u32 v[31:32], null, 0xd2511f53, v14, 0
	v_add_nc_u32_e32 v39, 0xb54cda56, v23
	s_delay_alu instid0(VALU_DEP_4) | instskip(NEXT) | instid1(VALU_DEP_4)
	v_mad_u64_u32 v[25:26], null, 0xcd9e8d57, v0, 0
	v_mad_u64_u32 v[41:42], null, 0xcd9e8d57, v28, 0
	v_xor3_b32 v0, v43, v20, v13
	v_xor3_b32 v28, v22, v32, v19
	v_add_nc_u32_e32 v38, 0x646e171e, v24
	s_delay_alu instid0(VALU_DEP_3) | instskip(SKIP_3) | instid1(VALU_DEP_3)
	v_mad_u64_u32 v[13:14], null, 0xcd9e8d57, v0, 0
	v_xor3_b32 v0, v33, v26, v30
	v_xor3_b32 v29, v7, v42, v25
	v_mad_u64_u32 v[19:20], null, 0xcd9e8d57, v28, 0
	v_mad_u64_u32 v[25:26], null, 0xd2511f53, v0, 0
	s_delay_alu instid0(VALU_DEP_3) | instskip(SKIP_1) | instid1(VALU_DEP_4)
	v_mad_u64_u32 v[42:43], null, 0xd2511f53, v29, 0
	v_xor3_b32 v0, v7, v14, v27
	v_xor3_b32 v20, v39, v20, v13
	v_add_nc_u32_e32 v7, 0x5384540f, v23
	s_delay_alu instid0(VALU_DEP_3) | instskip(SKIP_3) | instid1(VALU_DEP_3)
	v_mad_u64_u32 v[13:14], null, 0xd2511f53, v0, 0
	v_xor3_b32 v0, v22, v26, v40
	v_xor3_b32 v22, v38, v43, v25
	v_mad_u64_u32 v[25:26], null, 0xd2511f53, v20, 0
	v_mad_u64_u32 v[32:33], null, 0xcd9e8d57, v0, 0
	s_delay_alu instid0(VALU_DEP_3) | instskip(SKIP_1) | instid1(VALU_DEP_4)
	v_mad_u64_u32 v[28:29], null, 0xcd9e8d57, v22, 0
	v_xor3_b32 v0, v38, v14, v31
	v_xor3_b32 v20, v44, v26, v13
	v_add_co_u32 v38, null, 0xf1bbcdc8, v23
	v_add_nc_u32_e32 v23, 0x8ff34781, v23
	s_delay_alu instid0(VALU_DEP_4) | instskip(SKIP_4) | instid1(VALU_DEP_4)
	v_mad_u64_u32 v[13:14], null, 0xcd9e8d57, v0, 0
	v_xor3_b32 v0, v39, v33, v41
	v_xor3_b32 v22, v7, v29, v32
	v_mad_u64_u32 v[26:27], null, 0xcd9e8d57, v20, 0
	v_add_nc_u32_e32 v39, 0xdb3d7428, v24
	v_mad_u64_u32 v[40:41], null, 0xd2511f53, v0, 0
	s_delay_alu instid0(VALU_DEP_4) | instskip(SKIP_3) | instid1(VALU_DEP_3)
	v_mad_u64_u32 v[31:32], null, 0xd2511f53, v22, 0
	v_xor3_b32 v0, v7, v14, v19
	v_xor3_b32 v7, v38, v27, v13
	v_add_nc_u32_e32 v24, 0x96a522ad, v24
	v_mad_u64_u32 v[29:30], null, 0xd2511f53, v0, 0
	v_xor3_b32 v0, v44, v41, v42
	v_xor3_b32 v22, v39, v32, v40
	v_mad_u64_u32 v[13:14], null, 0xd2511f53, v7, 0
	s_delay_alu instid0(VALU_DEP_3) | instskip(NEXT) | instid1(VALU_DEP_3)
	v_mad_u64_u32 v[32:33], null, 0xcd9e8d57, v0, 0
	v_mad_u64_u32 v[19:20], null, 0xcd9e8d57, v22, 0
	v_and_b32_e32 v22, 3, v21
	s_delay_alu instid0(VALU_DEP_4) | instskip(NEXT) | instid1(VALU_DEP_3)
	v_xor3_b32 v7, v14, v29, v24
                                        ; implicit-def: $vgpr14
	v_xor3_b32 v0, v20, v32, v23
	s_delay_alu instid0(VALU_DEP_3)
	v_cmpx_lt_i32_e32 1, v22
	s_xor_b32 s0, exec_lo, s0
	s_cbranch_execz .LBB7_39
; %bb.34:                               ;   in Loop: Header=BB7_3 Depth=1
	s_mov_b32 s18, exec_lo
                                        ; implicit-def: $vgpr14
	v_cmpx_lt_i32_e32 2, v22
	s_xor_b32 s18, exec_lo, s18
; %bb.35:                               ;   in Loop: Header=BB7_3 Depth=1
	v_xor3_b32 v7, v38, v33, v28
	s_delay_alu instid0(VALU_DEP_1) | instskip(NEXT) | instid1(VALU_DEP_1)
	v_mul_hi_u32 v7, 0xd2511f53, v7
	v_xor3_b32 v14, v7, v31, v24
                                        ; implicit-def: $vgpr7
; %bb.36:                               ;   in Loop: Header=BB7_3 Depth=1
	s_and_not1_saveexec_b32 s18, s18
; %bb.37:                               ;   in Loop: Header=BB7_3 Depth=1
	v_dual_mov_b32 v14, v19 :: v_dual_mov_b32 v19, v0
	v_dual_mov_b32 v0, v13 :: v_dual_mov_b32 v13, v7
; %bb.38:                               ;   in Loop: Header=BB7_3 Depth=1
	s_or_b32 exec_lo, exec_lo, s18
                                        ; implicit-def: $vgpr25_vgpr26
                                        ; implicit-def: $vgpr22
                                        ; implicit-def: $vgpr7
                                        ; implicit-def: $vgpr39
                                        ; implicit-def: $vgpr29_vgpr30
                                        ; implicit-def: $vgpr23
                                        ; implicit-def: $vgpr26_vgpr27
.LBB7_39:                               ;   in Loop: Header=BB7_3 Depth=1
	s_and_not1_saveexec_b32 s0, s0
	s_cbranch_execz .LBB7_43
; %bb.40:                               ;   in Loop: Header=BB7_3 Depth=1
	v_xor3_b32 v14, v39, v30, v25
	v_cmp_eq_u32_e32 vcc_lo, 1, v22
	v_mov_b32_e32 v19, v7
	s_delay_alu instid0(VALU_DEP_3) | instskip(SKIP_1) | instid1(VALU_DEP_2)
	v_mad_u64_u32 v[20:21], null, 0xcd9e8d57, v14, 0
	v_mov_b32_e32 v14, v13
	v_xor3_b32 v22, v21, v26, v23
	s_delay_alu instid0(VALU_DEP_3)
	v_mov_b32_e32 v21, v20
	s_and_saveexec_b32 s18, vcc_lo
; %bb.41:                               ;   in Loop: Header=BB7_3 Depth=1
	v_dual_mov_b32 v14, v0 :: v_dual_mov_b32 v19, v13
	v_dual_mov_b32 v21, v7 :: v_dual_mov_b32 v22, v20
; %bb.42:                               ;   in Loop: Header=BB7_3 Depth=1
	s_or_b32 exec_lo, exec_lo, s18
	s_delay_alu instid0(VALU_DEP_1)
	v_dual_mov_b32 v13, v22 :: v_dual_mov_b32 v0, v21
.LBB7_43:                               ;   in Loop: Header=BB7_3 Depth=1
	s_or_b32 exec_lo, exec_lo, s0
	v_min_i32_e32 v7, 4, v37
	s_mov_b32 s18, 0
	s_mov_b32 s39, 0
	;; [unrolled: 1-line block ×3, first 2 shown]
                                        ; implicit-def: $sgpr34
                                        ; implicit-def: $sgpr35
                                        ; implicit-def: $sgpr36
	s_mov_b32 s0, exec_lo
	v_cmpx_lt_i32_e32 2, v7
	s_xor_b32 s37, exec_lo, s0
	s_cbranch_execz .LBB7_55
; %bb.44:                               ;   in Loop: Header=BB7_3 Depth=1
	s_mov_b32 s0, -1
	s_mov_b32 s38, 0
	s_mov_b32 s35, exec_lo
                                        ; implicit-def: $sgpr19
                                        ; implicit-def: $sgpr34
	v_cmpx_lt_i32_e32 3, v7
	s_cbranch_execz .LBB7_50
; %bb.45:                               ;   in Loop: Header=BB7_3 Depth=1
	s_mov_b32 s0, 0
	s_mov_b32 s39, -1
	s_mov_b32 s36, exec_lo
                                        ; implicit-def: $sgpr19
                                        ; implicit-def: $sgpr34
	v_cmpx_eq_u32_e32 4, v7
	s_cbranch_execz .LBB7_49
; %bb.46:                               ;   in Loop: Header=BB7_3 Depth=1
	v_cmp_le_f64_e32 vcc_lo, 0, v[17:18]
	v_cmp_ge_f64_e64 s0, 1.0, v[17:18]
	s_mov_b32 s19, 0
	s_delay_alu instid0(VALU_DEP_1)
	s_and_b32 s39, vcc_lo, s0
	s_mov_b32 s0, 0
	s_and_saveexec_b32 s34, s39
	s_cbranch_execz .LBB7_48
; %bb.47:                               ;   in Loop: Header=BB7_3 Depth=1
	v_cvt_f32_u32_e32 v14, v14
	s_mov_b32 s0, exec_lo
	s_delay_alu instid0(VALU_DEP_1) | instskip(NEXT) | instid1(VALU_DEP_1)
	v_fmaak_f32 v14, 0x2f800000, v14, 0x2f800000
	v_cvt_f64_f32_e32 v[20:21], v14
	v_lshlrev_b64 v[14:15], 3, v[15:16]
	v_mov_b32_e32 v16, v4
	s_delay_alu instid0(VALU_DEP_2) | instskip(NEXT) | instid1(VALU_DEP_3)
	v_add_co_u32 v14, vcc_lo, s14, v14
	v_add_co_ci_u32_e32 v15, vcc_lo, s15, v15, vcc_lo
	v_cmp_ge_f64_e32 vcc_lo, v[17:18], v[20:21]
	v_cndmask_b32_e64 v17, 0, 0x3ff00000, vcc_lo
	global_store_b64 v[14:15], v[16:17], off
.LBB7_48:                               ;   in Loop: Header=BB7_3 Depth=1
	s_or_b32 exec_lo, exec_lo, s34
	s_mov_b32 s34, -1
	s_xor_b32 s39, exec_lo, -1
	s_and_b32 s0, s0, exec_lo
.LBB7_49:                               ;   in Loop: Header=BB7_3 Depth=1
	s_or_b32 exec_lo, exec_lo, s36
	s_delay_alu instid0(SALU_CYCLE_1)
	s_and_b32 s39, s39, exec_lo
	s_or_not1_b32 s0, s0, exec_lo
.LBB7_50:                               ;   in Loop: Header=BB7_3 Depth=1
	s_or_b32 exec_lo, exec_lo, s35
	s_mov_b32 s36, s19
	s_and_saveexec_b32 s35, s0
	s_cbranch_execz .LBB7_54
; %bb.51:                               ;   in Loop: Header=BB7_3 Depth=1
	v_lshlrev_b64 v[11:12], 3, v[11:12]
	s_delay_alu instid0(VALU_DEP_1) | instskip(NEXT) | instid1(VALU_DEP_2)
	v_add_co_u32 v11, vcc_lo, s8, v11
	v_add_co_ci_u32_e32 v12, vcc_lo, s9, v12, vcc_lo
	global_load_b64 v[11:12], v[11:12], off
	s_waitcnt vmcnt(0)
	v_cmp_le_f64_e32 vcc_lo, 0, v[11:12]
	v_cmp_ge_f64_e64 s0, 1.0, v[11:12]
	s_delay_alu instid0(VALU_DEP_1) | instskip(SKIP_2) | instid1(SALU_CYCLE_1)
	s_and_b32 s36, vcc_lo, s0
	s_mov_b32 s0, 0
	s_and_saveexec_b32 s38, s36
	s_xor_b32 s36, exec_lo, s38
	s_cbranch_execz .LBB7_53
; %bb.52:                               ;   in Loop: Header=BB7_3 Depth=1
	v_cvt_f32_u32_e32 v14, v19
	v_lshlrev_b64 v[9:10], 3, v[9:10]
	s_mov_b32 s0, exec_lo
	s_delay_alu instid0(VALU_DEP_2) | instskip(NEXT) | instid1(VALU_DEP_2)
	v_fmaak_f32 v14, 0x2f800000, v14, 0x2f800000
	v_add_co_u32 v9, vcc_lo, s14, v9
	s_delay_alu instid0(VALU_DEP_3) | instskip(NEXT) | instid1(VALU_DEP_3)
	v_add_co_ci_u32_e32 v10, vcc_lo, s15, v10, vcc_lo
	v_cvt_f64_f32_e32 v[14:15], v14
	s_delay_alu instid0(VALU_DEP_1)
	v_cmp_ge_f64_e32 vcc_lo, v[11:12], v[14:15]
	v_mov_b32_e32 v11, v4
	v_cndmask_b32_e64 v12, 0, 0x3ff00000, vcc_lo
	global_store_b64 v[9:10], v[11:12], off
.LBB7_53:                               ;   in Loop: Header=BB7_3 Depth=1
	s_or_b32 exec_lo, exec_lo, s36
	s_delay_alu instid0(SALU_CYCLE_1)
	s_and_not1_b32 s36, s19, exec_lo
	s_or_b32 s19, s19, exec_lo
	s_and_not1_b32 s34, s34, exec_lo
	s_and_b32 s38, s0, exec_lo
.LBB7_54:                               ;   in Loop: Header=BB7_3 Depth=1
	s_or_b32 exec_lo, exec_lo, s35
	s_delay_alu instid0(SALU_CYCLE_1)
	s_and_b32 s36, s36, exec_lo
	s_and_b32 s35, s19, exec_lo
	;; [unrolled: 1-line block ×5, first 2 shown]
.LBB7_55:                               ;   in Loop: Header=BB7_3 Depth=1
	s_and_not1_saveexec_b32 s0, s37
; %bb.56:                               ;   in Loop: Header=BB7_3 Depth=1
	v_cmp_lt_i32_e32 vcc_lo, 1, v7
	s_and_not1_b32 s37, s39, exec_lo
	s_mov_b32 s18, exec_lo
	s_and_not1_b32 s36, s36, exec_lo
	s_and_not1_b32 s35, s35, exec_lo
	s_and_b32 s38, vcc_lo, exec_lo
	s_and_not1_b32 s34, s34, exec_lo
	s_or_b32 s39, s37, s38
; %bb.57:                               ;   in Loop: Header=BB7_3 Depth=1
	s_or_b32 exec_lo, exec_lo, s0
	s_mov_b32 s0, 0
	s_mov_b32 s37, s36
	s_and_saveexec_b32 s38, s39
	s_cbranch_execnz .LBB7_60
; %bb.58:                               ;   in Loop: Header=BB7_3 Depth=1
	s_or_b32 exec_lo, exec_lo, s38
	s_and_saveexec_b32 s38, s18
	s_cbranch_execnz .LBB7_63
.LBB7_59:                               ;   in Loop: Header=BB7_3 Depth=1
	s_or_b32 exec_lo, exec_lo, s38
	s_and_saveexec_b32 s18, s0
	s_cbranch_execnz .LBB7_64
	s_branch .LBB7_67
.LBB7_60:                               ;   in Loop: Header=BB7_3 Depth=1
	v_lshlrev_b64 v[9:10], 3, v[3:4]
	s_mov_b32 s39, 0
	s_delay_alu instid0(VALU_DEP_1) | instskip(NEXT) | instid1(VALU_DEP_2)
	v_add_co_u32 v9, vcc_lo, s8, v9
	v_add_co_ci_u32_e32 v10, vcc_lo, s9, v10, vcc_lo
	global_load_b64 v[10:11], v[9:10], off
	s_waitcnt vmcnt(0)
	v_cmp_le_f64_e32 vcc_lo, 0, v[10:11]
	v_cmp_ge_f64_e64 s0, 1.0, v[10:11]
	s_delay_alu instid0(VALU_DEP_1) | instskip(NEXT) | instid1(SALU_CYCLE_1)
	s_and_b32 s0, vcc_lo, s0
	s_and_saveexec_b32 s37, s0
	s_delay_alu instid0(SALU_CYCLE_1)
	s_xor_b32 s0, exec_lo, s37
	s_cbranch_execz .LBB7_62
; %bb.61:                               ;   in Loop: Header=BB7_3 Depth=1
	v_cvt_f32_u32_e32 v0, v0
	s_mov_b32 s39, exec_lo
	s_delay_alu instid0(VALU_DEP_1) | instskip(NEXT) | instid1(VALU_DEP_1)
	v_dual_mov_b32 v9, v4 :: v_dual_fmaak_f32 v0, 0x2f800000, v0, 0x2f800000
	v_lshlrev_b64 v[8:9], 3, v[8:9]
	s_delay_alu instid0(VALU_DEP_2) | instskip(NEXT) | instid1(VALU_DEP_2)
	v_cvt_f64_f32_e32 v[14:15], v0
	v_add_co_u32 v8, vcc_lo, s14, v8
	s_delay_alu instid0(VALU_DEP_3) | instskip(NEXT) | instid1(VALU_DEP_3)
	v_add_co_ci_u32_e32 v9, vcc_lo, s15, v9, vcc_lo
	v_cmp_ge_f64_e32 vcc_lo, v[10:11], v[14:15]
	v_mov_b32_e32 v10, v4
	v_cndmask_b32_e64 v11, 0, 0x3ff00000, vcc_lo
	global_store_b64 v[8:9], v[10:11], off
.LBB7_62:                               ;   in Loop: Header=BB7_3 Depth=1
	s_or_b32 exec_lo, exec_lo, s0
	s_delay_alu instid0(SALU_CYCLE_1)
	s_and_not1_b32 s37, s36, exec_lo
	s_or_b32 s36, s36, exec_lo
	s_and_not1_b32 s35, s35, exec_lo
	s_and_not1_b32 s34, s34, exec_lo
	s_and_b32 s0, s39, exec_lo
	s_and_not1_b32 s18, s18, exec_lo
	s_or_b32 exec_lo, exec_lo, s38
	s_and_saveexec_b32 s38, s18
	s_cbranch_execz .LBB7_59
.LBB7_63:                               ;   in Loop: Header=BB7_3 Depth=1
	v_cmp_eq_u32_e32 vcc_lo, 1, v7
	s_and_not1_b32 s0, s0, exec_lo
	s_and_not1_b32 s37, s37, exec_lo
	;; [unrolled: 1-line block ×4, first 2 shown]
	s_and_b32 s18, vcc_lo, exec_lo
	s_and_not1_b32 s34, s34, exec_lo
	s_or_b32 s19, s19, exec_lo
	s_or_b32 s0, s0, s18
	s_or_b32 exec_lo, exec_lo, s38
	s_and_saveexec_b32 s18, s0
	s_cbranch_execz .LBB7_67
.LBB7_64:                               ;   in Loop: Header=BB7_3 Depth=1
	v_mov_b32_e32 v7, v4
	s_mov_b32 s38, 0
	s_delay_alu instid0(VALU_DEP_1) | instskip(NEXT) | instid1(VALU_DEP_1)
	v_lshlrev_b64 v[6:7], 3, v[6:7]
	v_add_co_u32 v6, vcc_lo, s8, v6
	s_delay_alu instid0(VALU_DEP_2) | instskip(SKIP_4) | instid1(VALU_DEP_1)
	v_add_co_ci_u32_e32 v7, vcc_lo, s9, v7, vcc_lo
	global_load_b64 v[7:8], v[6:7], off
	s_waitcnt vmcnt(0)
	v_cmp_le_f64_e32 vcc_lo, 0, v[7:8]
	v_cmp_ge_f64_e64 s0, 1.0, v[7:8]
	s_and_b32 s39, vcc_lo, s0
	s_delay_alu instid0(SALU_CYCLE_1)
	s_and_saveexec_b32 s0, s39
	s_cbranch_execz .LBB7_66
; %bb.65:                               ;   in Loop: Header=BB7_3 Depth=1
	v_cvt_f32_u32_e32 v0, v13
	v_mov_b32_e32 v6, v4
	s_mov_b32 s38, exec_lo
	s_delay_alu instid0(VALU_DEP_2) | instskip(NEXT) | instid1(VALU_DEP_2)
	v_fmaak_f32 v0, 0x2f800000, v0, 0x2f800000
	v_lshlrev_b64 v[5:6], 3, v[5:6]
	s_delay_alu instid0(VALU_DEP_2) | instskip(NEXT) | instid1(VALU_DEP_2)
	v_cvt_f64_f32_e32 v[9:10], v0
	v_add_co_u32 v5, vcc_lo, s14, v5
	s_delay_alu instid0(VALU_DEP_3) | instskip(NEXT) | instid1(VALU_DEP_3)
	v_add_co_ci_u32_e32 v6, vcc_lo, s15, v6, vcc_lo
	v_cmp_ge_f64_e32 vcc_lo, v[7:8], v[9:10]
	v_mov_b32_e32 v7, v4
	v_cndmask_b32_e64 v8, 0, 0x3ff00000, vcc_lo
	global_store_b64 v[5:6], v[7:8], off
.LBB7_66:                               ;   in Loop: Header=BB7_3 Depth=1
	s_or_b32 exec_lo, exec_lo, s0
	s_delay_alu instid0(SALU_CYCLE_1)
	s_and_not1_b32 s0, s19, exec_lo
	s_and_b32 s19, s38, exec_lo
	s_or_b32 s37, s37, exec_lo
	s_and_not1_b32 s36, s36, exec_lo
	s_and_not1_b32 s35, s35, exec_lo
	;; [unrolled: 1-line block ×3, first 2 shown]
	s_or_b32 s19, s0, s19
.LBB7_67:                               ;   in Loop: Header=BB7_3 Depth=1
	s_or_b32 exec_lo, exec_lo, s18
	s_delay_alu instid0(SALU_CYCLE_1)
	s_and_not1_b32 s18, s33, exec_lo
	s_and_b32 s33, s37, exec_lo
	s_and_not1_b32 s30, s30, exec_lo
	s_and_b32 s36, s36, exec_lo
	s_or_b32 s33, s18, s33
	s_and_not1_b32 s18, s31, exec_lo
	s_and_b32 s31, s35, exec_lo
	s_and_not1_b32 s29, s29, exec_lo
	s_and_b32 s34, s34, exec_lo
	s_mov_b32 s0, -1
	s_or_b32 s30, s30, s36
	s_or_b32 s31, s18, s31
	;; [unrolled: 1-line block ×3, first 2 shown]
	s_and_saveexec_b32 s18, s19
	s_cbranch_execz .LBB7_2
; %bb.68:                               ;   in Loop: Header=BB7_3 Depth=1
	v_add_nc_u32_e32 v34, s25, v34
	s_and_not1_b32 s33, s33, exec_lo
	s_and_not1_b32 s30, s30, exec_lo
	;; [unrolled: 1-line block ×4, first 2 shown]
	v_cmp_le_u32_e32 vcc_lo, s20, v34
	s_or_not1_b32 s0, vcc_lo, exec_lo
	s_branch .LBB7_2
.LBB7_69:
	s_or_b32 exec_lo, exec_lo, s13
	s_xor_b32 s4, s27, -1
	s_xor_b32 s5, s28, -1
	;; [unrolled: 1-line block ×3, first 2 shown]
	s_mov_b32 s2, 0
	s_and_saveexec_b32 s3, s0
	s_delay_alu instid0(SALU_CYCLE_1)
	s_xor_b32 s0, exec_lo, s3
	s_cbranch_execz .LBB7_78
; %bb.70:
	s_mov_b32 s3, 0
	s_and_saveexec_b32 s2, s5
	s_delay_alu instid0(SALU_CYCLE_1)
	s_xor_b32 s2, exec_lo, s2
	s_cbranch_execz .LBB7_76
; %bb.71:
	s_and_saveexec_b32 s5, s4
	s_delay_alu instid0(SALU_CYCLE_1)
	s_xor_b32 s4, exec_lo, s5
	s_cbranch_execz .LBB7_74
; %bb.72:
	s_and_saveexec_b32 s5, s1
	s_delay_alu instid0(SALU_CYCLE_1)
	s_xor_b32 s1, exec_lo, s5
	s_cbranch_execnz .LBB7_92
.LBB7_73:
	s_or_b32 exec_lo, exec_lo, s1
	s_delay_alu instid0(SALU_CYCLE_1)
	s_and_b32 s3, s3, exec_lo
.LBB7_74:
	s_and_not1_saveexec_b32 s1, s4
	s_cbranch_execnz .LBB7_88
.LBB7_75:
	s_or_b32 exec_lo, exec_lo, s1
	s_delay_alu instid0(SALU_CYCLE_1)
	s_and_b32 s3, s3, exec_lo
.LBB7_76:
	s_and_not1_saveexec_b32 s1, s2
	s_cbranch_execnz .LBB7_84
.LBB7_77:
	s_or_b32 exec_lo, exec_lo, s1
	s_delay_alu instid0(SALU_CYCLE_1)
	s_and_b32 s2, s3, exec_lo
.LBB7_78:
	s_and_not1_saveexec_b32 s0, s0
	s_cbranch_execnz .LBB7_82
; %bb.79:
	s_or_b32 exec_lo, exec_lo, s0
	s_delay_alu instid0(SALU_CYCLE_1)
	s_and_b32 exec_lo, exec_lo, s2
.LBB7_80:
	; divergent unreachable
.LBB7_81:
	s_nop 0
	s_sendmsg sendmsg(MSG_DEALLOC_VGPRS)
	s_endpgm
.LBB7_82:
	s_cbranch_execnz .LBB7_86
; %bb.83:
	s_or_b32 s2, s2, exec_lo
	s_or_b32 exec_lo, exec_lo, s0
	s_delay_alu instid0(SALU_CYCLE_1)
	s_and_b32 exec_lo, exec_lo, s2
	s_cbranch_execnz .LBB7_80
	s_branch .LBB7_81
.LBB7_84:
	s_cbranch_execnz .LBB7_90
; %bb.85:
	s_or_b32 s3, s3, exec_lo
	s_branch .LBB7_77
.LBB7_86:
	s_trap 2
	s_sendmsg_rtn_b32 s0, sendmsg(MSG_RTN_GET_DOORBELL)
	s_mov_b32 ttmp2, m0
	s_waitcnt lgkmcnt(0)
	s_and_b32 s0, s0, 0x3ff
	s_delay_alu instid0(SALU_CYCLE_1) | instskip(NEXT) | instid1(SALU_CYCLE_1)
	s_bitset1_b32 s0, 10
	s_mov_b32 m0, s0
	s_sendmsg sendmsg(MSG_INTERRUPT)
	s_mov_b32 m0, ttmp2
.LBB7_87:                               ; =>This Inner Loop Header: Depth=1
	s_sethalt 5
	s_branch .LBB7_87
.LBB7_88:
	s_cbranch_execnz .LBB7_94
; %bb.89:
	s_or_b32 s3, s3, exec_lo
	s_branch .LBB7_75
.LBB7_90:
	s_trap 2
	s_sendmsg_rtn_b32 s0, sendmsg(MSG_RTN_GET_DOORBELL)
	s_mov_b32 ttmp2, m0
	s_waitcnt lgkmcnt(0)
	s_and_b32 s0, s0, 0x3ff
	s_delay_alu instid0(SALU_CYCLE_1) | instskip(NEXT) | instid1(SALU_CYCLE_1)
	s_bitset1_b32 s0, 10
	s_mov_b32 m0, s0
	s_sendmsg sendmsg(MSG_INTERRUPT)
	s_mov_b32 m0, ttmp2
.LBB7_91:                               ; =>This Inner Loop Header: Depth=1
	s_sethalt 5
	s_branch .LBB7_91
.LBB7_92:
	s_cbranch_execnz .LBB7_96
; %bb.93:
	s_mov_b32 s3, exec_lo
	s_branch .LBB7_73
.LBB7_94:
	s_trap 2
	s_sendmsg_rtn_b32 s0, sendmsg(MSG_RTN_GET_DOORBELL)
	s_mov_b32 ttmp2, m0
	s_waitcnt lgkmcnt(0)
	s_and_b32 s0, s0, 0x3ff
	s_delay_alu instid0(SALU_CYCLE_1) | instskip(NEXT) | instid1(SALU_CYCLE_1)
	s_bitset1_b32 s0, 10
	s_mov_b32 m0, s0
	s_sendmsg sendmsg(MSG_INTERRUPT)
	s_mov_b32 m0, ttmp2
.LBB7_95:                               ; =>This Inner Loop Header: Depth=1
	s_sethalt 5
	s_branch .LBB7_95
.LBB7_96:
	s_trap 2
	s_sendmsg_rtn_b32 s0, sendmsg(MSG_RTN_GET_DOORBELL)
	s_mov_b32 ttmp2, m0
	s_waitcnt lgkmcnt(0)
	s_and_b32 s0, s0, 0x3ff
	s_delay_alu instid0(SALU_CYCLE_1) | instskip(NEXT) | instid1(SALU_CYCLE_1)
	s_bitset1_b32 s0, 10
	s_mov_b32 m0, s0
	s_sendmsg sendmsg(MSG_INTERRUPT)
	s_mov_b32 m0, ttmp2
.LBB7_97:                               ; =>This Inner Loop Header: Depth=1
	s_sethalt 5
	s_branch .LBB7_97
	.section	.rodata,"a",@progbits
	.p2align	6, 0x0
	.amdhsa_kernel _ZN2at4cuda12_GLOBAL__N_121kernelPointwiseApply2IZNS_6native9templates4cuda28bernoulli_tensor_cuda_kernelIddEEvRKNS_10TensorBaseES9_NS_15PhiloxCudaStateEEUliRdSB_SB_SB_RKdSD_SD_SD_E_dSC_jLin1ELi2ELi4ELi512ELi2EEEvNS0_6detail10TensorInfoIT0_T2_EENSG_IT1_SI_EESI_T_
		.amdhsa_group_segment_fixed_size 0
		.amdhsa_private_segment_fixed_size 0
		.amdhsa_kernarg_size 728
		.amdhsa_user_sgpr_count 15
		.amdhsa_user_sgpr_dispatch_ptr 0
		.amdhsa_user_sgpr_queue_ptr 0
		.amdhsa_user_sgpr_kernarg_segment_ptr 1
		.amdhsa_user_sgpr_dispatch_id 0
		.amdhsa_user_sgpr_private_segment_size 0
		.amdhsa_wavefront_size32 1
		.amdhsa_uses_dynamic_stack 0
		.amdhsa_enable_private_segment 0
		.amdhsa_system_sgpr_workgroup_id_x 1
		.amdhsa_system_sgpr_workgroup_id_y 0
		.amdhsa_system_sgpr_workgroup_id_z 0
		.amdhsa_system_sgpr_workgroup_info 0
		.amdhsa_system_vgpr_workitem_id 0
		.amdhsa_next_free_vgpr 45
		.amdhsa_next_free_sgpr 40
		.amdhsa_reserve_vcc 1
		.amdhsa_float_round_mode_32 0
		.amdhsa_float_round_mode_16_64 0
		.amdhsa_float_denorm_mode_32 3
		.amdhsa_float_denorm_mode_16_64 3
		.amdhsa_dx10_clamp 1
		.amdhsa_ieee_mode 1
		.amdhsa_fp16_overflow 0
		.amdhsa_workgroup_processor_mode 1
		.amdhsa_memory_ordered 1
		.amdhsa_forward_progress 0
		.amdhsa_shared_vgpr_count 0
		.amdhsa_exception_fp_ieee_invalid_op 0
		.amdhsa_exception_fp_denorm_src 0
		.amdhsa_exception_fp_ieee_div_zero 0
		.amdhsa_exception_fp_ieee_overflow 0
		.amdhsa_exception_fp_ieee_underflow 0
		.amdhsa_exception_fp_ieee_inexact 0
		.amdhsa_exception_int_div_zero 0
	.end_amdhsa_kernel
	.section	.text._ZN2at4cuda12_GLOBAL__N_121kernelPointwiseApply2IZNS_6native9templates4cuda28bernoulli_tensor_cuda_kernelIddEEvRKNS_10TensorBaseES9_NS_15PhiloxCudaStateEEUliRdSB_SB_SB_RKdSD_SD_SD_E_dSC_jLin1ELi2ELi4ELi512ELi2EEEvNS0_6detail10TensorInfoIT0_T2_EENSG_IT1_SI_EESI_T_,"axG",@progbits,_ZN2at4cuda12_GLOBAL__N_121kernelPointwiseApply2IZNS_6native9templates4cuda28bernoulli_tensor_cuda_kernelIddEEvRKNS_10TensorBaseES9_NS_15PhiloxCudaStateEEUliRdSB_SB_SB_RKdSD_SD_SD_E_dSC_jLin1ELi2ELi4ELi512ELi2EEEvNS0_6detail10TensorInfoIT0_T2_EENSG_IT1_SI_EESI_T_,comdat
.Lfunc_end7:
	.size	_ZN2at4cuda12_GLOBAL__N_121kernelPointwiseApply2IZNS_6native9templates4cuda28bernoulli_tensor_cuda_kernelIddEEvRKNS_10TensorBaseES9_NS_15PhiloxCudaStateEEUliRdSB_SB_SB_RKdSD_SD_SD_E_dSC_jLin1ELi2ELi4ELi512ELi2EEEvNS0_6detail10TensorInfoIT0_T2_EENSG_IT1_SI_EESI_T_, .Lfunc_end7-_ZN2at4cuda12_GLOBAL__N_121kernelPointwiseApply2IZNS_6native9templates4cuda28bernoulli_tensor_cuda_kernelIddEEvRKNS_10TensorBaseES9_NS_15PhiloxCudaStateEEUliRdSB_SB_SB_RKdSD_SD_SD_E_dSC_jLin1ELi2ELi4ELi512ELi2EEEvNS0_6detail10TensorInfoIT0_T2_EENSG_IT1_SI_EESI_T_
                                        ; -- End function
	.section	.AMDGPU.csdata,"",@progbits
; Kernel info:
; codeLenInByte = 4904
; NumSgprs: 42
; NumVgprs: 45
; ScratchSize: 0
; MemoryBound: 0
; FloatMode: 240
; IeeeMode: 1
; LDSByteSize: 0 bytes/workgroup (compile time only)
; SGPRBlocks: 5
; VGPRBlocks: 5
; NumSGPRsForWavesPerEU: 42
; NumVGPRsForWavesPerEU: 45
; Occupancy: 16
; WaveLimiterHint : 1
; COMPUTE_PGM_RSRC2:SCRATCH_EN: 0
; COMPUTE_PGM_RSRC2:USER_SGPR: 15
; COMPUTE_PGM_RSRC2:TRAP_HANDLER: 0
; COMPUTE_PGM_RSRC2:TGID_X_EN: 1
; COMPUTE_PGM_RSRC2:TGID_Y_EN: 0
; COMPUTE_PGM_RSRC2:TGID_Z_EN: 0
; COMPUTE_PGM_RSRC2:TIDIG_COMP_CNT: 0
	.section	.text._ZN2at4cuda12_GLOBAL__N_121kernelPointwiseApply2IZNS_6native9templates4cuda28bernoulli_tensor_cuda_kernelIddEEvRKNS_10TensorBaseES9_NS_15PhiloxCudaStateEEUliRdSB_SB_SB_RKdSD_SD_SD_E_dSC_jLin1ELin1ELi4ELi512ELi2EEEvNS0_6detail10TensorInfoIT0_T2_EENSG_IT1_SI_EESI_T_,"axG",@progbits,_ZN2at4cuda12_GLOBAL__N_121kernelPointwiseApply2IZNS_6native9templates4cuda28bernoulli_tensor_cuda_kernelIddEEvRKNS_10TensorBaseES9_NS_15PhiloxCudaStateEEUliRdSB_SB_SB_RKdSD_SD_SD_E_dSC_jLin1ELin1ELi4ELi512ELi2EEEvNS0_6detail10TensorInfoIT0_T2_EENSG_IT1_SI_EESI_T_,comdat
	.globl	_ZN2at4cuda12_GLOBAL__N_121kernelPointwiseApply2IZNS_6native9templates4cuda28bernoulli_tensor_cuda_kernelIddEEvRKNS_10TensorBaseES9_NS_15PhiloxCudaStateEEUliRdSB_SB_SB_RKdSD_SD_SD_E_dSC_jLin1ELin1ELi4ELi512ELi2EEEvNS0_6detail10TensorInfoIT0_T2_EENSG_IT1_SI_EESI_T_ ; -- Begin function _ZN2at4cuda12_GLOBAL__N_121kernelPointwiseApply2IZNS_6native9templates4cuda28bernoulli_tensor_cuda_kernelIddEEvRKNS_10TensorBaseES9_NS_15PhiloxCudaStateEEUliRdSB_SB_SB_RKdSD_SD_SD_E_dSC_jLin1ELin1ELi4ELi512ELi2EEEvNS0_6detail10TensorInfoIT0_T2_EENSG_IT1_SI_EESI_T_
	.p2align	8
	.type	_ZN2at4cuda12_GLOBAL__N_121kernelPointwiseApply2IZNS_6native9templates4cuda28bernoulli_tensor_cuda_kernelIddEEvRKNS_10TensorBaseES9_NS_15PhiloxCudaStateEEUliRdSB_SB_SB_RKdSD_SD_SD_E_dSC_jLin1ELin1ELi4ELi512ELi2EEEvNS0_6detail10TensorInfoIT0_T2_EENSG_IT1_SI_EESI_T_,@function
_ZN2at4cuda12_GLOBAL__N_121kernelPointwiseApply2IZNS_6native9templates4cuda28bernoulli_tensor_cuda_kernelIddEEvRKNS_10TensorBaseES9_NS_15PhiloxCudaStateEEUliRdSB_SB_SB_RKdSD_SD_SD_E_dSC_jLin1ELin1ELi4ELi512ELi2EEEvNS0_6detail10TensorInfoIT0_T2_EENSG_IT1_SI_EESI_T_: ; @_ZN2at4cuda12_GLOBAL__N_121kernelPointwiseApply2IZNS_6native9templates4cuda28bernoulli_tensor_cuda_kernelIddEEvRKNS_10TensorBaseES9_NS_15PhiloxCudaStateEEUliRdSB_SB_SB_RKdSD_SD_SD_E_dSC_jLin1ELin1ELi4ELi512ELi2EEEvNS0_6detail10TensorInfoIT0_T2_EENSG_IT1_SI_EESI_T_
; %bb.0:
	s_clause 0x1
	s_load_b32 s4, s[0:1], 0x1e4
	s_load_b32 s20, s[0:1], 0x1b0
	s_add_u32 s2, s0, 0x1d8
	s_addc_u32 s3, s1, 0
	s_waitcnt lgkmcnt(0)
	s_and_b32 s12, s4, 0xffff
	s_mov_b32 s4, exec_lo
	v_mad_u64_u32 v[1:2], null, s15, s12, v[0:1]
	s_delay_alu instid0(VALU_DEP_1) | instskip(NEXT) | instid1(VALU_DEP_1)
	v_lshlrev_b32_e32 v32, 2, v1
	v_cmpx_gt_u32_e64 s20, v32
	s_cbranch_execz .LBB8_93
; %bb.1:
	s_clause 0x2
	s_load_b32 s16, s[0:1], 0xd0
	s_load_b32 s17, s[0:1], 0x1a8
	;; [unrolled: 1-line block ×4, first 2 shown]
	s_clause 0x1
	s_load_b64 s[2:3], s[0:1], 0x1c8
	s_load_b128 s[4:7], s[0:1], 0x1b8
	s_add_u32 s18, s0, 0xd8
	s_addc_u32 s19, s1, 0
	s_clause 0x3
	s_load_b32 s21, s[0:1], 0x144
	s_load_b64 s[8:9], s[0:1], 0xd8
	s_load_b32 s22, s[0:1], 0x6c
	s_load_b64 s[10:11], s[0:1], 0x0
	s_mov_b32 s13, 0
	v_mad_u64_u32 v[2:3], null, 0xcd9e8d57, v1, 0
	v_mov_b32_e32 v4, 0
                                        ; implicit-def: $sgpr29
                                        ; implicit-def: $sgpr31
                                        ; implicit-def: $sgpr30
                                        ; implicit-def: $sgpr33
                                        ; implicit-def: $sgpr35
                                        ; implicit-def: $sgpr34
                                        ; implicit-def: $sgpr36
	s_delay_alu instid0(VALU_DEP_2)
	v_mov_b32_e32 v33, v3
	s_waitcnt lgkmcnt(0)
	s_cmp_gt_i32 s16, 1
	s_cselect_b32 s23, -1, 0
	s_cmp_gt_i32 s17, 1
	s_mul_i32 s15, s15, s12
	s_cselect_b32 s24, -1, 0
	s_bitcmp1_b32 s14, 0
	s_cselect_b32 s25, -1, 0
	s_add_i32 s12, s16, -1
	s_lshl_b32 s26, s15, 2
	s_lshl_b64 s[14:15], s[12:13], 2
	s_add_i32 s27, s16, 1
	s_add_u32 s0, s14, s0
	s_addc_u32 s1, s15, s1
	s_add_u32 s14, s0, 8
	s_addc_u32 s15, s1, 0
	s_add_i32 s12, s17, -1
	s_add_i32 s28, s17, 1
	s_lshl_b64 s[0:1], s[12:13], 2
                                        ; implicit-def: $sgpr12
	s_delay_alu instid0(SALU_CYCLE_1)
	s_add_u32 s0, s0, s18
	s_addc_u32 s1, s1, s19
	s_add_u32 s16, s0, 8
	s_addc_u32 s17, s1, 0
	s_branch .LBB8_3
.LBB8_2:                                ;   in Loop: Header=BB8_3 Depth=1
	s_or_b32 exec_lo, exec_lo, s1
	s_delay_alu instid0(SALU_CYCLE_1) | instskip(NEXT) | instid1(SALU_CYCLE_1)
	s_and_b32 s0, exec_lo, s0
	s_or_b32 s13, s0, s13
	s_and_not1_b32 s0, s12, exec_lo
	s_and_b32 s1, s36, exec_lo
	s_and_not1_b32 s18, s30, exec_lo
	s_and_b32 s19, s34, exec_lo
	s_or_b32 s12, s0, s1
	s_or_b32 s30, s18, s19
	s_and_not1_b32 s0, s31, exec_lo
	s_and_b32 s1, s35, exec_lo
	s_and_not1_b32 s18, s29, exec_lo
	s_and_b32 s19, s33, exec_lo
	s_or_b32 s31, s0, s1
	s_or_b32 s29, s18, s19
	s_and_not1_b32 exec_lo, exec_lo, s13
	s_cbranch_execz .LBB8_81
.LBB8_3:                                ; =>This Loop Header: Depth=1
                                        ;     Child Loop BB8_6 Depth 2
                                        ;     Child Loop BB8_11 Depth 2
	;; [unrolled: 1-line block ×8, first 2 shown]
	v_sub_nc_u32_e32 v34, s20, v32
	v_mov_b32_e32 v5, 0
	s_delay_alu instid0(VALU_DEP_2) | instskip(NEXT) | instid1(VALU_DEP_1)
	v_cmp_lt_i32_e64 s0, 0, v34
	s_and_saveexec_b32 s1, s0
	s_cbranch_execz .LBB8_8
; %bb.4:                                ;   in Loop: Header=BB8_3 Depth=1
	v_dual_mov_b32 v0, 0 :: v_dual_mov_b32 v3, v32
	s_and_not1_b32 vcc_lo, exec_lo, s23
	s_cbranch_vccnz .LBB8_7
; %bb.5:                                ;   in Loop: Header=BB8_3 Depth=1
	v_dual_mov_b32 v0, 0 :: v_dual_mov_b32 v3, v32
	s_mov_b64 s[18:19], s[14:15]
	s_mov_b32 s37, s27
	s_set_inst_prefetch_distance 0x1
	.p2align	6
.LBB8_6:                                ;   Parent Loop BB8_3 Depth=1
                                        ; =>  This Inner Loop Header: Depth=2
	s_clause 0x1
	s_load_b32 s38, s[18:19], 0x0
	s_load_b32 s39, s[18:19], 0x64
	v_mov_b32_e32 v7, v3
	s_add_i32 s37, s37, -1
	s_waitcnt lgkmcnt(0)
	v_cvt_f32_u32_e32 v5, s38
	s_sub_i32 s40, 0, s38
	s_add_u32 s18, s18, -4
	s_addc_u32 s19, s19, -1
	s_cmp_gt_u32 s37, 2
	v_rcp_iflag_f32_e32 v5, v5
	s_waitcnt_depctr 0xfff
	v_mul_f32_e32 v5, 0x4f7ffffe, v5
	s_delay_alu instid0(VALU_DEP_1) | instskip(NEXT) | instid1(VALU_DEP_1)
	v_cvt_u32_f32_e32 v5, v5
	v_mul_lo_u32 v6, s40, v5
	s_delay_alu instid0(VALU_DEP_1) | instskip(NEXT) | instid1(VALU_DEP_1)
	v_mul_hi_u32 v6, v5, v6
	v_add_nc_u32_e32 v3, v5, v6
	s_delay_alu instid0(VALU_DEP_1) | instskip(NEXT) | instid1(VALU_DEP_1)
	v_mul_hi_u32 v3, v7, v3
	v_add_nc_u32_e32 v6, 1, v3
	v_mul_lo_u32 v5, v3, s38
	s_delay_alu instid0(VALU_DEP_1) | instskip(NEXT) | instid1(VALU_DEP_1)
	v_sub_nc_u32_e32 v5, v7, v5
	v_subrev_nc_u32_e32 v8, s38, v5
	v_cmp_le_u32_e32 vcc_lo, s38, v5
	v_cndmask_b32_e32 v3, v3, v6, vcc_lo
	s_delay_alu instid0(VALU_DEP_1) | instskip(NEXT) | instid1(VALU_DEP_1)
	v_dual_cndmask_b32 v5, v5, v8 :: v_dual_add_nc_u32 v6, 1, v3
	v_cmp_le_u32_e32 vcc_lo, s38, v5
	s_delay_alu instid0(VALU_DEP_2) | instskip(NEXT) | instid1(VALU_DEP_1)
	v_cndmask_b32_e32 v3, v3, v6, vcc_lo
	v_mul_lo_u32 v5, v3, s38
	s_delay_alu instid0(VALU_DEP_1) | instskip(NEXT) | instid1(VALU_DEP_1)
	v_sub_nc_u32_e32 v7, v7, v5
	v_mad_u64_u32 v[5:6], null, s39, v7, v[0:1]
	s_delay_alu instid0(VALU_DEP_1)
	v_mov_b32_e32 v0, v5
	s_cbranch_scc1 .LBB8_6
.LBB8_7:                                ;   in Loop: Header=BB8_3 Depth=1
	s_set_inst_prefetch_distance 0x2
	s_delay_alu instid0(VALU_DEP_1)
	v_mad_u64_u32 v[5:6], null, s22, v3, v[0:1]
.LBB8_8:                                ;   in Loop: Header=BB8_3 Depth=1
	s_or_b32 exec_lo, exec_lo, s1
	v_mov_b32_e32 v6, 0
	s_and_saveexec_b32 s18, s0
	s_cbranch_execz .LBB8_13
; %bb.9:                                ;   in Loop: Header=BB8_3 Depth=1
	v_dual_mov_b32 v0, 0 :: v_dual_mov_b32 v3, v32
	s_and_not1_b32 vcc_lo, exec_lo, s24
	s_cbranch_vccnz .LBB8_12
; %bb.10:                               ;   in Loop: Header=BB8_3 Depth=1
	v_dual_mov_b32 v0, 0 :: v_dual_mov_b32 v3, v32
	s_mov_b64 s[0:1], s[16:17]
	s_mov_b32 s19, s28
	s_set_inst_prefetch_distance 0x1
	.p2align	6
.LBB8_11:                               ;   Parent Loop BB8_3 Depth=1
                                        ; =>  This Inner Loop Header: Depth=2
	s_clause 0x1
	s_load_b32 s37, s[0:1], 0x0
	s_load_b32 s38, s[0:1], 0x64
	s_add_i32 s19, s19, -1
	s_waitcnt lgkmcnt(0)
	v_cvt_f32_u32_e32 v6, s37
	s_sub_i32 s39, 0, s37
	s_add_u32 s0, s0, -4
	s_addc_u32 s1, s1, -1
	s_cmp_gt_u32 s19, 2
	v_rcp_iflag_f32_e32 v6, v6
	s_waitcnt_depctr 0xfff
	v_mul_f32_e32 v6, 0x4f7ffffe, v6
	s_delay_alu instid0(VALU_DEP_1) | instskip(NEXT) | instid1(VALU_DEP_1)
	v_cvt_u32_f32_e32 v6, v6
	v_mul_lo_u32 v7, s39, v6
	s_delay_alu instid0(VALU_DEP_1) | instskip(NEXT) | instid1(VALU_DEP_1)
	v_mul_hi_u32 v7, v6, v7
	v_dual_mov_b32 v8, v3 :: v_dual_add_nc_u32 v3, v6, v7
	s_delay_alu instid0(VALU_DEP_1) | instskip(NEXT) | instid1(VALU_DEP_1)
	v_mul_hi_u32 v3, v8, v3
	v_mul_lo_u32 v6, v3, s37
	v_add_nc_u32_e32 v7, 1, v3
	s_delay_alu instid0(VALU_DEP_2) | instskip(NEXT) | instid1(VALU_DEP_1)
	v_sub_nc_u32_e32 v6, v8, v6
	v_subrev_nc_u32_e32 v9, s37, v6
	v_cmp_le_u32_e32 vcc_lo, s37, v6
	s_delay_alu instid0(VALU_DEP_2) | instskip(NEXT) | instid1(VALU_DEP_1)
	v_dual_cndmask_b32 v3, v3, v7 :: v_dual_cndmask_b32 v6, v6, v9
	v_add_nc_u32_e32 v7, 1, v3
	s_delay_alu instid0(VALU_DEP_2) | instskip(NEXT) | instid1(VALU_DEP_2)
	v_cmp_le_u32_e32 vcc_lo, s37, v6
	v_cndmask_b32_e32 v3, v3, v7, vcc_lo
	s_delay_alu instid0(VALU_DEP_1) | instskip(NEXT) | instid1(VALU_DEP_1)
	v_mul_lo_u32 v6, v3, s37
	v_sub_nc_u32_e32 v8, v8, v6
	s_delay_alu instid0(VALU_DEP_1) | instskip(NEXT) | instid1(VALU_DEP_1)
	v_mad_u64_u32 v[6:7], null, s38, v8, v[0:1]
	v_mov_b32_e32 v0, v6
	s_cbranch_scc1 .LBB8_11
.LBB8_12:                               ;   in Loop: Header=BB8_3 Depth=1
	s_set_inst_prefetch_distance 0x2
	s_delay_alu instid0(VALU_DEP_1)
	v_mad_u64_u32 v[6:7], null, s21, v3, v[0:1]
.LBB8_13:                               ;   in Loop: Header=BB8_3 Depth=1
	s_or_b32 exec_lo, exec_lo, s18
	v_or_b32_e32 v9, 1, v32
	v_cmp_lt_i32_e64 s0, 1, v34
	v_mov_b32_e32 v7, 0
	s_delay_alu instid0(VALU_DEP_2)
	s_and_saveexec_b32 s1, s0
	s_cbranch_execz .LBB8_18
; %bb.14:                               ;   in Loop: Header=BB8_3 Depth=1
	v_dual_mov_b32 v0, 0 :: v_dual_mov_b32 v3, v9
	s_and_not1_b32 vcc_lo, exec_lo, s23
	s_cbranch_vccnz .LBB8_17
; %bb.15:                               ;   in Loop: Header=BB8_3 Depth=1
	v_dual_mov_b32 v0, 0 :: v_dual_mov_b32 v3, v9
	s_mov_b64 s[18:19], s[14:15]
	s_mov_b32 s37, s27
	s_set_inst_prefetch_distance 0x1
	.p2align	6
.LBB8_16:                               ;   Parent Loop BB8_3 Depth=1
                                        ; =>  This Inner Loop Header: Depth=2
	s_clause 0x1
	s_load_b32 s38, s[18:19], 0x0
	s_load_b32 s39, s[18:19], 0x64
	s_add_i32 s37, s37, -1
	v_mov_b32_e32 v10, v3
	s_waitcnt lgkmcnt(0)
	v_cvt_f32_u32_e32 v7, s38
	s_sub_i32 s40, 0, s38
	s_add_u32 s18, s18, -4
	s_addc_u32 s19, s19, -1
	s_cmp_gt_u32 s37, 2
	v_rcp_iflag_f32_e32 v7, v7
	s_waitcnt_depctr 0xfff
	v_mul_f32_e32 v7, 0x4f7ffffe, v7
	s_delay_alu instid0(VALU_DEP_1) | instskip(NEXT) | instid1(VALU_DEP_1)
	v_cvt_u32_f32_e32 v7, v7
	v_mul_lo_u32 v8, s40, v7
	s_delay_alu instid0(VALU_DEP_1) | instskip(NEXT) | instid1(VALU_DEP_1)
	v_mul_hi_u32 v8, v7, v8
	v_add_nc_u32_e32 v3, v7, v8
	s_delay_alu instid0(VALU_DEP_1) | instskip(NEXT) | instid1(VALU_DEP_1)
	v_mul_hi_u32 v3, v10, v3
	v_mul_lo_u32 v7, v3, s38
	v_add_nc_u32_e32 v8, 1, v3
	s_delay_alu instid0(VALU_DEP_2) | instskip(NEXT) | instid1(VALU_DEP_1)
	v_sub_nc_u32_e32 v7, v10, v7
	v_subrev_nc_u32_e32 v11, s38, v7
	v_cmp_le_u32_e32 vcc_lo, s38, v7
	s_delay_alu instid0(VALU_DEP_4) | instskip(NEXT) | instid1(VALU_DEP_3)
	v_cndmask_b32_e32 v3, v3, v8, vcc_lo
	v_cndmask_b32_e32 v7, v7, v11, vcc_lo
	s_delay_alu instid0(VALU_DEP_2) | instskip(NEXT) | instid1(VALU_DEP_2)
	v_add_nc_u32_e32 v8, 1, v3
	v_cmp_le_u32_e32 vcc_lo, s38, v7
	s_delay_alu instid0(VALU_DEP_2) | instskip(NEXT) | instid1(VALU_DEP_1)
	v_cndmask_b32_e32 v3, v3, v8, vcc_lo
	v_mul_lo_u32 v7, v3, s38
	s_delay_alu instid0(VALU_DEP_1) | instskip(NEXT) | instid1(VALU_DEP_1)
	v_sub_nc_u32_e32 v10, v10, v7
	v_mad_u64_u32 v[7:8], null, s39, v10, v[0:1]
	s_delay_alu instid0(VALU_DEP_1)
	v_mov_b32_e32 v0, v7
	s_cbranch_scc1 .LBB8_16
.LBB8_17:                               ;   in Loop: Header=BB8_3 Depth=1
	s_set_inst_prefetch_distance 0x2
	s_delay_alu instid0(VALU_DEP_1)
	v_mad_u64_u32 v[7:8], null, s22, v3, v[0:1]
.LBB8_18:                               ;   in Loop: Header=BB8_3 Depth=1
	s_or_b32 exec_lo, exec_lo, s1
	v_mov_b32_e32 v3, 0
	s_and_saveexec_b32 s18, s0
	s_cbranch_execz .LBB8_23
; %bb.19:                               ;   in Loop: Header=BB8_3 Depth=1
	v_mov_b32_e32 v0, 0
	s_and_not1_b32 vcc_lo, exec_lo, s24
	s_cbranch_vccnz .LBB8_22
; %bb.20:                               ;   in Loop: Header=BB8_3 Depth=1
	v_mov_b32_e32 v0, 0
	s_mov_b64 s[0:1], s[16:17]
	s_mov_b32 s19, s28
	s_set_inst_prefetch_distance 0x1
	.p2align	6
.LBB8_21:                               ;   Parent Loop BB8_3 Depth=1
                                        ; =>  This Inner Loop Header: Depth=2
	s_clause 0x1
	s_load_b32 s37, s[0:1], 0x0
	s_load_b32 s38, s[0:1], 0x64
	s_add_i32 s19, s19, -1
	v_mov_b32_e32 v10, v9
	s_waitcnt lgkmcnt(0)
	v_cvt_f32_u32_e32 v3, s37
	s_sub_i32 s39, 0, s37
	s_add_u32 s0, s0, -4
	s_addc_u32 s1, s1, -1
	s_cmp_gt_u32 s19, 2
	v_rcp_iflag_f32_e32 v3, v3
	s_waitcnt_depctr 0xfff
	v_mul_f32_e32 v3, 0x4f7ffffe, v3
	s_delay_alu instid0(VALU_DEP_1) | instskip(NEXT) | instid1(VALU_DEP_1)
	v_cvt_u32_f32_e32 v3, v3
	v_mul_lo_u32 v8, s39, v3
	s_delay_alu instid0(VALU_DEP_1) | instskip(NEXT) | instid1(VALU_DEP_1)
	v_mul_hi_u32 v8, v3, v8
	v_add_nc_u32_e32 v3, v3, v8
	s_delay_alu instid0(VALU_DEP_1) | instskip(NEXT) | instid1(VALU_DEP_1)
	v_mul_hi_u32 v3, v10, v3
	v_mul_lo_u32 v8, v3, s37
	v_add_nc_u32_e32 v9, 1, v3
	s_delay_alu instid0(VALU_DEP_2) | instskip(NEXT) | instid1(VALU_DEP_1)
	v_sub_nc_u32_e32 v8, v10, v8
	v_subrev_nc_u32_e32 v11, s37, v8
	v_cmp_le_u32_e32 vcc_lo, s37, v8
	s_delay_alu instid0(VALU_DEP_2) | instskip(NEXT) | instid1(VALU_DEP_1)
	v_dual_cndmask_b32 v3, v3, v9 :: v_dual_cndmask_b32 v8, v8, v11
	v_add_nc_u32_e32 v9, 1, v3
	s_delay_alu instid0(VALU_DEP_2) | instskip(NEXT) | instid1(VALU_DEP_2)
	v_cmp_le_u32_e32 vcc_lo, s37, v8
	v_cndmask_b32_e32 v9, v3, v9, vcc_lo
	s_delay_alu instid0(VALU_DEP_1) | instskip(NEXT) | instid1(VALU_DEP_1)
	v_mul_lo_u32 v3, v9, s37
	v_sub_nc_u32_e32 v3, v10, v3
	s_delay_alu instid0(VALU_DEP_1) | instskip(NEXT) | instid1(VALU_DEP_1)
	v_mad_u64_u32 v[10:11], null, s38, v3, v[0:1]
	v_mov_b32_e32 v0, v10
	s_cbranch_scc1 .LBB8_21
.LBB8_22:                               ;   in Loop: Header=BB8_3 Depth=1
	s_set_inst_prefetch_distance 0x2
	s_delay_alu instid0(VALU_DEP_1) | instskip(NEXT) | instid1(VALU_DEP_1)
	v_mad_u64_u32 v[10:11], null, s21, v9, v[0:1]
	v_mov_b32_e32 v3, v10
.LBB8_23:                               ;   in Loop: Header=BB8_3 Depth=1
	s_or_b32 exec_lo, exec_lo, s18
	v_or_b32_e32 v11, 2, v32
	v_cmp_lt_i32_e64 s0, 2, v34
	v_mov_b32_e32 v8, 0
	s_delay_alu instid0(VALU_DEP_2)
	s_and_saveexec_b32 s1, s0
	s_cbranch_execz .LBB8_28
; %bb.24:                               ;   in Loop: Header=BB8_3 Depth=1
	v_mov_b32_e32 v0, 0
	v_mov_b32_e32 v10, v11
	s_and_not1_b32 vcc_lo, exec_lo, s23
	s_cbranch_vccnz .LBB8_27
; %bb.25:                               ;   in Loop: Header=BB8_3 Depth=1
	v_mov_b32_e32 v0, 0
	v_mov_b32_e32 v10, v11
	s_mov_b64 s[18:19], s[14:15]
	s_mov_b32 s37, s27
	s_set_inst_prefetch_distance 0x1
	.p2align	6
.LBB8_26:                               ;   Parent Loop BB8_3 Depth=1
                                        ; =>  This Inner Loop Header: Depth=2
	s_clause 0x1
	s_load_b32 s38, s[18:19], 0x0
	s_load_b32 s39, s[18:19], 0x64
	v_mov_b32_e32 v12, v10
	s_add_i32 s37, s37, -1
	s_waitcnt lgkmcnt(0)
	v_cvt_f32_u32_e32 v8, s38
	s_sub_i32 s40, 0, s38
	s_add_u32 s18, s18, -4
	s_addc_u32 s19, s19, -1
	s_cmp_gt_u32 s37, 2
	v_rcp_iflag_f32_e32 v8, v8
	s_waitcnt_depctr 0xfff
	v_mul_f32_e32 v8, 0x4f7ffffe, v8
	s_delay_alu instid0(VALU_DEP_1) | instskip(NEXT) | instid1(VALU_DEP_1)
	v_cvt_u32_f32_e32 v8, v8
	v_mul_lo_u32 v9, s40, v8
	s_delay_alu instid0(VALU_DEP_1) | instskip(NEXT) | instid1(VALU_DEP_1)
	v_mul_hi_u32 v9, v8, v9
	v_add_nc_u32_e32 v8, v8, v9
	s_delay_alu instid0(VALU_DEP_1) | instskip(NEXT) | instid1(VALU_DEP_1)
	v_mul_hi_u32 v8, v12, v8
	v_mul_lo_u32 v9, v8, s38
	v_add_nc_u32_e32 v10, 1, v8
	s_delay_alu instid0(VALU_DEP_2) | instskip(NEXT) | instid1(VALU_DEP_1)
	v_sub_nc_u32_e32 v9, v12, v9
	v_subrev_nc_u32_e32 v13, s38, v9
	v_cmp_le_u32_e32 vcc_lo, s38, v9
	s_delay_alu instid0(VALU_DEP_2) | instskip(NEXT) | instid1(VALU_DEP_1)
	v_dual_cndmask_b32 v9, v9, v13 :: v_dual_cndmask_b32 v8, v8, v10
	v_cmp_le_u32_e32 vcc_lo, s38, v9
	s_delay_alu instid0(VALU_DEP_2) | instskip(NEXT) | instid1(VALU_DEP_1)
	v_add_nc_u32_e32 v10, 1, v8
	v_cndmask_b32_e32 v10, v8, v10, vcc_lo
	s_delay_alu instid0(VALU_DEP_1) | instskip(NEXT) | instid1(VALU_DEP_1)
	v_mul_lo_u32 v8, v10, s38
	v_sub_nc_u32_e32 v12, v12, v8
	s_delay_alu instid0(VALU_DEP_1) | instskip(NEXT) | instid1(VALU_DEP_1)
	v_mad_u64_u32 v[8:9], null, s39, v12, v[0:1]
	v_mov_b32_e32 v0, v8
	s_cbranch_scc1 .LBB8_26
.LBB8_27:                               ;   in Loop: Header=BB8_3 Depth=1
	s_set_inst_prefetch_distance 0x2
	s_delay_alu instid0(VALU_DEP_1)
	v_mad_u64_u32 v[8:9], null, s22, v10, v[0:1]
.LBB8_28:                               ;   in Loop: Header=BB8_3 Depth=1
	s_or_b32 exec_lo, exec_lo, s1
	v_mov_b32_e32 v9, 0
	v_mov_b32_e32 v10, 0
	s_and_saveexec_b32 s18, s0
	s_cbranch_execz .LBB8_33
; %bb.29:                               ;   in Loop: Header=BB8_3 Depth=1
	v_mov_b32_e32 v0, 0
	s_and_not1_b32 vcc_lo, exec_lo, s24
	s_cbranch_vccnz .LBB8_32
; %bb.30:                               ;   in Loop: Header=BB8_3 Depth=1
	v_mov_b32_e32 v0, 0
	s_mov_b64 s[0:1], s[16:17]
	s_mov_b32 s19, s28
	s_set_inst_prefetch_distance 0x1
	.p2align	6
.LBB8_31:                               ;   Parent Loop BB8_3 Depth=1
                                        ; =>  This Inner Loop Header: Depth=2
	s_clause 0x1
	s_load_b32 s37, s[0:1], 0x0
	s_load_b32 s38, s[0:1], 0x64
	s_add_i32 s19, s19, -1
	v_mov_b32_e32 v12, v11
	s_waitcnt lgkmcnt(0)
	v_cvt_f32_u32_e32 v9, s37
	s_sub_i32 s39, 0, s37
	s_add_u32 s0, s0, -4
	s_addc_u32 s1, s1, -1
	s_cmp_gt_u32 s19, 2
	v_rcp_iflag_f32_e32 v9, v9
	s_waitcnt_depctr 0xfff
	v_mul_f32_e32 v9, 0x4f7ffffe, v9
	s_delay_alu instid0(VALU_DEP_1) | instskip(NEXT) | instid1(VALU_DEP_1)
	v_cvt_u32_f32_e32 v9, v9
	v_mul_lo_u32 v10, s39, v9
	s_delay_alu instid0(VALU_DEP_1) | instskip(NEXT) | instid1(VALU_DEP_1)
	v_mul_hi_u32 v10, v9, v10
	v_add_nc_u32_e32 v9, v9, v10
	s_delay_alu instid0(VALU_DEP_1) | instskip(NEXT) | instid1(VALU_DEP_1)
	v_mul_hi_u32 v9, v12, v9
	v_mul_lo_u32 v10, v9, s37
	v_add_nc_u32_e32 v11, 1, v9
	s_delay_alu instid0(VALU_DEP_2) | instskip(NEXT) | instid1(VALU_DEP_1)
	v_sub_nc_u32_e32 v10, v12, v10
	v_subrev_nc_u32_e32 v13, s37, v10
	v_cmp_le_u32_e32 vcc_lo, s37, v10
	s_delay_alu instid0(VALU_DEP_2) | instskip(NEXT) | instid1(VALU_DEP_1)
	v_dual_cndmask_b32 v9, v9, v11 :: v_dual_cndmask_b32 v10, v10, v13
	v_add_nc_u32_e32 v11, 1, v9
	s_delay_alu instid0(VALU_DEP_2) | instskip(NEXT) | instid1(VALU_DEP_2)
	v_cmp_le_u32_e32 vcc_lo, s37, v10
	v_cndmask_b32_e32 v11, v9, v11, vcc_lo
	s_delay_alu instid0(VALU_DEP_1) | instskip(NEXT) | instid1(VALU_DEP_1)
	v_mul_lo_u32 v9, v11, s37
	v_sub_nc_u32_e32 v12, v12, v9
	s_delay_alu instid0(VALU_DEP_1) | instskip(NEXT) | instid1(VALU_DEP_1)
	v_mad_u64_u32 v[9:10], null, s38, v12, v[0:1]
	v_mov_b32_e32 v0, v9
	s_cbranch_scc1 .LBB8_31
.LBB8_32:                               ;   in Loop: Header=BB8_3 Depth=1
	s_set_inst_prefetch_distance 0x2
	s_delay_alu instid0(VALU_DEP_1)
	v_mad_u64_u32 v[9:10], null, s21, v11, v[0:1]
	v_mov_b32_e32 v10, v4
.LBB8_33:                               ;   in Loop: Header=BB8_3 Depth=1
	s_or_b32 exec_lo, exec_lo, s18
	v_mov_b32_e32 v11, 0
	v_or_b32_e32 v15, 3, v32
	v_mov_b32_e32 v12, 0
	v_cmp_lt_i32_e64 s0, 3, v34
	s_delay_alu instid0(VALU_DEP_1)
	s_and_saveexec_b32 s1, s0
	s_cbranch_execz .LBB8_38
; %bb.34:                               ;   in Loop: Header=BB8_3 Depth=1
	v_dual_mov_b32 v0, 0 :: v_dual_mov_b32 v13, v15
	s_and_not1_b32 vcc_lo, exec_lo, s23
	s_cbranch_vccnz .LBB8_37
; %bb.35:                               ;   in Loop: Header=BB8_3 Depth=1
	v_dual_mov_b32 v0, 0 :: v_dual_mov_b32 v13, v15
	s_mov_b64 s[18:19], s[14:15]
	s_mov_b32 s37, s27
	s_set_inst_prefetch_distance 0x1
	.p2align	6
.LBB8_36:                               ;   Parent Loop BB8_3 Depth=1
                                        ; =>  This Inner Loop Header: Depth=2
	s_clause 0x1
	s_load_b32 s38, s[18:19], 0x0
	s_load_b32 s39, s[18:19], 0x64
	s_add_i32 s37, s37, -1
	v_mov_b32_e32 v14, v13
	s_waitcnt lgkmcnt(0)
	v_cvt_f32_u32_e32 v11, s38
	s_sub_i32 s40, 0, s38
	s_add_u32 s18, s18, -4
	s_addc_u32 s19, s19, -1
	s_cmp_gt_u32 s37, 2
	v_rcp_iflag_f32_e32 v11, v11
	s_waitcnt_depctr 0xfff
	v_mul_f32_e32 v11, 0x4f7ffffe, v11
	s_delay_alu instid0(VALU_DEP_1) | instskip(NEXT) | instid1(VALU_DEP_1)
	v_cvt_u32_f32_e32 v11, v11
	v_mul_lo_u32 v12, s40, v11
	s_delay_alu instid0(VALU_DEP_1) | instskip(NEXT) | instid1(VALU_DEP_1)
	v_mul_hi_u32 v12, v11, v12
	v_add_nc_u32_e32 v11, v11, v12
	s_delay_alu instid0(VALU_DEP_1) | instskip(NEXT) | instid1(VALU_DEP_1)
	v_mul_hi_u32 v11, v14, v11
	v_mul_lo_u32 v12, v11, s38
	s_delay_alu instid0(VALU_DEP_1) | instskip(NEXT) | instid1(VALU_DEP_1)
	v_sub_nc_u32_e32 v12, v14, v12
	v_subrev_nc_u32_e32 v16, s38, v12
	v_cmp_le_u32_e32 vcc_lo, s38, v12
	s_delay_alu instid0(VALU_DEP_2) | instskip(NEXT) | instid1(VALU_DEP_1)
	v_dual_cndmask_b32 v12, v12, v16 :: v_dual_add_nc_u32 v13, 1, v11
	v_cndmask_b32_e32 v11, v11, v13, vcc_lo
	s_delay_alu instid0(VALU_DEP_2) | instskip(NEXT) | instid1(VALU_DEP_2)
	v_cmp_le_u32_e32 vcc_lo, s38, v12
	v_add_nc_u32_e32 v13, 1, v11
	s_delay_alu instid0(VALU_DEP_1) | instskip(NEXT) | instid1(VALU_DEP_1)
	v_cndmask_b32_e32 v13, v11, v13, vcc_lo
	v_mul_lo_u32 v11, v13, s38
	s_delay_alu instid0(VALU_DEP_1) | instskip(NEXT) | instid1(VALU_DEP_1)
	v_sub_nc_u32_e32 v14, v14, v11
	v_mad_u64_u32 v[11:12], null, s39, v14, v[0:1]
	s_delay_alu instid0(VALU_DEP_1)
	v_mov_b32_e32 v0, v11
	s_cbranch_scc1 .LBB8_36
.LBB8_37:                               ;   in Loop: Header=BB8_3 Depth=1
	s_set_inst_prefetch_distance 0x2
	s_delay_alu instid0(VALU_DEP_1)
	v_mad_u64_u32 v[11:12], null, s22, v13, v[0:1]
	v_mov_b32_e32 v12, v4
.LBB8_38:                               ;   in Loop: Header=BB8_3 Depth=1
	s_or_b32 exec_lo, exec_lo, s1
	v_mov_b32_e32 v13, 0
	v_mov_b32_e32 v14, 0
	s_and_saveexec_b32 s18, s0
	s_cbranch_execz .LBB8_43
; %bb.39:                               ;   in Loop: Header=BB8_3 Depth=1
	v_mov_b32_e32 v0, 0
	s_and_not1_b32 vcc_lo, exec_lo, s24
	s_cbranch_vccnz .LBB8_42
; %bb.40:                               ;   in Loop: Header=BB8_3 Depth=1
	v_mov_b32_e32 v0, 0
	s_mov_b64 s[0:1], s[16:17]
	s_mov_b32 s19, s28
	s_set_inst_prefetch_distance 0x1
	.p2align	6
.LBB8_41:                               ;   Parent Loop BB8_3 Depth=1
                                        ; =>  This Inner Loop Header: Depth=2
	s_clause 0x1
	s_load_b32 s37, s[0:1], 0x0
	s_load_b32 s38, s[0:1], 0x64
	s_add_i32 s19, s19, -1
	v_mov_b32_e32 v16, v15
	s_waitcnt lgkmcnt(0)
	v_cvt_f32_u32_e32 v13, s37
	s_sub_i32 s39, 0, s37
	s_add_u32 s0, s0, -4
	s_addc_u32 s1, s1, -1
	s_cmp_gt_u32 s19, 2
	v_rcp_iflag_f32_e32 v13, v13
	s_waitcnt_depctr 0xfff
	v_mul_f32_e32 v13, 0x4f7ffffe, v13
	s_delay_alu instid0(VALU_DEP_1) | instskip(NEXT) | instid1(VALU_DEP_1)
	v_cvt_u32_f32_e32 v13, v13
	v_mul_lo_u32 v14, s39, v13
	s_delay_alu instid0(VALU_DEP_1) | instskip(NEXT) | instid1(VALU_DEP_1)
	v_mul_hi_u32 v14, v13, v14
	v_add_nc_u32_e32 v13, v13, v14
	s_delay_alu instid0(VALU_DEP_1) | instskip(NEXT) | instid1(VALU_DEP_1)
	v_mul_hi_u32 v13, v16, v13
	v_mul_lo_u32 v14, v13, s37
	v_add_nc_u32_e32 v15, 1, v13
	s_delay_alu instid0(VALU_DEP_2) | instskip(NEXT) | instid1(VALU_DEP_1)
	v_sub_nc_u32_e32 v14, v16, v14
	v_subrev_nc_u32_e32 v17, s37, v14
	v_cmp_le_u32_e32 vcc_lo, s37, v14
	s_delay_alu instid0(VALU_DEP_2) | instskip(NEXT) | instid1(VALU_DEP_1)
	v_dual_cndmask_b32 v13, v13, v15 :: v_dual_cndmask_b32 v14, v14, v17
	v_add_nc_u32_e32 v15, 1, v13
	s_delay_alu instid0(VALU_DEP_2) | instskip(NEXT) | instid1(VALU_DEP_2)
	v_cmp_le_u32_e32 vcc_lo, s37, v14
	v_cndmask_b32_e32 v15, v13, v15, vcc_lo
	s_delay_alu instid0(VALU_DEP_1) | instskip(NEXT) | instid1(VALU_DEP_1)
	v_mul_lo_u32 v13, v15, s37
	v_sub_nc_u32_e32 v16, v16, v13
	s_delay_alu instid0(VALU_DEP_1) | instskip(NEXT) | instid1(VALU_DEP_1)
	v_mad_u64_u32 v[13:14], null, s38, v16, v[0:1]
	v_mov_b32_e32 v0, v13
	s_cbranch_scc1 .LBB8_41
.LBB8_42:                               ;   in Loop: Header=BB8_3 Depth=1
	s_set_inst_prefetch_distance 0x2
	s_delay_alu instid0(VALU_DEP_1)
	v_mad_u64_u32 v[13:14], null, s21, v15, v[0:1]
	v_mov_b32_e32 v14, v4
.LBB8_43:                               ;   in Loop: Header=BB8_3 Depth=1
	s_or_b32 exec_lo, exec_lo, s18
	s_delay_alu instid0(VALU_DEP_1) | instskip(SKIP_2) | instid1(VALU_DEP_3)
	v_lshlrev_b64 v[13:14], 3, v[13:14]
	v_dual_mov_b32 v20, s7 :: v_dual_mov_b32 v19, s6
	v_dual_mov_b32 v22, s5 :: v_dual_mov_b32 v21, s4
	v_add_co_u32 v13, vcc_lo, s8, v13
	s_delay_alu instid0(VALU_DEP_4)
	v_add_co_ci_u32_e32 v14, vcc_lo, s9, v14, vcc_lo
	s_and_not1_b32 vcc_lo, exec_lo, s25
	global_load_b64 v[15:16], v[13:14], off
	s_cbranch_vccnz .LBB8_45
; %bb.44:                               ;   in Loop: Header=BB8_3 Depth=1
	v_dual_mov_b32 v14, s7 :: v_dual_mov_b32 v13, s6
	v_dual_mov_b32 v18, s5 :: v_dual_mov_b32 v17, s4
	flat_load_b64 v[13:14], v[13:14]
	flat_load_b64 v[21:22], v[17:18]
	s_waitcnt vmcnt(1) lgkmcnt(1)
	v_add_co_u32 v19, vcc_lo, v13, s2
	v_add_co_ci_u32_e32 v20, vcc_lo, s3, v14, vcc_lo
.LBB8_45:                               ;   in Loop: Header=BB8_3 Depth=1
	s_delay_alu instid0(VALU_DEP_1)
	v_alignbit_b32 v0, v20, v19, 2
	v_lshrrev_b32_e32 v17, 2, v20
	s_waitcnt vmcnt(0) lgkmcnt(0)
	v_add_nc_u32_e32 v35, 0x9e3779b9, v21
	v_add_nc_u32_e32 v37, 0x3c6ef372, v21
	;; [unrolled: 1-line block ×3, first 2 shown]
	v_add_co_u32 v18, vcc_lo, v0, 1
	s_delay_alu instid0(VALU_DEP_1) | instskip(SKIP_4) | instid1(VALU_DEP_4)
	v_cndmask_b32_e64 v13, 0, 1, vcc_lo
	v_add_co_ci_u32_e32 v20, vcc_lo, 0, v17, vcc_lo
	v_xor3_b32 v25, v33, v21, v17
	v_add_nc_u32_e32 v40, 0xed9eba14, v22
	v_add_nc_u32_e32 v41, 0x1fd5c5a3, v22
	v_cmp_eq_u32_e32 vcc_lo, 0, v20
	s_mov_b32 s0, exec_lo
	v_add_nc_u32_e32 v36, 0xbb67ae85, v22
	v_dual_cndmask_b32 v23, 0, v13 :: v_dual_add_nc_u32 v38, 0x76cf5d0a, v22
	v_mad_u64_u32 v[13:14], null, 0xd2511f53, v18, 0
	v_mad_u64_u32 v[17:18], null, 0xd2511f53, v0, 0
	s_delay_alu instid0(VALU_DEP_3) | instskip(NEXT) | instid1(VALU_DEP_3)
	v_add_nc_u32_e32 v27, v23, v1
	v_xor_b32_e32 v14, v14, v22
	s_delay_alu instid0(VALU_DEP_2) | instskip(SKIP_1) | instid1(VALU_DEP_1)
	v_cmp_eq_u32_e32 vcc_lo, 0, v27
	v_cndmask_b32_e32 v23, 0, v23, vcc_lo
	v_xor_b32_e32 v0, v23, v14
	v_mad_u64_u32 v[23:24], null, 0xd2511f53, v25, 0
	v_mad_u64_u32 v[25:26], null, 0xcd9e8d57, v27, 0
	s_delay_alu instid0(VALU_DEP_3) | instskip(SKIP_1) | instid1(VALU_DEP_4)
	v_mad_u64_u32 v[27:28], null, 0xcd9e8d57, v0, 0
	v_xor_b32_e32 v0, v18, v22
	v_xor3_b32 v14, v36, v24, v17
	s_delay_alu instid0(VALU_DEP_2) | instskip(SKIP_2) | instid1(VALU_DEP_4)
	v_mad_u64_u32 v[17:18], null, 0xcd9e8d57, v0, 0
	v_xor3_b32 v0, v26, v21, v20
	v_xor3_b32 v20, v35, v28, v25
	v_mad_u64_u32 v[24:25], null, 0xcd9e8d57, v14, 0
	s_delay_alu instid0(VALU_DEP_3) | instskip(NEXT) | instid1(VALU_DEP_3)
	v_mad_u64_u32 v[28:29], null, 0xd2511f53, v0, 0
	v_mad_u64_u32 v[30:31], null, 0xd2511f53, v20, 0
	v_xor3_b32 v0, v2, v18, v35
	s_delay_alu instid0(VALU_DEP_4) | instskip(SKIP_1) | instid1(VALU_DEP_3)
	v_xor3_b32 v25, v37, v25, v17
	v_add_nc_u32_e32 v20, 0xdaa66d2b, v21
	v_mad_u64_u32 v[17:18], null, 0xd2511f53, v0, 0
	v_xor3_b32 v0, v36, v29, v13
	v_xor3_b32 v31, v38, v31, v28
	v_mad_u64_u32 v[13:14], null, 0xd2511f53, v25, 0
	s_delay_alu instid0(VALU_DEP_3) | instskip(NEXT) | instid1(VALU_DEP_3)
	v_mad_u64_u32 v[25:26], null, 0xcd9e8d57, v0, 0
	v_mad_u64_u32 v[28:29], null, 0xcd9e8d57, v31, 0
	v_xor3_b32 v0, v38, v18, v23
	s_delay_alu instid0(VALU_DEP_4) | instskip(SKIP_1) | instid1(VALU_DEP_3)
	v_xor3_b32 v14, v39, v14, v17
	v_add_nc_u32_e32 v31, 0x78dde6e4, v21
	v_mad_u64_u32 v[17:18], null, 0xcd9e8d57, v0, 0
	v_xor3_b32 v0, v37, v26, v27
	v_xor3_b32 v23, v20, v29, v25
	v_mad_u64_u32 v[25:26], null, 0xcd9e8d57, v14, 0
	v_add_nc_u32_e32 v27, 0xa9066899, v22
	s_delay_alu instid0(VALU_DEP_4) | instskip(NEXT) | instid1(VALU_DEP_4)
	v_mad_u64_u32 v[35:36], null, 0xd2511f53, v0, 0
	v_mad_u64_u32 v[37:38], null, 0xd2511f53, v23, 0
	v_xor3_b32 v0, v20, v18, v24
	v_xor3_b32 v14, v31, v26, v17
	v_add_nc_u32_e32 v20, 0x1715609d, v21
	s_delay_alu instid0(VALU_DEP_3) | instskip(SKIP_4) | instid1(VALU_DEP_4)
	v_mad_u64_u32 v[17:18], null, 0xd2511f53, v0, 0
	v_xor3_b32 v0, v39, v36, v30
	v_xor3_b32 v26, v40, v38, v35
	v_mad_u64_u32 v[29:30], null, 0xd2511f53, v14, 0
	v_add_nc_u32_e32 v36, 0xb54cda56, v21
	v_mad_u64_u32 v[23:24], null, 0xcd9e8d57, v0, 0
	s_delay_alu instid0(VALU_DEP_4) | instskip(SKIP_3) | instid1(VALU_DEP_3)
	v_mad_u64_u32 v[38:39], null, 0xcd9e8d57, v26, 0
	v_xor3_b32 v0, v40, v18, v13
	v_xor3_b32 v26, v27, v30, v17
	v_add_nc_u32_e32 v35, 0x646e171e, v22
	v_mad_u64_u32 v[13:14], null, 0xcd9e8d57, v0, 0
	v_xor3_b32 v0, v31, v24, v28
	v_xor3_b32 v28, v20, v39, v23
	v_mad_u64_u32 v[17:18], null, 0xcd9e8d57, v26, 0
	s_delay_alu instid0(VALU_DEP_3) | instskip(NEXT) | instid1(VALU_DEP_3)
	v_mad_u64_u32 v[23:24], null, 0xd2511f53, v0, 0
	v_mad_u64_u32 v[39:40], null, 0xd2511f53, v28, 0
	v_xor3_b32 v0, v20, v14, v25
	s_delay_alu instid0(VALU_DEP_4) | instskip(SKIP_1) | instid1(VALU_DEP_3)
	v_xor3_b32 v18, v36, v18, v13
	v_add_nc_u32_e32 v20, 0x5384540f, v21
	v_mad_u64_u32 v[13:14], null, 0xd2511f53, v0, 0
	v_xor3_b32 v0, v27, v24, v37
	v_xor3_b32 v25, v35, v40, v23
	v_mad_u64_u32 v[23:24], null, 0xd2511f53, v18, 0
	s_delay_alu instid0(VALU_DEP_3) | instskip(NEXT) | instid1(VALU_DEP_3)
	v_mad_u64_u32 v[30:31], null, 0xcd9e8d57, v0, 0
	v_mad_u64_u32 v[26:27], null, 0xcd9e8d57, v25, 0
	v_xor3_b32 v0, v35, v14, v29
	s_delay_alu instid0(VALU_DEP_4) | instskip(SKIP_1) | instid1(VALU_DEP_3)
	v_xor3_b32 v18, v41, v24, v13
	v_add_co_u32 v35, null, 0xf1bbcdc8, v21
	v_mad_u64_u32 v[13:14], null, 0xcd9e8d57, v0, 0
	v_xor3_b32 v0, v36, v31, v38
	v_xor3_b32 v27, v20, v27, v30
	v_mad_u64_u32 v[24:25], null, 0xcd9e8d57, v18, 0
	v_add_nc_u32_e32 v36, 0xdb3d7428, v22
	s_delay_alu instid0(VALU_DEP_4) | instskip(NEXT) | instid1(VALU_DEP_4)
	v_mad_u64_u32 v[37:38], null, 0xd2511f53, v0, 0
	v_mad_u64_u32 v[29:30], null, 0xd2511f53, v27, 0
	v_xor3_b32 v0, v20, v14, v17
	v_xor3_b32 v17, v35, v25, v13
	v_add_nc_u32_e32 v25, 0x96a522ad, v22
	v_add_nc_u32_e32 v22, 0x8ff34781, v21
	v_and_b32_e32 v21, 3, v19
	v_mad_u64_u32 v[27:28], null, 0xd2511f53, v0, 0
	v_xor3_b32 v0, v41, v38, v39
	v_xor3_b32 v20, v36, v30, v37
	v_mad_u64_u32 v[13:14], null, 0xd2511f53, v17, 0
	s_delay_alu instid0(VALU_DEP_3) | instskip(NEXT) | instid1(VALU_DEP_3)
	v_mad_u64_u32 v[30:31], null, 0xcd9e8d57, v0, 0
	v_mad_u64_u32 v[17:18], null, 0xcd9e8d57, v20, 0
                                        ; implicit-def: $vgpr20
	s_delay_alu instid0(VALU_DEP_3) | instskip(NEXT) | instid1(VALU_DEP_2)
	v_xor3_b32 v14, v14, v27, v25
	v_xor3_b32 v0, v18, v30, v22
	v_cmpx_lt_i32_e32 1, v21
	s_xor_b32 s0, exec_lo, s0
	s_cbranch_execz .LBB8_51
; %bb.46:                               ;   in Loop: Header=BB8_3 Depth=1
	s_mov_b32 s1, exec_lo
                                        ; implicit-def: $vgpr20
	v_cmpx_lt_i32_e32 2, v21
	s_xor_b32 s1, exec_lo, s1
; %bb.47:                               ;   in Loop: Header=BB8_3 Depth=1
	v_xor3_b32 v14, v35, v31, v26
	s_delay_alu instid0(VALU_DEP_1) | instskip(NEXT) | instid1(VALU_DEP_1)
	v_mul_hi_u32 v14, 0xd2511f53, v14
	v_xor3_b32 v20, v14, v29, v25
                                        ; implicit-def: $vgpr14
; %bb.48:                               ;   in Loop: Header=BB8_3 Depth=1
	s_and_not1_saveexec_b32 s1, s1
; %bb.49:                               ;   in Loop: Header=BB8_3 Depth=1
	v_dual_mov_b32 v20, v17 :: v_dual_mov_b32 v17, v0
	v_dual_mov_b32 v0, v13 :: v_dual_mov_b32 v13, v14
; %bb.50:                               ;   in Loop: Header=BB8_3 Depth=1
	s_or_b32 exec_lo, exec_lo, s1
                                        ; implicit-def: $vgpr23_vgpr24
                                        ; implicit-def: $vgpr21
                                        ; implicit-def: $vgpr14
                                        ; implicit-def: $vgpr36
                                        ; implicit-def: $vgpr27_vgpr28
                                        ; implicit-def: $vgpr22
                                        ; implicit-def: $vgpr24_vgpr25
.LBB8_51:                               ;   in Loop: Header=BB8_3 Depth=1
	s_and_not1_saveexec_b32 s0, s0
	s_cbranch_execz .LBB8_55
; %bb.52:                               ;   in Loop: Header=BB8_3 Depth=1
	v_xor3_b32 v17, v36, v28, v23
	v_cmp_eq_u32_e32 vcc_lo, 1, v21
	v_mov_b32_e32 v20, v13
	s_delay_alu instid0(VALU_DEP_3) | instskip(SKIP_1) | instid1(VALU_DEP_2)
	v_mad_u64_u32 v[18:19], null, 0xcd9e8d57, v17, 0
	v_mov_b32_e32 v17, v14
	v_xor3_b32 v21, v19, v24, v22
	s_delay_alu instid0(VALU_DEP_3)
	v_mov_b32_e32 v19, v18
	s_and_saveexec_b32 s1, vcc_lo
; %bb.53:                               ;   in Loop: Header=BB8_3 Depth=1
	v_dual_mov_b32 v20, v0 :: v_dual_mov_b32 v17, v13
	v_mov_b32_e32 v19, v14
	v_mov_b32_e32 v21, v18
; %bb.54:                               ;   in Loop: Header=BB8_3 Depth=1
	s_or_b32 exec_lo, exec_lo, s1
	s_delay_alu instid0(VALU_DEP_1)
	v_dual_mov_b32 v13, v21 :: v_dual_mov_b32 v0, v19
.LBB8_55:                               ;   in Loop: Header=BB8_3 Depth=1
	s_or_b32 exec_lo, exec_lo, s0
	v_min_i32_e32 v14, 4, v34
	s_mov_b32 s1, 0
	s_mov_b32 s41, 0
	;; [unrolled: 1-line block ×3, first 2 shown]
                                        ; implicit-def: $sgpr19
                                        ; implicit-def: $sgpr37
                                        ; implicit-def: $sgpr38
	s_mov_b32 s0, exec_lo
	v_cmpx_lt_i32_e32 2, v14
	s_xor_b32 s39, exec_lo, s0
	s_cbranch_execz .LBB8_67
; %bb.56:                               ;   in Loop: Header=BB8_3 Depth=1
	s_mov_b32 s0, -1
	s_mov_b32 s40, 0
	s_mov_b32 s37, exec_lo
                                        ; implicit-def: $sgpr18
                                        ; implicit-def: $sgpr19
	v_cmpx_lt_i32_e32 3, v14
	s_cbranch_execz .LBB8_62
; %bb.57:                               ;   in Loop: Header=BB8_3 Depth=1
	s_mov_b32 s0, 0
	s_mov_b32 s41, -1
	s_mov_b32 s38, exec_lo
                                        ; implicit-def: $sgpr18
                                        ; implicit-def: $sgpr19
	v_cmpx_eq_u32_e32 4, v14
	s_cbranch_execz .LBB8_61
; %bb.58:                               ;   in Loop: Header=BB8_3 Depth=1
	v_cmp_le_f64_e32 vcc_lo, 0, v[15:16]
	v_cmp_ge_f64_e64 s0, 1.0, v[15:16]
	s_mov_b32 s18, 0
	s_delay_alu instid0(VALU_DEP_1)
	s_and_b32 s41, vcc_lo, s0
	s_mov_b32 s0, 0
	s_and_saveexec_b32 s19, s41
	s_cbranch_execz .LBB8_60
; %bb.59:                               ;   in Loop: Header=BB8_3 Depth=1
	v_cvt_f32_u32_e32 v18, v20
	v_lshlrev_b64 v[11:12], 3, v[11:12]
	s_mov_b32 s0, exec_lo
	s_delay_alu instid0(VALU_DEP_2) | instskip(NEXT) | instid1(VALU_DEP_2)
	v_fmaak_f32 v18, 0x2f800000, v18, 0x2f800000
	v_add_co_u32 v11, vcc_lo, s10, v11
	s_delay_alu instid0(VALU_DEP_3) | instskip(NEXT) | instid1(VALU_DEP_3)
	v_add_co_ci_u32_e32 v12, vcc_lo, s11, v12, vcc_lo
	v_cvt_f64_f32_e32 v[18:19], v18
	s_delay_alu instid0(VALU_DEP_1)
	v_cmp_ge_f64_e32 vcc_lo, v[15:16], v[18:19]
	v_mov_b32_e32 v15, v4
	v_cndmask_b32_e64 v16, 0, 0x3ff00000, vcc_lo
	global_store_b64 v[11:12], v[15:16], off
.LBB8_60:                               ;   in Loop: Header=BB8_3 Depth=1
	s_or_b32 exec_lo, exec_lo, s19
	s_mov_b32 s19, -1
	s_xor_b32 s41, exec_lo, -1
	s_and_b32 s0, s0, exec_lo
.LBB8_61:                               ;   in Loop: Header=BB8_3 Depth=1
	s_or_b32 exec_lo, exec_lo, s38
	s_delay_alu instid0(SALU_CYCLE_1)
	s_and_b32 s41, s41, exec_lo
	s_or_not1_b32 s0, s0, exec_lo
.LBB8_62:                               ;   in Loop: Header=BB8_3 Depth=1
	s_or_b32 exec_lo, exec_lo, s37
	s_mov_b32 s38, s18
	s_and_saveexec_b32 s37, s0
	s_cbranch_execz .LBB8_66
; %bb.63:                               ;   in Loop: Header=BB8_3 Depth=1
	v_lshlrev_b64 v[9:10], 3, v[9:10]
	s_delay_alu instid0(VALU_DEP_1) | instskip(NEXT) | instid1(VALU_DEP_2)
	v_add_co_u32 v9, vcc_lo, s8, v9
	v_add_co_ci_u32_e32 v10, vcc_lo, s9, v10, vcc_lo
	global_load_b64 v[10:11], v[9:10], off
	s_waitcnt vmcnt(0)
	v_cmp_le_f64_e32 vcc_lo, 0, v[10:11]
	v_cmp_ge_f64_e64 s0, 1.0, v[10:11]
	s_delay_alu instid0(VALU_DEP_1) | instskip(SKIP_2) | instid1(SALU_CYCLE_1)
	s_and_b32 s38, vcc_lo, s0
	s_mov_b32 s0, 0
	s_and_saveexec_b32 s40, s38
	s_xor_b32 s38, exec_lo, s40
	s_cbranch_execz .LBB8_65
; %bb.64:                               ;   in Loop: Header=BB8_3 Depth=1
	v_cvt_f32_u32_e32 v9, v17
	s_mov_b32 s0, exec_lo
	s_delay_alu instid0(VALU_DEP_1) | instskip(NEXT) | instid1(VALU_DEP_1)
	v_fmaak_f32 v9, 0x2f800000, v9, 0x2f800000
	v_cvt_f64_f32_e32 v[15:16], v9
	v_mov_b32_e32 v9, v4
	s_delay_alu instid0(VALU_DEP_1) | instskip(NEXT) | instid1(VALU_DEP_1)
	v_lshlrev_b64 v[8:9], 3, v[8:9]
	v_add_co_u32 v8, vcc_lo, s10, v8
	s_delay_alu instid0(VALU_DEP_2)
	v_add_co_ci_u32_e32 v9, vcc_lo, s11, v9, vcc_lo
	v_cmp_ge_f64_e32 vcc_lo, v[10:11], v[15:16]
	v_mov_b32_e32 v10, v4
	v_cndmask_b32_e64 v11, 0, 0x3ff00000, vcc_lo
	global_store_b64 v[8:9], v[10:11], off
.LBB8_65:                               ;   in Loop: Header=BB8_3 Depth=1
	s_or_b32 exec_lo, exec_lo, s38
	s_delay_alu instid0(SALU_CYCLE_1)
	s_and_not1_b32 s38, s18, exec_lo
	s_or_b32 s18, s18, exec_lo
	s_and_not1_b32 s19, s19, exec_lo
	s_and_b32 s40, s0, exec_lo
.LBB8_66:                               ;   in Loop: Header=BB8_3 Depth=1
	s_or_b32 exec_lo, exec_lo, s37
	s_delay_alu instid0(SALU_CYCLE_1)
	s_and_b32 s38, s38, exec_lo
	s_and_b32 s37, s18, exec_lo
	;; [unrolled: 1-line block ×5, first 2 shown]
.LBB8_67:                               ;   in Loop: Header=BB8_3 Depth=1
	s_and_not1_saveexec_b32 s0, s39
; %bb.68:                               ;   in Loop: Header=BB8_3 Depth=1
	v_cmp_lt_i32_e32 vcc_lo, 1, v14
	s_and_not1_b32 s39, s41, exec_lo
	s_mov_b32 s1, exec_lo
	s_and_not1_b32 s38, s38, exec_lo
	s_and_not1_b32 s37, s37, exec_lo
	s_and_b32 s40, vcc_lo, exec_lo
	s_and_not1_b32 s19, s19, exec_lo
	s_or_b32 s41, s39, s40
; %bb.69:                               ;   in Loop: Header=BB8_3 Depth=1
	s_or_b32 exec_lo, exec_lo, s0
	s_mov_b32 s0, 0
	s_mov_b32 s39, s38
	s_and_saveexec_b32 s40, s41
	s_cbranch_execnz .LBB8_72
; %bb.70:                               ;   in Loop: Header=BB8_3 Depth=1
	s_or_b32 exec_lo, exec_lo, s40
	s_and_saveexec_b32 s40, s1
	s_cbranch_execnz .LBB8_75
.LBB8_71:                               ;   in Loop: Header=BB8_3 Depth=1
	s_or_b32 exec_lo, exec_lo, s40
	s_and_saveexec_b32 s1, s0
	s_cbranch_execnz .LBB8_76
	s_branch .LBB8_79
.LBB8_72:                               ;   in Loop: Header=BB8_3 Depth=1
	v_lshlrev_b64 v[8:9], 3, v[3:4]
	s_mov_b32 s41, 0
	s_delay_alu instid0(VALU_DEP_1) | instskip(NEXT) | instid1(VALU_DEP_2)
	v_add_co_u32 v8, vcc_lo, s8, v8
	v_add_co_ci_u32_e32 v9, vcc_lo, s9, v9, vcc_lo
	global_load_b64 v[9:10], v[8:9], off
	s_waitcnt vmcnt(0)
	v_cmp_le_f64_e32 vcc_lo, 0, v[9:10]
	v_cmp_ge_f64_e64 s0, 1.0, v[9:10]
	s_delay_alu instid0(VALU_DEP_1) | instskip(NEXT) | instid1(SALU_CYCLE_1)
	s_and_b32 s0, vcc_lo, s0
	s_and_saveexec_b32 s39, s0
	s_delay_alu instid0(SALU_CYCLE_1)
	s_xor_b32 s0, exec_lo, s39
	s_cbranch_execz .LBB8_74
; %bb.73:                               ;   in Loop: Header=BB8_3 Depth=1
	v_cvt_f32_u32_e32 v0, v0
	v_mov_b32_e32 v8, v4
	s_mov_b32 s41, exec_lo
	s_delay_alu instid0(VALU_DEP_2) | instskip(NEXT) | instid1(VALU_DEP_2)
	v_fmaak_f32 v0, 0x2f800000, v0, 0x2f800000
	v_lshlrev_b64 v[7:8], 3, v[7:8]
	s_delay_alu instid0(VALU_DEP_2) | instskip(NEXT) | instid1(VALU_DEP_2)
	v_cvt_f64_f32_e32 v[11:12], v0
	v_add_co_u32 v7, vcc_lo, s10, v7
	s_delay_alu instid0(VALU_DEP_3) | instskip(NEXT) | instid1(VALU_DEP_3)
	v_add_co_ci_u32_e32 v8, vcc_lo, s11, v8, vcc_lo
	v_cmp_ge_f64_e32 vcc_lo, v[9:10], v[11:12]
	v_mov_b32_e32 v9, v4
	v_cndmask_b32_e64 v10, 0, 0x3ff00000, vcc_lo
	global_store_b64 v[7:8], v[9:10], off
.LBB8_74:                               ;   in Loop: Header=BB8_3 Depth=1
	s_or_b32 exec_lo, exec_lo, s0
	s_delay_alu instid0(SALU_CYCLE_1)
	s_and_not1_b32 s39, s38, exec_lo
	s_or_b32 s38, s38, exec_lo
	s_and_not1_b32 s37, s37, exec_lo
	s_and_not1_b32 s19, s19, exec_lo
	s_and_b32 s0, s41, exec_lo
	s_and_not1_b32 s1, s1, exec_lo
	s_or_b32 exec_lo, exec_lo, s40
	s_and_saveexec_b32 s40, s1
	s_cbranch_execz .LBB8_71
.LBB8_75:                               ;   in Loop: Header=BB8_3 Depth=1
	v_cmp_eq_u32_e32 vcc_lo, 1, v14
	s_and_not1_b32 s0, s0, exec_lo
	s_and_not1_b32 s39, s39, exec_lo
	;; [unrolled: 1-line block ×4, first 2 shown]
	s_and_b32 s1, vcc_lo, exec_lo
	s_and_not1_b32 s19, s19, exec_lo
	s_or_b32 s18, s18, exec_lo
	s_or_b32 s0, s0, s1
	s_or_b32 exec_lo, exec_lo, s40
	s_and_saveexec_b32 s1, s0
	s_cbranch_execz .LBB8_79
.LBB8_76:                               ;   in Loop: Header=BB8_3 Depth=1
	v_mov_b32_e32 v7, v4
	s_mov_b32 s40, 0
	s_delay_alu instid0(VALU_DEP_1) | instskip(NEXT) | instid1(VALU_DEP_1)
	v_lshlrev_b64 v[6:7], 3, v[6:7]
	v_add_co_u32 v6, vcc_lo, s8, v6
	s_delay_alu instid0(VALU_DEP_2) | instskip(SKIP_4) | instid1(VALU_DEP_1)
	v_add_co_ci_u32_e32 v7, vcc_lo, s9, v7, vcc_lo
	global_load_b64 v[7:8], v[6:7], off
	s_waitcnt vmcnt(0)
	v_cmp_le_f64_e32 vcc_lo, 0, v[7:8]
	v_cmp_ge_f64_e64 s0, 1.0, v[7:8]
	s_and_b32 s41, vcc_lo, s0
	s_delay_alu instid0(SALU_CYCLE_1)
	s_and_saveexec_b32 s0, s41
	s_cbranch_execz .LBB8_78
; %bb.77:                               ;   in Loop: Header=BB8_3 Depth=1
	v_cvt_f32_u32_e32 v0, v13
	v_mov_b32_e32 v6, v4
	s_mov_b32 s40, exec_lo
	s_delay_alu instid0(VALU_DEP_2) | instskip(NEXT) | instid1(VALU_DEP_2)
	v_fmaak_f32 v0, 0x2f800000, v0, 0x2f800000
	v_lshlrev_b64 v[5:6], 3, v[5:6]
	s_delay_alu instid0(VALU_DEP_2) | instskip(NEXT) | instid1(VALU_DEP_2)
	v_cvt_f64_f32_e32 v[9:10], v0
	v_add_co_u32 v5, vcc_lo, s10, v5
	s_delay_alu instid0(VALU_DEP_3) | instskip(NEXT) | instid1(VALU_DEP_3)
	v_add_co_ci_u32_e32 v6, vcc_lo, s11, v6, vcc_lo
	v_cmp_ge_f64_e32 vcc_lo, v[7:8], v[9:10]
	v_mov_b32_e32 v7, v4
	v_cndmask_b32_e64 v8, 0, 0x3ff00000, vcc_lo
	global_store_b64 v[5:6], v[7:8], off
.LBB8_78:                               ;   in Loop: Header=BB8_3 Depth=1
	s_or_b32 exec_lo, exec_lo, s0
	s_delay_alu instid0(SALU_CYCLE_1)
	s_and_not1_b32 s0, s18, exec_lo
	s_and_b32 s18, s40, exec_lo
	s_or_b32 s39, s39, exec_lo
	s_and_not1_b32 s38, s38, exec_lo
	s_and_not1_b32 s37, s37, exec_lo
	;; [unrolled: 1-line block ×3, first 2 shown]
	s_or_b32 s18, s0, s18
.LBB8_79:                               ;   in Loop: Header=BB8_3 Depth=1
	s_or_b32 exec_lo, exec_lo, s1
	s_delay_alu instid0(SALU_CYCLE_1)
	s_and_not1_b32 s1, s36, exec_lo
	s_and_b32 s36, s39, exec_lo
	s_and_not1_b32 s34, s34, exec_lo
	s_and_b32 s38, s38, exec_lo
	s_or_b32 s36, s1, s36
	s_and_not1_b32 s1, s35, exec_lo
	s_and_b32 s35, s37, exec_lo
	s_and_not1_b32 s33, s33, exec_lo
	s_and_b32 s19, s19, exec_lo
	s_mov_b32 s0, -1
	s_or_b32 s34, s34, s38
	s_or_b32 s35, s1, s35
	;; [unrolled: 1-line block ×3, first 2 shown]
	s_and_saveexec_b32 s1, s18
	s_cbranch_execz .LBB8_2
; %bb.80:                               ;   in Loop: Header=BB8_3 Depth=1
	v_add_nc_u32_e32 v32, s26, v32
	s_and_not1_b32 s36, s36, exec_lo
	s_and_not1_b32 s34, s34, exec_lo
	;; [unrolled: 1-line block ×4, first 2 shown]
	v_cmp_le_u32_e32 vcc_lo, s20, v32
	s_or_not1_b32 s0, vcc_lo, exec_lo
	s_branch .LBB8_2
.LBB8_81:
	s_or_b32 exec_lo, exec_lo, s13
	s_xor_b32 s3, s30, -1
	s_xor_b32 s4, s31, -1
	s_xor_b32 s0, s29, -1
	s_mov_b32 s1, 0
	s_and_saveexec_b32 s2, s0
	s_delay_alu instid0(SALU_CYCLE_1)
	s_xor_b32 s0, exec_lo, s2
	s_cbranch_execz .LBB8_90
; %bb.82:
	s_mov_b32 s2, 0
	s_and_saveexec_b32 s1, s4
	s_delay_alu instid0(SALU_CYCLE_1)
	s_xor_b32 s1, exec_lo, s1
	s_cbranch_execz .LBB8_88
; %bb.83:
	s_and_saveexec_b32 s4, s3
	s_delay_alu instid0(SALU_CYCLE_1)
	s_xor_b32 s3, exec_lo, s4
	s_cbranch_execz .LBB8_86
; %bb.84:
	s_and_saveexec_b32 s4, s12
	s_delay_alu instid0(SALU_CYCLE_1)
	s_xor_b32 s4, exec_lo, s4
	s_cbranch_execnz .LBB8_104
.LBB8_85:
	s_or_b32 exec_lo, exec_lo, s4
	s_delay_alu instid0(SALU_CYCLE_1)
	s_and_b32 s2, s2, exec_lo
.LBB8_86:
	s_and_not1_saveexec_b32 s3, s3
	s_cbranch_execnz .LBB8_100
.LBB8_87:
	s_or_b32 exec_lo, exec_lo, s3
	s_delay_alu instid0(SALU_CYCLE_1)
	s_and_b32 s2, s2, exec_lo
.LBB8_88:
	s_and_not1_saveexec_b32 s1, s1
	s_cbranch_execnz .LBB8_96
.LBB8_89:
	s_or_b32 exec_lo, exec_lo, s1
	s_delay_alu instid0(SALU_CYCLE_1)
	s_and_b32 s1, s2, exec_lo
.LBB8_90:
	s_and_not1_saveexec_b32 s0, s0
	s_cbranch_execnz .LBB8_94
; %bb.91:
	s_or_b32 exec_lo, exec_lo, s0
	s_delay_alu instid0(SALU_CYCLE_1)
	s_and_b32 exec_lo, exec_lo, s1
.LBB8_92:
	; divergent unreachable
.LBB8_93:
	s_nop 0
	s_sendmsg sendmsg(MSG_DEALLOC_VGPRS)
	s_endpgm
.LBB8_94:
	s_cbranch_execnz .LBB8_98
; %bb.95:
	s_or_b32 s1, s1, exec_lo
	s_or_b32 exec_lo, exec_lo, s0
	s_delay_alu instid0(SALU_CYCLE_1)
	s_and_b32 exec_lo, exec_lo, s1
	s_cbranch_execnz .LBB8_92
	s_branch .LBB8_93
.LBB8_96:
	s_cbranch_execnz .LBB8_102
; %bb.97:
	s_or_b32 s2, s2, exec_lo
	s_branch .LBB8_89
.LBB8_98:
	s_trap 2
	s_sendmsg_rtn_b32 s0, sendmsg(MSG_RTN_GET_DOORBELL)
	s_mov_b32 ttmp2, m0
	s_waitcnt lgkmcnt(0)
	s_and_b32 s0, s0, 0x3ff
	s_delay_alu instid0(SALU_CYCLE_1) | instskip(NEXT) | instid1(SALU_CYCLE_1)
	s_bitset1_b32 s0, 10
	s_mov_b32 m0, s0
	s_sendmsg sendmsg(MSG_INTERRUPT)
	s_mov_b32 m0, ttmp2
.LBB8_99:                               ; =>This Inner Loop Header: Depth=1
	s_sethalt 5
	s_branch .LBB8_99
.LBB8_100:
	s_cbranch_execnz .LBB8_106
; %bb.101:
	s_or_b32 s2, s2, exec_lo
	s_branch .LBB8_87
.LBB8_102:
	s_trap 2
	s_sendmsg_rtn_b32 s0, sendmsg(MSG_RTN_GET_DOORBELL)
	s_mov_b32 ttmp2, m0
	s_waitcnt lgkmcnt(0)
	s_and_b32 s0, s0, 0x3ff
	s_delay_alu instid0(SALU_CYCLE_1) | instskip(NEXT) | instid1(SALU_CYCLE_1)
	s_bitset1_b32 s0, 10
	s_mov_b32 m0, s0
	s_sendmsg sendmsg(MSG_INTERRUPT)
	s_mov_b32 m0, ttmp2
.LBB8_103:                              ; =>This Inner Loop Header: Depth=1
	s_sethalt 5
	s_branch .LBB8_103
.LBB8_104:
	s_cbranch_execnz .LBB8_108
; %bb.105:
	s_mov_b32 s2, exec_lo
	s_branch .LBB8_85
.LBB8_106:
	s_trap 2
	s_sendmsg_rtn_b32 s0, sendmsg(MSG_RTN_GET_DOORBELL)
	s_mov_b32 ttmp2, m0
	s_waitcnt lgkmcnt(0)
	s_and_b32 s0, s0, 0x3ff
	s_delay_alu instid0(SALU_CYCLE_1) | instskip(NEXT) | instid1(SALU_CYCLE_1)
	s_bitset1_b32 s0, 10
	s_mov_b32 m0, s0
	s_sendmsg sendmsg(MSG_INTERRUPT)
	s_mov_b32 m0, ttmp2
.LBB8_107:                              ; =>This Inner Loop Header: Depth=1
	s_sethalt 5
	s_branch .LBB8_107
.LBB8_108:
	s_trap 2
	s_sendmsg_rtn_b32 s0, sendmsg(MSG_RTN_GET_DOORBELL)
	s_mov_b32 ttmp2, m0
	s_waitcnt lgkmcnt(0)
	s_and_b32 s0, s0, 0x3ff
	s_delay_alu instid0(SALU_CYCLE_1) | instskip(NEXT) | instid1(SALU_CYCLE_1)
	s_bitset1_b32 s0, 10
	s_mov_b32 m0, s0
	s_sendmsg sendmsg(MSG_INTERRUPT)
	s_mov_b32 m0, ttmp2
.LBB8_109:                              ; =>This Inner Loop Header: Depth=1
	s_sethalt 5
	s_branch .LBB8_109
	.section	.rodata,"a",@progbits
	.p2align	6, 0x0
	.amdhsa_kernel _ZN2at4cuda12_GLOBAL__N_121kernelPointwiseApply2IZNS_6native9templates4cuda28bernoulli_tensor_cuda_kernelIddEEvRKNS_10TensorBaseES9_NS_15PhiloxCudaStateEEUliRdSB_SB_SB_RKdSD_SD_SD_E_dSC_jLin1ELin1ELi4ELi512ELi2EEEvNS0_6detail10TensorInfoIT0_T2_EENSG_IT1_SI_EESI_T_
		.amdhsa_group_segment_fixed_size 0
		.amdhsa_private_segment_fixed_size 0
		.amdhsa_kernarg_size 728
		.amdhsa_user_sgpr_count 15
		.amdhsa_user_sgpr_dispatch_ptr 0
		.amdhsa_user_sgpr_queue_ptr 0
		.amdhsa_user_sgpr_kernarg_segment_ptr 1
		.amdhsa_user_sgpr_dispatch_id 0
		.amdhsa_user_sgpr_private_segment_size 0
		.amdhsa_wavefront_size32 1
		.amdhsa_uses_dynamic_stack 0
		.amdhsa_enable_private_segment 0
		.amdhsa_system_sgpr_workgroup_id_x 1
		.amdhsa_system_sgpr_workgroup_id_y 0
		.amdhsa_system_sgpr_workgroup_id_z 0
		.amdhsa_system_sgpr_workgroup_info 0
		.amdhsa_system_vgpr_workitem_id 0
		.amdhsa_next_free_vgpr 42
		.amdhsa_next_free_sgpr 42
		.amdhsa_reserve_vcc 1
		.amdhsa_float_round_mode_32 0
		.amdhsa_float_round_mode_16_64 0
		.amdhsa_float_denorm_mode_32 3
		.amdhsa_float_denorm_mode_16_64 3
		.amdhsa_dx10_clamp 1
		.amdhsa_ieee_mode 1
		.amdhsa_fp16_overflow 0
		.amdhsa_workgroup_processor_mode 1
		.amdhsa_memory_ordered 1
		.amdhsa_forward_progress 0
		.amdhsa_shared_vgpr_count 0
		.amdhsa_exception_fp_ieee_invalid_op 0
		.amdhsa_exception_fp_denorm_src 0
		.amdhsa_exception_fp_ieee_div_zero 0
		.amdhsa_exception_fp_ieee_overflow 0
		.amdhsa_exception_fp_ieee_underflow 0
		.amdhsa_exception_fp_ieee_inexact 0
		.amdhsa_exception_int_div_zero 0
	.end_amdhsa_kernel
	.section	.text._ZN2at4cuda12_GLOBAL__N_121kernelPointwiseApply2IZNS_6native9templates4cuda28bernoulli_tensor_cuda_kernelIddEEvRKNS_10TensorBaseES9_NS_15PhiloxCudaStateEEUliRdSB_SB_SB_RKdSD_SD_SD_E_dSC_jLin1ELin1ELi4ELi512ELi2EEEvNS0_6detail10TensorInfoIT0_T2_EENSG_IT1_SI_EESI_T_,"axG",@progbits,_ZN2at4cuda12_GLOBAL__N_121kernelPointwiseApply2IZNS_6native9templates4cuda28bernoulli_tensor_cuda_kernelIddEEvRKNS_10TensorBaseES9_NS_15PhiloxCudaStateEEUliRdSB_SB_SB_RKdSD_SD_SD_E_dSC_jLin1ELin1ELi4ELi512ELi2EEEvNS0_6detail10TensorInfoIT0_T2_EENSG_IT1_SI_EESI_T_,comdat
.Lfunc_end8:
	.size	_ZN2at4cuda12_GLOBAL__N_121kernelPointwiseApply2IZNS_6native9templates4cuda28bernoulli_tensor_cuda_kernelIddEEvRKNS_10TensorBaseES9_NS_15PhiloxCudaStateEEUliRdSB_SB_SB_RKdSD_SD_SD_E_dSC_jLin1ELin1ELi4ELi512ELi2EEEvNS0_6detail10TensorInfoIT0_T2_EENSG_IT1_SI_EESI_T_, .Lfunc_end8-_ZN2at4cuda12_GLOBAL__N_121kernelPointwiseApply2IZNS_6native9templates4cuda28bernoulli_tensor_cuda_kernelIddEEvRKNS_10TensorBaseES9_NS_15PhiloxCudaStateEEUliRdSB_SB_SB_RKdSD_SD_SD_E_dSC_jLin1ELin1ELi4ELi512ELi2EEEvNS0_6detail10TensorInfoIT0_T2_EENSG_IT1_SI_EESI_T_
                                        ; -- End function
	.section	.AMDGPU.csdata,"",@progbits
; Kernel info:
; codeLenInByte = 5460
; NumSgprs: 44
; NumVgprs: 42
; ScratchSize: 0
; MemoryBound: 0
; FloatMode: 240
; IeeeMode: 1
; LDSByteSize: 0 bytes/workgroup (compile time only)
; SGPRBlocks: 5
; VGPRBlocks: 5
; NumSGPRsForWavesPerEU: 44
; NumVGPRsForWavesPerEU: 42
; Occupancy: 16
; WaveLimiterHint : 1
; COMPUTE_PGM_RSRC2:SCRATCH_EN: 0
; COMPUTE_PGM_RSRC2:USER_SGPR: 15
; COMPUTE_PGM_RSRC2:TRAP_HANDLER: 0
; COMPUTE_PGM_RSRC2:TGID_X_EN: 1
; COMPUTE_PGM_RSRC2:TGID_Y_EN: 0
; COMPUTE_PGM_RSRC2:TGID_Z_EN: 0
; COMPUTE_PGM_RSRC2:TIDIG_COMP_CNT: 0
	.section	.text._ZN2at4cuda12_GLOBAL__N_121kernelPointwiseApply2IZNS_6native9templates4cuda28bernoulli_tensor_cuda_kernelIddEEvRKNS_10TensorBaseES9_NS_15PhiloxCudaStateEEUliRdSB_SB_SB_RKdSD_SD_SD_E_dSC_mLi1ELi1ELi4ELi512ELi2EEEvNS0_6detail10TensorInfoIT0_T2_EENSG_IT1_SI_EESI_T_,"axG",@progbits,_ZN2at4cuda12_GLOBAL__N_121kernelPointwiseApply2IZNS_6native9templates4cuda28bernoulli_tensor_cuda_kernelIddEEvRKNS_10TensorBaseES9_NS_15PhiloxCudaStateEEUliRdSB_SB_SB_RKdSD_SD_SD_E_dSC_mLi1ELi1ELi4ELi512ELi2EEEvNS0_6detail10TensorInfoIT0_T2_EENSG_IT1_SI_EESI_T_,comdat
	.globl	_ZN2at4cuda12_GLOBAL__N_121kernelPointwiseApply2IZNS_6native9templates4cuda28bernoulli_tensor_cuda_kernelIddEEvRKNS_10TensorBaseES9_NS_15PhiloxCudaStateEEUliRdSB_SB_SB_RKdSD_SD_SD_E_dSC_mLi1ELi1ELi4ELi512ELi2EEEvNS0_6detail10TensorInfoIT0_T2_EENSG_IT1_SI_EESI_T_ ; -- Begin function _ZN2at4cuda12_GLOBAL__N_121kernelPointwiseApply2IZNS_6native9templates4cuda28bernoulli_tensor_cuda_kernelIddEEvRKNS_10TensorBaseES9_NS_15PhiloxCudaStateEEUliRdSB_SB_SB_RKdSD_SD_SD_E_dSC_mLi1ELi1ELi4ELi512ELi2EEEvNS0_6detail10TensorInfoIT0_T2_EENSG_IT1_SI_EESI_T_
	.p2align	8
	.type	_ZN2at4cuda12_GLOBAL__N_121kernelPointwiseApply2IZNS_6native9templates4cuda28bernoulli_tensor_cuda_kernelIddEEvRKNS_10TensorBaseES9_NS_15PhiloxCudaStateEEUliRdSB_SB_SB_RKdSD_SD_SD_E_dSC_mLi1ELi1ELi4ELi512ELi2EEEvNS0_6detail10TensorInfoIT0_T2_EENSG_IT1_SI_EESI_T_,@function
_ZN2at4cuda12_GLOBAL__N_121kernelPointwiseApply2IZNS_6native9templates4cuda28bernoulli_tensor_cuda_kernelIddEEvRKNS_10TensorBaseES9_NS_15PhiloxCudaStateEEUliRdSB_SB_SB_RKdSD_SD_SD_E_dSC_mLi1ELi1ELi4ELi512ELi2EEEvNS0_6detail10TensorInfoIT0_T2_EENSG_IT1_SI_EESI_T_: ; @_ZN2at4cuda12_GLOBAL__N_121kernelPointwiseApply2IZNS_6native9templates4cuda28bernoulli_tensor_cuda_kernelIddEEvRKNS_10TensorBaseES9_NS_15PhiloxCudaStateEEUliRdSB_SB_SB_RKdSD_SD_SD_E_dSC_mLi1ELi1ELi4ELi512ELi2EEEvNS0_6detail10TensorInfoIT0_T2_EENSG_IT1_SI_EESI_T_
; %bb.0:
	s_clause 0x1
	s_load_b32 s12, s[0:1], 0x374
	s_load_b256 s[4:11], s[0:1], 0x340
	s_add_u32 s2, s0, 0x368
	s_addc_u32 s3, s1, 0
	s_waitcnt lgkmcnt(0)
	s_and_b32 s14, s12, 0xffff
	s_mov_b32 s12, exec_lo
	v_mad_u64_u32 v[1:2], null, s15, s14, v[0:1]
	v_mov_b32_e32 v2, 0
	s_delay_alu instid0(VALU_DEP_1) | instskip(NEXT) | instid1(VALU_DEP_1)
	v_dual_mov_b32 v5, v2 :: v_dual_lshlrev_b32 v4, 2, v1
	v_cmpx_gt_u64_e64 s[4:5], v[4:5]
	s_cbranch_execz .LBB9_51
; %bb.1:
	s_load_b64 s[16:17], s[0:1], 0xd0
	s_load_b32 s15, s[2:3], 0x0
	s_clause 0x3
	s_load_b32 s19, s[0:1], 0x360
	s_load_b64 s[2:3], s[0:1], 0x0
	s_load_b64 s[12:13], s[0:1], 0x1a0
	;; [unrolled: 1-line block ×3, first 2 shown]
	v_mad_u64_u32 v[6:7], null, 0xcd9e8d57, v1, 0
	v_add_co_u32 v17, s20, v4, 2
	s_delay_alu instid0(VALU_DEP_1) | instskip(SKIP_1) | instid1(VALU_DEP_4)
	v_add_co_ci_u32_e64 v18, null, 0, 0, s20
	v_add_co_u32 v19, s20, v4, 3
	v_mov_b32_e32 v38, v7
	v_add_co_ci_u32_e64 v20, null, 0, 0, s20
	v_sub_nc_u32_e32 v0, s4, v4
	s_mov_b32 s18, 0
                                        ; implicit-def: $sgpr26
                                        ; implicit-def: $sgpr28
                                        ; implicit-def: $sgpr27
                                        ; implicit-def: $sgpr23
                                        ; implicit-def: $sgpr29
                                        ; implicit-def: $sgpr31
                                        ; implicit-def: $sgpr30
                                        ; implicit-def: $sgpr33
	s_waitcnt lgkmcnt(0)
	v_mad_u64_u32 v[7:8], null, s16, v4, 0
	v_mul_lo_u32 v21, s17, v17
	v_mul_lo_u32 v22, s16, v18
	v_mad_u64_u32 v[9:10], null, s16, v17, 0
	v_mad_u64_u32 v[11:12], null, s0, v4, 0
	v_mov_b32_e32 v3, v8
	v_mul_lo_u32 v23, s17, v19
	v_mul_lo_u32 v24, s16, v20
	v_mad_u64_u32 v[13:14], null, s16, v19, 0
	s_delay_alu instid0(VALU_DEP_4)
	v_mad_u64_u32 v[15:16], null, s17, v4, v[3:4]
	v_mov_b32_e32 v3, v12
	v_add3_u32 v10, v10, v22, v21
	v_mul_lo_u32 v21, s0, v18
	v_mul_lo_u32 v22, s1, v19
	;; [unrolled: 1-line block ×3, first 2 shown]
	s_mul_i32 s15, s15, s14
	v_mov_b32_e32 v8, v15
	v_mad_u64_u32 v[15:16], null, s1, v4, v[3:4]
	v_mul_lo_u32 v3, s1, v17
	s_bitcmp1_b32 s19, 0
	v_add_co_u32 v12, vcc_lo, v7, s16
	s_cselect_b32 s19, -1, 0
	s_lshl_b32 s20, s15, 2
	s_delay_alu instid0(VALU_DEP_3)
	v_mov_b32_e32 v40, v15
	v_mad_u64_u32 v[15:16], null, s0, v17, 0
	v_mad_u64_u32 v[17:18], null, s0, v19, 0
	v_add_co_ci_u32_e32 v39, vcc_lo, s17, v8, vcc_lo
	v_add_co_u32 v41, vcc_lo, v11, s0
	s_mul_i32 s14, s17, s20
	s_mul_hi_u32 s15, s16, s20
	v_add3_u32 v14, v14, v24, v23
	v_add_co_ci_u32_e32 v42, vcc_lo, s1, v40, vcc_lo
	v_add3_u32 v16, v16, v21, v3
	v_add3_u32 v18, v18, v20, v22
	s_add_i32 s21, s15, s14
	s_mul_i32 s14, s1, s20
	s_mul_hi_u32 s15, s0, s20
	s_mul_i32 s22, s16, s20
	s_add_i32 s24, s15, s14
	s_mul_i32 s25, s0, s20
	s_mov_b64 s[14:15], 0
	s_mov_b64 s[16:17], 0
	s_branch .LBB9_3
.LBB9_2:                                ;   in Loop: Header=BB9_3 Depth=1
	s_or_b32 exec_lo, exec_lo, s1
	s_delay_alu instid0(SALU_CYCLE_1) | instskip(NEXT) | instid1(SALU_CYCLE_1)
	s_and_b32 s0, exec_lo, s0
	s_or_b32 s18, s0, s18
	s_and_not1_b32 s0, s23, exec_lo
	s_and_b32 s1, s33, exec_lo
	s_and_not1_b32 s27, s27, exec_lo
	s_and_b32 s34, s30, exec_lo
	s_or_b32 s23, s0, s1
	s_or_b32 s27, s27, s34
	s_and_not1_b32 s0, s28, exec_lo
	s_and_b32 s1, s31, exec_lo
	s_and_not1_b32 s26, s26, exec_lo
	s_and_b32 s34, s29, exec_lo
	s_or_b32 s28, s0, s1
	s_or_b32 s26, s26, s34
	s_and_not1_b32 exec_lo, exec_lo, s18
	s_cbranch_execz .LBB9_39
.LBB9_3:                                ; =>This Inner Loop Header: Depth=1
	v_add_co_u32 v3, vcc_lo, v17, s14
	v_add_co_ci_u32_e32 v19, vcc_lo, s15, v18, vcc_lo
	v_cmp_lt_i32_e64 s0, 3, v0
	v_dual_mov_b32 v26, s9 :: v_dual_mov_b32 v25, s8
	v_dual_mov_b32 v28, s7 :: v_dual_mov_b32 v27, s6
	s_delay_alu instid0(VALU_DEP_3) | instskip(SKIP_1) | instid1(VALU_DEP_1)
	v_cndmask_b32_e64 v20, 0, v19, s0
	v_cndmask_b32_e64 v19, 0, v3, s0
	v_lshlrev_b64 v[19:20], 3, v[19:20]
	s_delay_alu instid0(VALU_DEP_1) | instskip(NEXT) | instid1(VALU_DEP_2)
	v_add_co_u32 v19, vcc_lo, s12, v19
	v_add_co_ci_u32_e32 v20, vcc_lo, s13, v20, vcc_lo
	s_and_not1_b32 vcc_lo, exec_lo, s19
	global_load_b64 v[21:22], v[19:20], off
	s_cbranch_vccnz .LBB9_5
; %bb.4:                                ;   in Loop: Header=BB9_3 Depth=1
	v_dual_mov_b32 v20, s9 :: v_dual_mov_b32 v19, s8
	v_dual_mov_b32 v24, s7 :: v_dual_mov_b32 v23, s6
	flat_load_b64 v[19:20], v[19:20]
	flat_load_b64 v[27:28], v[23:24]
	s_waitcnt vmcnt(1) lgkmcnt(1)
	v_add_co_u32 v25, vcc_lo, v19, s10
	v_add_co_ci_u32_e32 v26, vcc_lo, s11, v20, vcc_lo
.LBB9_5:                                ;   in Loop: Header=BB9_3 Depth=1
	s_delay_alu instid0(VALU_DEP_1)
	v_alignbit_b32 v3, v26, v25, 2
	v_lshrrev_b32_e32 v23, 2, v26
	s_waitcnt vmcnt(0) lgkmcnt(0)
	v_add_nc_u32_e32 v43, 0x9e3779b9, v27
	v_add_nc_u32_e32 v45, 0x3c6ef372, v27
	;; [unrolled: 1-line block ×3, first 2 shown]
	v_add_co_u32 v24, vcc_lo, v3, 1
	s_delay_alu instid0(VALU_DEP_1) | instskip(SKIP_4) | instid1(VALU_DEP_4)
	v_cndmask_b32_e64 v19, 0, 1, vcc_lo
	v_add_co_ci_u32_e32 v26, vcc_lo, 0, v23, vcc_lo
	v_xor3_b32 v31, v38, v27, v23
	v_add_nc_u32_e32 v48, 0xed9eba14, v28
	v_add_nc_u32_e32 v49, 0x1fd5c5a3, v28
	v_cmp_eq_u32_e32 vcc_lo, 0, v26
	s_mov_b32 s1, exec_lo
	v_add_nc_u32_e32 v44, 0xbb67ae85, v28
	v_dual_cndmask_b32 v29, 0, v19 :: v_dual_add_nc_u32 v46, 0x76cf5d0a, v28
	v_mad_u64_u32 v[19:20], null, 0xd2511f53, v24, 0
	v_mad_u64_u32 v[23:24], null, 0xd2511f53, v3, 0
	s_delay_alu instid0(VALU_DEP_3) | instskip(NEXT) | instid1(VALU_DEP_3)
	v_add_nc_u32_e32 v33, v29, v1
	v_xor_b32_e32 v20, v20, v28
	s_delay_alu instid0(VALU_DEP_2) | instskip(SKIP_1) | instid1(VALU_DEP_1)
	v_cmp_eq_u32_e32 vcc_lo, 0, v33
	v_cndmask_b32_e32 v29, 0, v29, vcc_lo
	v_xor_b32_e32 v3, v29, v20
	v_mad_u64_u32 v[29:30], null, 0xd2511f53, v31, 0
	v_mad_u64_u32 v[31:32], null, 0xcd9e8d57, v33, 0
	s_delay_alu instid0(VALU_DEP_3) | instskip(SKIP_1) | instid1(VALU_DEP_4)
	v_mad_u64_u32 v[33:34], null, 0xcd9e8d57, v3, 0
	v_xor_b32_e32 v3, v24, v28
	v_xor3_b32 v20, v44, v30, v23
	s_delay_alu instid0(VALU_DEP_2) | instskip(SKIP_2) | instid1(VALU_DEP_4)
	v_mad_u64_u32 v[23:24], null, 0xcd9e8d57, v3, 0
	v_xor3_b32 v3, v32, v27, v26
	v_xor3_b32 v26, v43, v34, v31
	v_mad_u64_u32 v[30:31], null, 0xcd9e8d57, v20, 0
	s_delay_alu instid0(VALU_DEP_3) | instskip(NEXT) | instid1(VALU_DEP_3)
	v_mad_u64_u32 v[34:35], null, 0xd2511f53, v3, 0
	v_mad_u64_u32 v[36:37], null, 0xd2511f53, v26, 0
	v_xor3_b32 v3, v6, v24, v43
	s_delay_alu instid0(VALU_DEP_4) | instskip(SKIP_1) | instid1(VALU_DEP_3)
	v_xor3_b32 v31, v45, v31, v23
	v_add_nc_u32_e32 v26, 0xdaa66d2b, v27
	v_mad_u64_u32 v[23:24], null, 0xd2511f53, v3, 0
	v_xor3_b32 v3, v44, v35, v19
	v_xor3_b32 v37, v46, v37, v34
	v_mad_u64_u32 v[19:20], null, 0xd2511f53, v31, 0
	s_delay_alu instid0(VALU_DEP_3) | instskip(NEXT) | instid1(VALU_DEP_3)
	v_mad_u64_u32 v[31:32], null, 0xcd9e8d57, v3, 0
	v_mad_u64_u32 v[34:35], null, 0xcd9e8d57, v37, 0
	v_xor3_b32 v3, v46, v24, v29
	s_delay_alu instid0(VALU_DEP_4) | instskip(SKIP_1) | instid1(VALU_DEP_3)
	v_xor3_b32 v20, v47, v20, v23
	v_add_nc_u32_e32 v37, 0x78dde6e4, v27
	v_mad_u64_u32 v[23:24], null, 0xcd9e8d57, v3, 0
	v_xor3_b32 v3, v45, v32, v33
	v_xor3_b32 v29, v26, v35, v31
	v_mad_u64_u32 v[31:32], null, 0xcd9e8d57, v20, 0
	v_add_nc_u32_e32 v33, 0xa9066899, v28
	s_delay_alu instid0(VALU_DEP_4) | instskip(NEXT) | instid1(VALU_DEP_4)
	v_mad_u64_u32 v[43:44], null, 0xd2511f53, v3, 0
	v_mad_u64_u32 v[45:46], null, 0xd2511f53, v29, 0
	v_xor3_b32 v3, v26, v24, v30
	v_xor3_b32 v20, v37, v32, v23
	v_add_nc_u32_e32 v26, 0x1715609d, v27
	s_delay_alu instid0(VALU_DEP_3) | instskip(SKIP_4) | instid1(VALU_DEP_4)
	v_mad_u64_u32 v[23:24], null, 0xd2511f53, v3, 0
	v_xor3_b32 v3, v47, v44, v36
	v_xor3_b32 v32, v48, v46, v43
	v_mad_u64_u32 v[35:36], null, 0xd2511f53, v20, 0
	v_add_nc_u32_e32 v44, 0xb54cda56, v27
	v_mad_u64_u32 v[29:30], null, 0xcd9e8d57, v3, 0
	s_delay_alu instid0(VALU_DEP_4) | instskip(SKIP_3) | instid1(VALU_DEP_3)
	v_mad_u64_u32 v[46:47], null, 0xcd9e8d57, v32, 0
	v_xor3_b32 v3, v48, v24, v19
	v_xor3_b32 v32, v33, v36, v23
	v_add_nc_u32_e32 v43, 0x646e171e, v28
	v_mad_u64_u32 v[19:20], null, 0xcd9e8d57, v3, 0
	v_xor3_b32 v3, v37, v30, v34
	v_xor3_b32 v34, v26, v47, v29
	v_mad_u64_u32 v[23:24], null, 0xcd9e8d57, v32, 0
	s_delay_alu instid0(VALU_DEP_3) | instskip(NEXT) | instid1(VALU_DEP_3)
	v_mad_u64_u32 v[29:30], null, 0xd2511f53, v3, 0
	v_mad_u64_u32 v[47:48], null, 0xd2511f53, v34, 0
	v_xor3_b32 v3, v26, v20, v31
	s_delay_alu instid0(VALU_DEP_4) | instskip(SKIP_1) | instid1(VALU_DEP_3)
	v_xor3_b32 v24, v44, v24, v19
	v_add_nc_u32_e32 v26, 0x5384540f, v27
	v_mad_u64_u32 v[19:20], null, 0xd2511f53, v3, 0
	v_xor3_b32 v3, v33, v30, v45
	v_xor3_b32 v31, v43, v48, v29
	v_mad_u64_u32 v[29:30], null, 0xd2511f53, v24, 0
	s_delay_alu instid0(VALU_DEP_3) | instskip(NEXT) | instid1(VALU_DEP_3)
	v_mad_u64_u32 v[36:37], null, 0xcd9e8d57, v3, 0
	v_mad_u64_u32 v[32:33], null, 0xcd9e8d57, v31, 0
	v_xor3_b32 v3, v43, v20, v35
	s_delay_alu instid0(VALU_DEP_4) | instskip(SKIP_1) | instid1(VALU_DEP_3)
	v_xor3_b32 v24, v49, v30, v19
	v_add_co_u32 v43, null, 0xf1bbcdc8, v27
	v_mad_u64_u32 v[19:20], null, 0xcd9e8d57, v3, 0
	v_xor3_b32 v3, v44, v37, v46
	v_xor3_b32 v33, v26, v33, v36
	v_mad_u64_u32 v[30:31], null, 0xcd9e8d57, v24, 0
	v_add_nc_u32_e32 v44, 0xdb3d7428, v28
	s_delay_alu instid0(VALU_DEP_4) | instskip(NEXT) | instid1(VALU_DEP_4)
	v_mad_u64_u32 v[45:46], null, 0xd2511f53, v3, 0
	v_mad_u64_u32 v[35:36], null, 0xd2511f53, v33, 0
	v_xor3_b32 v3, v26, v20, v23
	v_xor3_b32 v23, v43, v31, v19
	v_add_nc_u32_e32 v31, 0x96a522ad, v28
	v_add_nc_u32_e32 v28, 0x8ff34781, v27
	v_and_b32_e32 v27, 3, v25
	v_mad_u64_u32 v[33:34], null, 0xd2511f53, v3, 0
	v_xor3_b32 v3, v49, v46, v47
	v_xor3_b32 v26, v44, v36, v45
	v_mad_u64_u32 v[19:20], null, 0xd2511f53, v23, 0
	s_delay_alu instid0(VALU_DEP_3) | instskip(NEXT) | instid1(VALU_DEP_3)
	v_mad_u64_u32 v[36:37], null, 0xcd9e8d57, v3, 0
	v_mad_u64_u32 v[23:24], null, 0xcd9e8d57, v26, 0
                                        ; implicit-def: $vgpr3
	s_delay_alu instid0(VALU_DEP_3) | instskip(NEXT) | instid1(VALU_DEP_2)
	v_xor3_b32 v20, v20, v33, v31
	v_xor3_b32 v26, v24, v36, v28
	v_cmpx_lt_i32_e32 1, v27
	s_xor_b32 s1, exec_lo, s1
	s_cbranch_execz .LBB9_11
; %bb.6:                                ;   in Loop: Header=BB9_3 Depth=1
	s_mov_b32 s34, exec_lo
                                        ; implicit-def: $vgpr3
	v_cmpx_lt_i32_e32 2, v27
	s_xor_b32 s34, exec_lo, s34
; %bb.7:                                ;   in Loop: Header=BB9_3 Depth=1
	v_xor3_b32 v3, v43, v37, v32
                                        ; implicit-def: $vgpr20
	s_delay_alu instid0(VALU_DEP_1) | instskip(NEXT) | instid1(VALU_DEP_1)
	v_mul_hi_u32 v3, 0xd2511f53, v3
	v_xor3_b32 v3, v3, v35, v31
; %bb.8:                                ;   in Loop: Header=BB9_3 Depth=1
	s_and_not1_saveexec_b32 s34, s34
; %bb.9:                                ;   in Loop: Header=BB9_3 Depth=1
	v_mov_b32_e32 v3, v23
	v_dual_mov_b32 v23, v26 :: v_dual_mov_b32 v26, v19
	v_mov_b32_e32 v19, v20
; %bb.10:                               ;   in Loop: Header=BB9_3 Depth=1
	s_or_b32 exec_lo, exec_lo, s34
                                        ; implicit-def: $vgpr29_vgpr30
                                        ; implicit-def: $vgpr27
                                        ; implicit-def: $vgpr20
                                        ; implicit-def: $vgpr44
                                        ; implicit-def: $vgpr33_vgpr34
                                        ; implicit-def: $vgpr28
                                        ; implicit-def: $vgpr30_vgpr31
.LBB9_11:                               ;   in Loop: Header=BB9_3 Depth=1
	s_and_not1_saveexec_b32 s1, s1
	s_cbranch_execz .LBB9_15
; %bb.12:                               ;   in Loop: Header=BB9_3 Depth=1
	v_xor3_b32 v3, v44, v34, v29
	v_cmp_eq_u32_e32 vcc_lo, 1, v27
	v_mov_b32_e32 v23, v20
	s_delay_alu instid0(VALU_DEP_3) | instskip(SKIP_1) | instid1(VALU_DEP_2)
	v_mad_u64_u32 v[24:25], null, 0xcd9e8d57, v3, 0
	v_mov_b32_e32 v3, v19
	v_xor3_b32 v27, v25, v30, v28
	s_delay_alu instid0(VALU_DEP_3)
	v_mov_b32_e32 v25, v24
	s_and_saveexec_b32 s34, vcc_lo
; %bb.13:                               ;   in Loop: Header=BB9_3 Depth=1
	v_mov_b32_e32 v3, v26
	v_mov_b32_e32 v23, v19
	;; [unrolled: 1-line block ×4, first 2 shown]
; %bb.14:                               ;   in Loop: Header=BB9_3 Depth=1
	s_or_b32 exec_lo, exec_lo, s34
	s_delay_alu instid0(VALU_DEP_1)
	v_dual_mov_b32 v19, v27 :: v_dual_mov_b32 v26, v25
.LBB9_15:                               ;   in Loop: Header=BB9_3 Depth=1
	s_or_b32 exec_lo, exec_lo, s1
	v_min_i32_e32 v24, 4, v0
	s_mov_b32 s34, 0
	s_mov_b32 s1, 0
	s_mov_b32 s38, exec_lo
                                        ; implicit-def: $sgpr35
                                        ; implicit-def: $sgpr36
                                        ; implicit-def: $sgpr37
	s_delay_alu instid0(VALU_DEP_1)
	v_cmpx_lt_i32_e32 2, v24
	s_xor_b32 s38, exec_lo, s38
	s_cbranch_execz .LBB9_25
; %bb.16:                               ;   in Loop: Header=BB9_3 Depth=1
	s_mov_b32 s1, -1
	s_mov_b32 s36, exec_lo
                                        ; implicit-def: $sgpr35
                                        ; implicit-def: $sgpr39
	v_cmpx_lt_i32_e32 3, v24
	s_cbranch_execz .LBB9_20
; %bb.17:                               ;   in Loop: Header=BB9_3 Depth=1
	v_cmp_le_f64_e32 vcc_lo, 0, v[21:22]
	v_cmp_ge_f64_e64 s1, 1.0, v[21:22]
	s_mov_b32 s35, 0
	s_delay_alu instid0(VALU_DEP_1)
	s_and_b32 s39, vcc_lo, s1
	s_mov_b32 s1, 0
	s_and_saveexec_b32 s37, s39
	s_cbranch_execz .LBB9_19
; %bb.18:                               ;   in Loop: Header=BB9_3 Depth=1
	v_cvt_f32_u32_e32 v3, v3
	s_mov_b32 s1, exec_lo
	s_delay_alu instid0(VALU_DEP_1) | instskip(NEXT) | instid1(VALU_DEP_1)
	v_fmaak_f32 v3, 0x2f800000, v3, 0x2f800000
	v_cvt_f64_f32_e32 v[27:28], v3
	v_add_co_u32 v3, vcc_lo, v13, s16
	v_add_co_ci_u32_e32 v20, vcc_lo, s17, v14, vcc_lo
	s_delay_alu instid0(VALU_DEP_2) | instskip(NEXT) | instid1(VALU_DEP_2)
	v_cndmask_b32_e64 v29, 0, v3, s0
	v_cndmask_b32_e64 v30, 0, v20, s0
	s_delay_alu instid0(VALU_DEP_1) | instskip(NEXT) | instid1(VALU_DEP_1)
	v_lshlrev_b64 v[29:30], 3, v[29:30]
	v_add_co_u32 v29, vcc_lo, s2, v29
	s_delay_alu instid0(VALU_DEP_2)
	v_add_co_ci_u32_e32 v30, vcc_lo, s3, v30, vcc_lo
	v_cmp_ge_f64_e32 vcc_lo, v[21:22], v[27:28]
	v_cndmask_b32_e64 v3, 0, 0x3ff00000, vcc_lo
	global_store_b64 v[29:30], v[2:3], off
.LBB9_19:                               ;   in Loop: Header=BB9_3 Depth=1
	s_or_b32 exec_lo, exec_lo, s37
	s_mov_b32 s39, -1
	s_or_not1_b32 s1, s1, exec_lo
.LBB9_20:                               ;   in Loop: Header=BB9_3 Depth=1
	s_or_b32 exec_lo, exec_lo, s36
	s_mov_b32 s0, 0
	s_mov_b32 s37, s35
	s_and_saveexec_b32 s36, s1
	s_cbranch_execz .LBB9_24
; %bb.21:                               ;   in Loop: Header=BB9_3 Depth=1
	v_add_co_u32 v3, vcc_lo, v15, s14
	v_add_co_ci_u32_e32 v20, vcc_lo, s15, v16, vcc_lo
	v_cmp_lt_i32_e32 vcc_lo, 2, v0
	s_delay_alu instid0(VALU_DEP_2) | instskip(NEXT) | instid1(VALU_DEP_1)
	v_dual_cndmask_b32 v21, 0, v20 :: v_dual_cndmask_b32 v20, 0, v3
	v_lshlrev_b64 v[20:21], 3, v[20:21]
	s_delay_alu instid0(VALU_DEP_1) | instskip(NEXT) | instid1(VALU_DEP_1)
	v_add_co_u32 v20, s0, s12, v20
	v_add_co_ci_u32_e64 v21, s0, s13, v21, s0
	global_load_b64 v[20:21], v[20:21], off
	s_waitcnt vmcnt(0)
	v_cmp_le_f64_e64 s0, 0, v[20:21]
	v_cmp_ge_f64_e64 s1, 1.0, v[20:21]
	s_delay_alu instid0(VALU_DEP_1) | instskip(SKIP_2) | instid1(SALU_CYCLE_1)
	s_and_b32 s0, s0, s1
	s_mov_b32 s1, 0
	s_and_saveexec_b32 s37, s0
	s_xor_b32 s37, exec_lo, s37
	s_cbranch_execz .LBB9_23
; %bb.22:                               ;   in Loop: Header=BB9_3 Depth=1
	v_cvt_f32_u32_e32 v3, v23
	s_mov_b32 s1, exec_lo
	s_delay_alu instid0(VALU_DEP_1) | instskip(NEXT) | instid1(VALU_DEP_1)
	v_fmaak_f32 v3, 0x2f800000, v3, 0x2f800000
	v_cvt_f64_f32_e32 v[22:23], v3
	v_add_co_u32 v3, s0, v9, s16
	s_delay_alu instid0(VALU_DEP_1) | instskip(NEXT) | instid1(VALU_DEP_1)
	v_add_co_ci_u32_e64 v25, s0, s17, v10, s0
	v_dual_cndmask_b32 v27, 0, v3 :: v_dual_cndmask_b32 v28, 0, v25
	s_delay_alu instid0(VALU_DEP_1) | instskip(NEXT) | instid1(VALU_DEP_1)
	v_lshlrev_b64 v[27:28], 3, v[27:28]
	v_add_co_u32 v27, vcc_lo, s2, v27
	s_delay_alu instid0(VALU_DEP_2)
	v_add_co_ci_u32_e32 v28, vcc_lo, s3, v28, vcc_lo
	v_cmp_ge_f64_e32 vcc_lo, v[20:21], v[22:23]
	v_cndmask_b32_e64 v3, 0, 0x3ff00000, vcc_lo
	global_store_b64 v[27:28], v[2:3], off
.LBB9_23:                               ;   in Loop: Header=BB9_3 Depth=1
	s_or_b32 exec_lo, exec_lo, s37
	s_delay_alu instid0(SALU_CYCLE_1)
	s_and_not1_b32 s37, s35, exec_lo
	s_or_b32 s35, s35, exec_lo
	s_and_not1_b32 s39, s39, exec_lo
	s_and_b32 s0, s1, exec_lo
.LBB9_24:                               ;   in Loop: Header=BB9_3 Depth=1
	s_or_b32 exec_lo, exec_lo, s36
	s_delay_alu instid0(SALU_CYCLE_1)
	s_and_b32 s37, s37, exec_lo
	s_and_b32 s36, s35, exec_lo
	;; [unrolled: 1-line block ×4, first 2 shown]
.LBB9_25:                               ;   in Loop: Header=BB9_3 Depth=1
	s_and_not1_saveexec_b32 s0, s38
; %bb.26:                               ;   in Loop: Header=BB9_3 Depth=1
	v_cmp_lt_i32_e32 vcc_lo, 1, v24
	s_and_not1_b32 s1, s1, exec_lo
	s_mov_b32 s34, exec_lo
	s_and_not1_b32 s37, s37, exec_lo
	s_and_not1_b32 s36, s36, exec_lo
	s_and_b32 s38, vcc_lo, exec_lo
	s_and_not1_b32 s35, s35, exec_lo
	s_or_b32 s1, s1, s38
; %bb.27:                               ;   in Loop: Header=BB9_3 Depth=1
	s_or_b32 exec_lo, exec_lo, s0
	s_mov_b32 s38, 0
	s_mov_b32 s0, 0
	;; [unrolled: 1-line block ×3, first 2 shown]
	s_and_saveexec_b32 s40, s1
	s_cbranch_execnz .LBB9_30
; %bb.28:                               ;   in Loop: Header=BB9_3 Depth=1
	s_or_b32 exec_lo, exec_lo, s40
	s_and_saveexec_b32 s1, s34
	s_cbranch_execnz .LBB9_33
.LBB9_29:                               ;   in Loop: Header=BB9_3 Depth=1
	s_or_b32 exec_lo, exec_lo, s1
	s_and_saveexec_b32 s34, s0
	s_cbranch_execnz .LBB9_34
	s_branch .LBB9_37
.LBB9_30:                               ;   in Loop: Header=BB9_3 Depth=1
	v_add_co_u32 v3, vcc_lo, v41, s14
	v_add_co_ci_u32_e32 v20, vcc_lo, s15, v42, vcc_lo
	v_cmp_lt_i32_e32 vcc_lo, 1, v0
	s_delay_alu instid0(VALU_DEP_2) | instskip(NEXT) | instid1(VALU_DEP_1)
	v_dual_cndmask_b32 v21, 0, v20 :: v_dual_cndmask_b32 v20, 0, v3
	v_lshlrev_b64 v[20:21], 3, v[20:21]
	s_delay_alu instid0(VALU_DEP_1) | instskip(NEXT) | instid1(VALU_DEP_1)
	v_add_co_u32 v20, s0, s12, v20
	v_add_co_ci_u32_e64 v21, s0, s13, v21, s0
	global_load_b64 v[20:21], v[20:21], off
	s_waitcnt vmcnt(0)
	v_cmp_le_f64_e64 s0, 0, v[20:21]
	v_cmp_ge_f64_e64 s1, 1.0, v[20:21]
	s_delay_alu instid0(VALU_DEP_1) | instskip(SKIP_2) | instid1(SALU_CYCLE_1)
	s_and_b32 s0, s0, s1
	s_mov_b32 s1, 0
	s_and_saveexec_b32 s39, s0
	s_xor_b32 s39, exec_lo, s39
	s_cbranch_execz .LBB9_32
; %bb.31:                               ;   in Loop: Header=BB9_3 Depth=1
	v_cvt_f32_u32_e32 v3, v26
	s_mov_b32 s1, exec_lo
	s_delay_alu instid0(VALU_DEP_1) | instskip(NEXT) | instid1(VALU_DEP_1)
	v_fmaak_f32 v3, 0x2f800000, v3, 0x2f800000
	v_cvt_f64_f32_e32 v[22:23], v3
	v_add_co_u32 v3, s0, v12, s16
	s_delay_alu instid0(VALU_DEP_1) | instskip(NEXT) | instid1(VALU_DEP_1)
	v_add_co_ci_u32_e64 v25, s0, s17, v39, s0
	v_dual_cndmask_b32 v26, 0, v25 :: v_dual_cndmask_b32 v25, 0, v3
	s_delay_alu instid0(VALU_DEP_1) | instskip(NEXT) | instid1(VALU_DEP_1)
	v_lshlrev_b64 v[25:26], 3, v[25:26]
	v_add_co_u32 v25, vcc_lo, s2, v25
	s_delay_alu instid0(VALU_DEP_2)
	v_add_co_ci_u32_e32 v26, vcc_lo, s3, v26, vcc_lo
	v_cmp_ge_f64_e32 vcc_lo, v[20:21], v[22:23]
	v_cndmask_b32_e64 v3, 0, 0x3ff00000, vcc_lo
	global_store_b64 v[25:26], v[2:3], off
.LBB9_32:                               ;   in Loop: Header=BB9_3 Depth=1
	s_or_b32 exec_lo, exec_lo, s39
	s_delay_alu instid0(SALU_CYCLE_1)
	s_and_not1_b32 s39, s37, exec_lo
	s_or_b32 s37, s37, exec_lo
	s_and_not1_b32 s36, s36, exec_lo
	s_and_not1_b32 s35, s35, exec_lo
	s_and_b32 s0, s1, exec_lo
	s_and_not1_b32 s34, s34, exec_lo
	s_or_b32 exec_lo, exec_lo, s40
	s_and_saveexec_b32 s1, s34
	s_cbranch_execz .LBB9_29
.LBB9_33:                               ;   in Loop: Header=BB9_3 Depth=1
	v_cmp_eq_u32_e32 vcc_lo, 1, v24
	s_and_not1_b32 s0, s0, exec_lo
	s_mov_b32 s38, exec_lo
	s_and_not1_b32 s39, s39, exec_lo
	s_and_not1_b32 s37, s37, exec_lo
	s_and_b32 s34, vcc_lo, exec_lo
	s_and_not1_b32 s36, s36, exec_lo
	s_and_not1_b32 s35, s35, exec_lo
	s_or_b32 s0, s0, s34
	s_or_b32 exec_lo, exec_lo, s1
	s_and_saveexec_b32 s34, s0
	s_cbranch_execz .LBB9_37
.LBB9_34:                               ;   in Loop: Header=BB9_3 Depth=1
	v_add_co_u32 v3, vcc_lo, v11, s14
	v_add_co_ci_u32_e32 v20, vcc_lo, s15, v40, vcc_lo
	v_cmp_lt_i32_e32 vcc_lo, 0, v0
	s_delay_alu instid0(VALU_DEP_2) | instskip(NEXT) | instid1(VALU_DEP_1)
	v_dual_cndmask_b32 v21, 0, v20 :: v_dual_cndmask_b32 v20, 0, v3
	v_lshlrev_b64 v[20:21], 3, v[20:21]
	s_delay_alu instid0(VALU_DEP_1) | instskip(NEXT) | instid1(VALU_DEP_1)
	v_add_co_u32 v20, s0, s12, v20
	v_add_co_ci_u32_e64 v21, s0, s13, v21, s0
	global_load_b64 v[20:21], v[20:21], off
	s_waitcnt vmcnt(0)
	v_cmp_le_f64_e64 s0, 0, v[20:21]
	v_cmp_ge_f64_e64 s1, 1.0, v[20:21]
	s_delay_alu instid0(VALU_DEP_1)
	s_and_b32 s0, s0, s1
	s_mov_b32 s1, 0
	s_and_saveexec_b32 s40, s0
	s_cbranch_execz .LBB9_36
; %bb.35:                               ;   in Loop: Header=BB9_3 Depth=1
	v_cvt_f32_u32_e32 v3, v19
	s_mov_b32 s1, exec_lo
	s_delay_alu instid0(VALU_DEP_1) | instskip(NEXT) | instid1(VALU_DEP_1)
	v_fmaak_f32 v3, 0x2f800000, v3, 0x2f800000
	v_cvt_f64_f32_e32 v[22:23], v3
	v_add_co_u32 v3, s0, v7, s16
	s_delay_alu instid0(VALU_DEP_1) | instskip(NEXT) | instid1(VALU_DEP_2)
	v_add_co_ci_u32_e64 v19, s0, s17, v8, s0
	v_cndmask_b32_e32 v24, 0, v3, vcc_lo
	s_delay_alu instid0(VALU_DEP_2) | instskip(NEXT) | instid1(VALU_DEP_1)
	v_cndmask_b32_e32 v25, 0, v19, vcc_lo
	v_lshlrev_b64 v[24:25], 3, v[24:25]
	s_delay_alu instid0(VALU_DEP_1) | instskip(NEXT) | instid1(VALU_DEP_2)
	v_add_co_u32 v24, vcc_lo, s2, v24
	v_add_co_ci_u32_e32 v25, vcc_lo, s3, v25, vcc_lo
	v_cmp_ge_f64_e32 vcc_lo, v[20:21], v[22:23]
	v_cndmask_b32_e64 v3, 0, 0x3ff00000, vcc_lo
	global_store_b64 v[24:25], v[2:3], off
.LBB9_36:                               ;   in Loop: Header=BB9_3 Depth=1
	s_or_b32 exec_lo, exec_lo, s40
	s_delay_alu instid0(SALU_CYCLE_1)
	s_and_not1_b32 s0, s38, exec_lo
	s_and_b32 s1, s1, exec_lo
	s_or_b32 s39, s39, exec_lo
	s_and_not1_b32 s37, s37, exec_lo
	s_and_not1_b32 s36, s36, exec_lo
	;; [unrolled: 1-line block ×3, first 2 shown]
	s_or_b32 s38, s0, s1
.LBB9_37:                               ;   in Loop: Header=BB9_3 Depth=1
	s_or_b32 exec_lo, exec_lo, s34
	s_delay_alu instid0(SALU_CYCLE_1)
	s_and_not1_b32 s1, s33, exec_lo
	s_and_b32 s33, s39, exec_lo
	s_and_not1_b32 s30, s30, exec_lo
	s_and_b32 s34, s37, exec_lo
	s_or_b32 s33, s1, s33
	s_or_b32 s30, s30, s34
	s_and_not1_b32 s1, s31, exec_lo
	s_and_b32 s31, s36, exec_lo
	s_and_not1_b32 s29, s29, exec_lo
	s_and_b32 s34, s35, exec_lo
	s_mov_b32 s0, -1
	s_or_b32 s31, s1, s31
	s_or_b32 s29, s29, s34
	s_and_saveexec_b32 s1, s38
	s_cbranch_execz .LBB9_2
; %bb.38:                               ;   in Loop: Header=BB9_3 Depth=1
	v_add_co_u32 v4, vcc_lo, v4, s20
	v_add_co_ci_u32_e32 v5, vcc_lo, 0, v5, vcc_lo
	v_subrev_nc_u32_e32 v0, s20, v0
	s_add_u32 s16, s16, s22
	s_addc_u32 s17, s17, s21
	s_delay_alu instid0(VALU_DEP_2)
	v_cmp_le_u64_e32 vcc_lo, s[4:5], v[4:5]
	s_add_u32 s14, s14, s25
	s_addc_u32 s15, s15, s24
	s_and_not1_b32 s33, s33, exec_lo
	s_and_not1_b32 s30, s30, exec_lo
	;; [unrolled: 1-line block ×4, first 2 shown]
	s_or_not1_b32 s0, vcc_lo, exec_lo
	s_branch .LBB9_2
.LBB9_39:
	s_or_b32 exec_lo, exec_lo, s18
	s_xor_b32 s3, s27, -1
	s_xor_b32 s4, s28, -1
	;; [unrolled: 1-line block ×3, first 2 shown]
	s_mov_b32 s1, 0
	s_and_saveexec_b32 s2, s0
	s_delay_alu instid0(SALU_CYCLE_1)
	s_xor_b32 s0, exec_lo, s2
	s_cbranch_execz .LBB9_48
; %bb.40:
	s_mov_b32 s2, 0
	s_and_saveexec_b32 s1, s4
	s_delay_alu instid0(SALU_CYCLE_1)
	s_xor_b32 s1, exec_lo, s1
	s_cbranch_execz .LBB9_46
; %bb.41:
	s_and_saveexec_b32 s4, s3
	s_delay_alu instid0(SALU_CYCLE_1)
	s_xor_b32 s3, exec_lo, s4
	s_cbranch_execz .LBB9_44
; %bb.42:
	s_and_saveexec_b32 s4, s23
	s_delay_alu instid0(SALU_CYCLE_1)
	s_xor_b32 s4, exec_lo, s4
	s_cbranch_execnz .LBB9_62
.LBB9_43:
	s_or_b32 exec_lo, exec_lo, s4
	s_delay_alu instid0(SALU_CYCLE_1)
	s_and_b32 s2, s2, exec_lo
.LBB9_44:
	s_and_not1_saveexec_b32 s3, s3
	s_cbranch_execnz .LBB9_58
.LBB9_45:
	s_or_b32 exec_lo, exec_lo, s3
	s_delay_alu instid0(SALU_CYCLE_1)
	s_and_b32 s2, s2, exec_lo
.LBB9_46:
	s_and_not1_saveexec_b32 s1, s1
	s_cbranch_execnz .LBB9_54
.LBB9_47:
	s_or_b32 exec_lo, exec_lo, s1
	s_delay_alu instid0(SALU_CYCLE_1)
	s_and_b32 s1, s2, exec_lo
.LBB9_48:
	s_and_not1_saveexec_b32 s0, s0
	s_cbranch_execnz .LBB9_52
; %bb.49:
	s_or_b32 exec_lo, exec_lo, s0
	s_delay_alu instid0(SALU_CYCLE_1)
	s_and_b32 exec_lo, exec_lo, s1
.LBB9_50:
	; divergent unreachable
.LBB9_51:
	s_nop 0
	s_sendmsg sendmsg(MSG_DEALLOC_VGPRS)
	s_endpgm
.LBB9_52:
	s_cbranch_execnz .LBB9_56
; %bb.53:
	s_or_b32 s1, s1, exec_lo
	s_or_b32 exec_lo, exec_lo, s0
	s_delay_alu instid0(SALU_CYCLE_1)
	s_and_b32 exec_lo, exec_lo, s1
	s_cbranch_execnz .LBB9_50
	s_branch .LBB9_51
.LBB9_54:
	s_cbranch_execnz .LBB9_60
; %bb.55:
	s_or_b32 s2, s2, exec_lo
	s_branch .LBB9_47
.LBB9_56:
	s_trap 2
	s_sendmsg_rtn_b32 s0, sendmsg(MSG_RTN_GET_DOORBELL)
	s_mov_b32 ttmp2, m0
	s_waitcnt lgkmcnt(0)
	s_and_b32 s0, s0, 0x3ff
	s_delay_alu instid0(SALU_CYCLE_1) | instskip(NEXT) | instid1(SALU_CYCLE_1)
	s_bitset1_b32 s0, 10
	s_mov_b32 m0, s0
	s_sendmsg sendmsg(MSG_INTERRUPT)
	s_mov_b32 m0, ttmp2
.LBB9_57:                               ; =>This Inner Loop Header: Depth=1
	s_sethalt 5
	s_branch .LBB9_57
.LBB9_58:
	s_cbranch_execnz .LBB9_64
; %bb.59:
	s_or_b32 s2, s2, exec_lo
	s_branch .LBB9_45
.LBB9_60:
	s_trap 2
	s_sendmsg_rtn_b32 s0, sendmsg(MSG_RTN_GET_DOORBELL)
	s_mov_b32 ttmp2, m0
	s_waitcnt lgkmcnt(0)
	s_and_b32 s0, s0, 0x3ff
	s_delay_alu instid0(SALU_CYCLE_1) | instskip(NEXT) | instid1(SALU_CYCLE_1)
	s_bitset1_b32 s0, 10
	s_mov_b32 m0, s0
	s_sendmsg sendmsg(MSG_INTERRUPT)
	s_mov_b32 m0, ttmp2
.LBB9_61:                               ; =>This Inner Loop Header: Depth=1
	s_sethalt 5
	s_branch .LBB9_61
.LBB9_62:
	s_cbranch_execnz .LBB9_66
; %bb.63:
	s_mov_b32 s2, exec_lo
	s_branch .LBB9_43
.LBB9_64:
	s_trap 2
	s_sendmsg_rtn_b32 s0, sendmsg(MSG_RTN_GET_DOORBELL)
	s_mov_b32 ttmp2, m0
	s_waitcnt lgkmcnt(0)
	s_and_b32 s0, s0, 0x3ff
	s_delay_alu instid0(SALU_CYCLE_1) | instskip(NEXT) | instid1(SALU_CYCLE_1)
	s_bitset1_b32 s0, 10
	s_mov_b32 m0, s0
	s_sendmsg sendmsg(MSG_INTERRUPT)
	s_mov_b32 m0, ttmp2
.LBB9_65:                               ; =>This Inner Loop Header: Depth=1
	s_sethalt 5
	s_branch .LBB9_65
.LBB9_66:
	s_trap 2
	s_sendmsg_rtn_b32 s0, sendmsg(MSG_RTN_GET_DOORBELL)
	s_mov_b32 ttmp2, m0
	s_waitcnt lgkmcnt(0)
	s_and_b32 s0, s0, 0x3ff
	s_delay_alu instid0(SALU_CYCLE_1) | instskip(NEXT) | instid1(SALU_CYCLE_1)
	s_bitset1_b32 s0, 10
	s_mov_b32 m0, s0
	s_sendmsg sendmsg(MSG_INTERRUPT)
	s_mov_b32 m0, ttmp2
.LBB9_67:                               ; =>This Inner Loop Header: Depth=1
	s_sethalt 5
	s_branch .LBB9_67
	.section	.rodata,"a",@progbits
	.p2align	6, 0x0
	.amdhsa_kernel _ZN2at4cuda12_GLOBAL__N_121kernelPointwiseApply2IZNS_6native9templates4cuda28bernoulli_tensor_cuda_kernelIddEEvRKNS_10TensorBaseES9_NS_15PhiloxCudaStateEEUliRdSB_SB_SB_RKdSD_SD_SD_E_dSC_mLi1ELi1ELi4ELi512ELi2EEEvNS0_6detail10TensorInfoIT0_T2_EENSG_IT1_SI_EESI_T_
		.amdhsa_group_segment_fixed_size 0
		.amdhsa_private_segment_fixed_size 0
		.amdhsa_kernarg_size 1128
		.amdhsa_user_sgpr_count 15
		.amdhsa_user_sgpr_dispatch_ptr 0
		.amdhsa_user_sgpr_queue_ptr 0
		.amdhsa_user_sgpr_kernarg_segment_ptr 1
		.amdhsa_user_sgpr_dispatch_id 0
		.amdhsa_user_sgpr_private_segment_size 0
		.amdhsa_wavefront_size32 1
		.amdhsa_uses_dynamic_stack 0
		.amdhsa_enable_private_segment 0
		.amdhsa_system_sgpr_workgroup_id_x 1
		.amdhsa_system_sgpr_workgroup_id_y 0
		.amdhsa_system_sgpr_workgroup_id_z 0
		.amdhsa_system_sgpr_workgroup_info 0
		.amdhsa_system_vgpr_workitem_id 0
		.amdhsa_next_free_vgpr 50
		.amdhsa_next_free_sgpr 41
		.amdhsa_reserve_vcc 1
		.amdhsa_float_round_mode_32 0
		.amdhsa_float_round_mode_16_64 0
		.amdhsa_float_denorm_mode_32 3
		.amdhsa_float_denorm_mode_16_64 3
		.amdhsa_dx10_clamp 1
		.amdhsa_ieee_mode 1
		.amdhsa_fp16_overflow 0
		.amdhsa_workgroup_processor_mode 1
		.amdhsa_memory_ordered 1
		.amdhsa_forward_progress 0
		.amdhsa_shared_vgpr_count 0
		.amdhsa_exception_fp_ieee_invalid_op 0
		.amdhsa_exception_fp_denorm_src 0
		.amdhsa_exception_fp_ieee_div_zero 0
		.amdhsa_exception_fp_ieee_overflow 0
		.amdhsa_exception_fp_ieee_underflow 0
		.amdhsa_exception_fp_ieee_inexact 0
		.amdhsa_exception_int_div_zero 0
	.end_amdhsa_kernel
	.section	.text._ZN2at4cuda12_GLOBAL__N_121kernelPointwiseApply2IZNS_6native9templates4cuda28bernoulli_tensor_cuda_kernelIddEEvRKNS_10TensorBaseES9_NS_15PhiloxCudaStateEEUliRdSB_SB_SB_RKdSD_SD_SD_E_dSC_mLi1ELi1ELi4ELi512ELi2EEEvNS0_6detail10TensorInfoIT0_T2_EENSG_IT1_SI_EESI_T_,"axG",@progbits,_ZN2at4cuda12_GLOBAL__N_121kernelPointwiseApply2IZNS_6native9templates4cuda28bernoulli_tensor_cuda_kernelIddEEvRKNS_10TensorBaseES9_NS_15PhiloxCudaStateEEUliRdSB_SB_SB_RKdSD_SD_SD_E_dSC_mLi1ELi1ELi4ELi512ELi2EEEvNS0_6detail10TensorInfoIT0_T2_EENSG_IT1_SI_EESI_T_,comdat
.Lfunc_end9:
	.size	_ZN2at4cuda12_GLOBAL__N_121kernelPointwiseApply2IZNS_6native9templates4cuda28bernoulli_tensor_cuda_kernelIddEEvRKNS_10TensorBaseES9_NS_15PhiloxCudaStateEEUliRdSB_SB_SB_RKdSD_SD_SD_E_dSC_mLi1ELi1ELi4ELi512ELi2EEEvNS0_6detail10TensorInfoIT0_T2_EENSG_IT1_SI_EESI_T_, .Lfunc_end9-_ZN2at4cuda12_GLOBAL__N_121kernelPointwiseApply2IZNS_6native9templates4cuda28bernoulli_tensor_cuda_kernelIddEEvRKNS_10TensorBaseES9_NS_15PhiloxCudaStateEEUliRdSB_SB_SB_RKdSD_SD_SD_E_dSC_mLi1ELi1ELi4ELi512ELi2EEEvNS0_6detail10TensorInfoIT0_T2_EENSG_IT1_SI_EESI_T_
                                        ; -- End function
	.section	.AMDGPU.csdata,"",@progbits
; Kernel info:
; codeLenInByte = 3580
; NumSgprs: 43
; NumVgprs: 50
; ScratchSize: 0
; MemoryBound: 0
; FloatMode: 240
; IeeeMode: 1
; LDSByteSize: 0 bytes/workgroup (compile time only)
; SGPRBlocks: 5
; VGPRBlocks: 6
; NumSGPRsForWavesPerEU: 43
; NumVGPRsForWavesPerEU: 50
; Occupancy: 16
; WaveLimiterHint : 1
; COMPUTE_PGM_RSRC2:SCRATCH_EN: 0
; COMPUTE_PGM_RSRC2:USER_SGPR: 15
; COMPUTE_PGM_RSRC2:TRAP_HANDLER: 0
; COMPUTE_PGM_RSRC2:TGID_X_EN: 1
; COMPUTE_PGM_RSRC2:TGID_Y_EN: 0
; COMPUTE_PGM_RSRC2:TGID_Z_EN: 0
; COMPUTE_PGM_RSRC2:TIDIG_COMP_CNT: 0
	.section	.text._ZN2at4cuda12_GLOBAL__N_121kernelPointwiseApply2IZNS_6native9templates4cuda28bernoulli_tensor_cuda_kernelIddEEvRKNS_10TensorBaseES9_NS_15PhiloxCudaStateEEUliRdSB_SB_SB_RKdSD_SD_SD_E_dSC_mLin1ELin1ELi4ELi512ELi2EEEvNS0_6detail10TensorInfoIT0_T2_EENSG_IT1_SI_EESI_T_,"axG",@progbits,_ZN2at4cuda12_GLOBAL__N_121kernelPointwiseApply2IZNS_6native9templates4cuda28bernoulli_tensor_cuda_kernelIddEEvRKNS_10TensorBaseES9_NS_15PhiloxCudaStateEEUliRdSB_SB_SB_RKdSD_SD_SD_E_dSC_mLin1ELin1ELi4ELi512ELi2EEEvNS0_6detail10TensorInfoIT0_T2_EENSG_IT1_SI_EESI_T_,comdat
	.globl	_ZN2at4cuda12_GLOBAL__N_121kernelPointwiseApply2IZNS_6native9templates4cuda28bernoulli_tensor_cuda_kernelIddEEvRKNS_10TensorBaseES9_NS_15PhiloxCudaStateEEUliRdSB_SB_SB_RKdSD_SD_SD_E_dSC_mLin1ELin1ELi4ELi512ELi2EEEvNS0_6detail10TensorInfoIT0_T2_EENSG_IT1_SI_EESI_T_ ; -- Begin function _ZN2at4cuda12_GLOBAL__N_121kernelPointwiseApply2IZNS_6native9templates4cuda28bernoulli_tensor_cuda_kernelIddEEvRKNS_10TensorBaseES9_NS_15PhiloxCudaStateEEUliRdSB_SB_SB_RKdSD_SD_SD_E_dSC_mLin1ELin1ELi4ELi512ELi2EEEvNS0_6detail10TensorInfoIT0_T2_EENSG_IT1_SI_EESI_T_
	.p2align	8
	.type	_ZN2at4cuda12_GLOBAL__N_121kernelPointwiseApply2IZNS_6native9templates4cuda28bernoulli_tensor_cuda_kernelIddEEvRKNS_10TensorBaseES9_NS_15PhiloxCudaStateEEUliRdSB_SB_SB_RKdSD_SD_SD_E_dSC_mLin1ELin1ELi4ELi512ELi2EEEvNS0_6detail10TensorInfoIT0_T2_EENSG_IT1_SI_EESI_T_,@function
_ZN2at4cuda12_GLOBAL__N_121kernelPointwiseApply2IZNS_6native9templates4cuda28bernoulli_tensor_cuda_kernelIddEEvRKNS_10TensorBaseES9_NS_15PhiloxCudaStateEEUliRdSB_SB_SB_RKdSD_SD_SD_E_dSC_mLin1ELin1ELi4ELi512ELi2EEEvNS0_6detail10TensorInfoIT0_T2_EENSG_IT1_SI_EESI_T_: ; @_ZN2at4cuda12_GLOBAL__N_121kernelPointwiseApply2IZNS_6native9templates4cuda28bernoulli_tensor_cuda_kernelIddEEvRKNS_10TensorBaseES9_NS_15PhiloxCudaStateEEUliRdSB_SB_SB_RKdSD_SD_SD_E_dSC_mLin1ELin1ELi4ELi512ELi2EEEvNS0_6detail10TensorInfoIT0_T2_EENSG_IT1_SI_EESI_T_
; %bb.0:
	s_clause 0x1
	s_load_b32 s12, s[0:1], 0x374
	s_load_b256 s[4:11], s[0:1], 0x340
	s_add_u32 s2, s0, 0x368
	s_addc_u32 s3, s1, 0
	s_waitcnt lgkmcnt(0)
	s_and_b32 s18, s12, 0xffff
	s_mov_b32 s12, exec_lo
	v_mad_u64_u32 v[1:2], null, s15, s18, v[0:1]
	v_mov_b32_e32 v2, 0
	s_delay_alu instid0(VALU_DEP_1) | instskip(NEXT) | instid1(VALU_DEP_1)
	v_dual_mov_b32 v5, v2 :: v_dual_lshlrev_b32 v4, 2, v1
	v_cmpx_gt_u64_e64 s[4:5], v[4:5]
	s_cbranch_execz .LBB10_122
; %bb.1:
	s_clause 0x2
	s_load_b32 s22, s[0:1], 0x198
	s_load_b32 s23, s[0:1], 0x338
	;; [unrolled: 1-line block ×4, first 2 shown]
	s_add_u32 s24, s0, 0x1a0
	s_addc_u32 s25, s1, 0
	s_clause 0x3
	s_load_b64 s[2:3], s[0:1], 0x270
	s_load_b64 s[12:13], s[0:1], 0x1a0
	;; [unrolled: 1-line block ×4, first 2 shown]
	s_mov_b32 s19, 0
	v_mad_u64_u32 v[6:7], null, 0xcd9e8d57, v1, 0
                                        ; implicit-def: $sgpr35
                                        ; implicit-def: $sgpr37
                                        ; implicit-def: $sgpr36
                                        ; implicit-def: $sgpr38
                                        ; implicit-def: $sgpr40
                                        ; implicit-def: $sgpr39
                                        ; implicit-def: $sgpr41
	s_delay_alu instid0(VALU_DEP_1)
	v_mov_b32_e32 v0, v7
	s_waitcnt lgkmcnt(0)
	s_cmp_gt_i32 s22, 1
	s_cselect_b32 s28, -1, 0
	s_cmp_gt_i32 s23, 1
	s_mul_i32 s21, s21, s18
	s_cselect_b32 s29, -1, 0
	s_bitcmp1_b32 s20, 0
	s_cselect_b32 s30, -1, 0
	s_add_i32 s18, s22, -1
	s_lshl_b32 s31, s21, 2
	s_lshl_b64 s[20:21], s[18:19], 3
	s_add_i32 s33, s22, 1
	s_add_u32 s0, s20, s0
	s_addc_u32 s1, s21, s1
	s_add_u32 s20, s0, 8
	s_addc_u32 s21, s1, 0
	s_add_i32 s18, s23, -1
	s_add_i32 s34, s23, 1
	s_lshl_b64 s[0:1], s[18:19], 3
                                        ; implicit-def: $sgpr18
	s_delay_alu instid0(SALU_CYCLE_1)
	s_add_u32 s0, s0, s24
	s_addc_u32 s1, s1, s25
	s_add_u32 s22, s0, 8
	s_addc_u32 s23, s1, 0
	s_branch .LBB10_3
.LBB10_2:                               ;   in Loop: Header=BB10_3 Depth=1
	s_or_b32 exec_lo, exec_lo, s1
	s_delay_alu instid0(SALU_CYCLE_1) | instskip(NEXT) | instid1(SALU_CYCLE_1)
	s_and_b32 s0, exec_lo, s0
	s_or_b32 s19, s0, s19
	s_and_not1_b32 s0, s18, exec_lo
	s_and_b32 s1, s41, exec_lo
	s_and_not1_b32 s24, s36, exec_lo
	s_and_b32 s25, s39, exec_lo
	s_or_b32 s18, s0, s1
	s_or_b32 s36, s24, s25
	s_and_not1_b32 s0, s37, exec_lo
	s_and_b32 s1, s40, exec_lo
	s_and_not1_b32 s24, s35, exec_lo
	s_and_b32 s25, s38, exec_lo
	s_or_b32 s37, s0, s1
	s_or_b32 s35, s24, s25
	s_and_not1_b32 exec_lo, exec_lo, s19
	s_cbranch_execz .LBB10_110
.LBB10_3:                               ; =>This Loop Header: Depth=1
                                        ;     Child Loop BB10_5 Depth 2
                                        ;     Child Loop BB10_14 Depth 2
	;; [unrolled: 1-line block ×8, first 2 shown]
	v_sub_nc_u32_e32 v40, s4, v4
	v_mov_b32_e32 v7, 0
	v_mov_b32_e32 v8, 0
	s_delay_alu instid0(VALU_DEP_3) | instskip(NEXT) | instid1(VALU_DEP_1)
	v_cmp_lt_i32_e64 s0, 0, v40
	s_and_saveexec_b32 s42, s0
	s_cbranch_execz .LBB10_12
; %bb.4:                                ;   in Loop: Header=BB10_3 Depth=1
	v_dual_mov_b32 v9, 0 :: v_dual_mov_b32 v8, v5
	v_dual_mov_b32 v10, 0 :: v_dual_mov_b32 v7, v4
	;; [unrolled: 1-line block ×3, first 2 shown]
	s_and_not1_b32 vcc_lo, exec_lo, s28
	s_mov_b64 s[24:25], s[20:21]
	s_mov_b32 s43, s33
	s_cbranch_vccnz .LBB10_11
.LBB10_5:                               ;   Parent Loop BB10_3 Depth=1
                                        ; =>  This Inner Loop Header: Depth=2
	s_load_b64 s[26:27], s[24:25], 0x0
                                        ; implicit-def: $vgpr11_vgpr12
	s_mov_b32 s1, exec_lo
	s_waitcnt lgkmcnt(0)
	v_or_b32_e32 v3, s27, v8
	s_delay_alu instid0(VALU_DEP_1)
	v_cmpx_ne_u64_e32 0, v[2:3]
	s_xor_b32 s44, exec_lo, s1
	s_cbranch_execz .LBB10_7
; %bb.6:                                ;   in Loop: Header=BB10_5 Depth=2
	v_cvt_f32_u32_e32 v3, s26
	v_cvt_f32_u32_e32 v11, s27
	s_sub_u32 s1, 0, s26
	s_subb_u32 s45, 0, s27
	s_delay_alu instid0(VALU_DEP_1) | instskip(NEXT) | instid1(VALU_DEP_1)
	v_fmac_f32_e32 v3, 0x4f800000, v11
	v_rcp_f32_e32 v3, v3
	s_waitcnt_depctr 0xfff
	v_mul_f32_e32 v3, 0x5f7ffffc, v3
	s_delay_alu instid0(VALU_DEP_1) | instskip(NEXT) | instid1(VALU_DEP_1)
	v_mul_f32_e32 v11, 0x2f800000, v3
	v_trunc_f32_e32 v11, v11
	s_delay_alu instid0(VALU_DEP_1) | instskip(SKIP_1) | instid1(VALU_DEP_2)
	v_fmac_f32_e32 v3, 0xcf800000, v11
	v_cvt_u32_f32_e32 v11, v11
	v_cvt_u32_f32_e32 v3, v3
	s_delay_alu instid0(VALU_DEP_2) | instskip(NEXT) | instid1(VALU_DEP_2)
	v_mul_lo_u32 v12, s1, v11
	v_mul_hi_u32 v13, s1, v3
	v_mul_lo_u32 v14, s45, v3
	s_delay_alu instid0(VALU_DEP_2) | instskip(SKIP_1) | instid1(VALU_DEP_2)
	v_add_nc_u32_e32 v12, v13, v12
	v_mul_lo_u32 v13, s1, v3
	v_add_nc_u32_e32 v12, v12, v14
	s_delay_alu instid0(VALU_DEP_2) | instskip(NEXT) | instid1(VALU_DEP_2)
	v_mul_hi_u32 v14, v3, v13
	v_mul_lo_u32 v15, v3, v12
	v_mul_hi_u32 v16, v3, v12
	v_mul_hi_u32 v17, v11, v13
	v_mul_lo_u32 v13, v11, v13
	v_mul_hi_u32 v18, v11, v12
	v_mul_lo_u32 v12, v11, v12
	v_add_co_u32 v14, vcc_lo, v14, v15
	v_add_co_ci_u32_e32 v15, vcc_lo, 0, v16, vcc_lo
	s_delay_alu instid0(VALU_DEP_2) | instskip(NEXT) | instid1(VALU_DEP_2)
	v_add_co_u32 v13, vcc_lo, v14, v13
	v_add_co_ci_u32_e32 v13, vcc_lo, v15, v17, vcc_lo
	v_add_co_ci_u32_e32 v14, vcc_lo, 0, v18, vcc_lo
	s_delay_alu instid0(VALU_DEP_2) | instskip(NEXT) | instid1(VALU_DEP_2)
	v_add_co_u32 v12, vcc_lo, v13, v12
	v_add_co_ci_u32_e32 v13, vcc_lo, 0, v14, vcc_lo
	s_delay_alu instid0(VALU_DEP_2) | instskip(NEXT) | instid1(VALU_DEP_2)
	v_add_co_u32 v3, vcc_lo, v3, v12
	v_add_co_ci_u32_e32 v11, vcc_lo, v11, v13, vcc_lo
	s_delay_alu instid0(VALU_DEP_2) | instskip(SKIP_1) | instid1(VALU_DEP_3)
	v_mul_hi_u32 v12, s1, v3
	v_mul_lo_u32 v14, s45, v3
	v_mul_lo_u32 v13, s1, v11
	s_delay_alu instid0(VALU_DEP_1) | instskip(SKIP_1) | instid1(VALU_DEP_2)
	v_add_nc_u32_e32 v12, v12, v13
	v_mul_lo_u32 v13, s1, v3
	v_add_nc_u32_e32 v12, v12, v14
	s_delay_alu instid0(VALU_DEP_2) | instskip(NEXT) | instid1(VALU_DEP_2)
	v_mul_hi_u32 v14, v3, v13
	v_mul_lo_u32 v15, v3, v12
	v_mul_hi_u32 v16, v3, v12
	v_mul_hi_u32 v17, v11, v13
	v_mul_lo_u32 v13, v11, v13
	v_mul_hi_u32 v18, v11, v12
	v_mul_lo_u32 v12, v11, v12
	v_add_co_u32 v14, vcc_lo, v14, v15
	v_add_co_ci_u32_e32 v15, vcc_lo, 0, v16, vcc_lo
	s_delay_alu instid0(VALU_DEP_2) | instskip(NEXT) | instid1(VALU_DEP_2)
	v_add_co_u32 v13, vcc_lo, v14, v13
	v_add_co_ci_u32_e32 v13, vcc_lo, v15, v17, vcc_lo
	v_add_co_ci_u32_e32 v14, vcc_lo, 0, v18, vcc_lo
	s_delay_alu instid0(VALU_DEP_2) | instskip(NEXT) | instid1(VALU_DEP_2)
	v_add_co_u32 v12, vcc_lo, v13, v12
	v_add_co_ci_u32_e32 v13, vcc_lo, 0, v14, vcc_lo
	s_delay_alu instid0(VALU_DEP_2) | instskip(NEXT) | instid1(VALU_DEP_2)
	v_add_co_u32 v3, vcc_lo, v3, v12
	v_add_co_ci_u32_e32 v17, vcc_lo, v11, v13, vcc_lo
	s_delay_alu instid0(VALU_DEP_2) | instskip(SKIP_1) | instid1(VALU_DEP_3)
	v_mul_hi_u32 v18, v7, v3
	v_mad_u64_u32 v[13:14], null, v8, v3, 0
	v_mad_u64_u32 v[11:12], null, v7, v17, 0
	;; [unrolled: 1-line block ×3, first 2 shown]
	s_delay_alu instid0(VALU_DEP_2) | instskip(NEXT) | instid1(VALU_DEP_3)
	v_add_co_u32 v3, vcc_lo, v18, v11
	v_add_co_ci_u32_e32 v11, vcc_lo, 0, v12, vcc_lo
	s_delay_alu instid0(VALU_DEP_2) | instskip(NEXT) | instid1(VALU_DEP_2)
	v_add_co_u32 v3, vcc_lo, v3, v13
	v_add_co_ci_u32_e32 v3, vcc_lo, v11, v14, vcc_lo
	v_add_co_ci_u32_e32 v11, vcc_lo, 0, v16, vcc_lo
	s_delay_alu instid0(VALU_DEP_2) | instskip(NEXT) | instid1(VALU_DEP_2)
	v_add_co_u32 v3, vcc_lo, v3, v15
	v_add_co_ci_u32_e32 v13, vcc_lo, 0, v11, vcc_lo
	s_delay_alu instid0(VALU_DEP_2) | instskip(SKIP_1) | instid1(VALU_DEP_3)
	v_mul_lo_u32 v14, s27, v3
	v_mad_u64_u32 v[11:12], null, s26, v3, 0
	v_mul_lo_u32 v15, s26, v13
	s_delay_alu instid0(VALU_DEP_2) | instskip(NEXT) | instid1(VALU_DEP_2)
	v_sub_co_u32 v11, vcc_lo, v7, v11
	v_add3_u32 v12, v12, v15, v14
	s_delay_alu instid0(VALU_DEP_1) | instskip(NEXT) | instid1(VALU_DEP_1)
	v_sub_nc_u32_e32 v14, v8, v12
	v_subrev_co_ci_u32_e64 v14, s1, s27, v14, vcc_lo
	v_add_co_u32 v15, s1, v3, 2
	s_delay_alu instid0(VALU_DEP_1) | instskip(SKIP_3) | instid1(VALU_DEP_3)
	v_add_co_ci_u32_e64 v16, s1, 0, v13, s1
	v_sub_co_u32 v17, s1, v11, s26
	v_sub_co_ci_u32_e32 v12, vcc_lo, v8, v12, vcc_lo
	v_subrev_co_ci_u32_e64 v14, s1, 0, v14, s1
	v_cmp_le_u32_e32 vcc_lo, s26, v17
	s_delay_alu instid0(VALU_DEP_3) | instskip(SKIP_1) | instid1(VALU_DEP_4)
	v_cmp_eq_u32_e64 s1, s27, v12
	v_cndmask_b32_e64 v17, 0, -1, vcc_lo
	v_cmp_le_u32_e32 vcc_lo, s27, v14
	v_cndmask_b32_e64 v18, 0, -1, vcc_lo
	v_cmp_le_u32_e32 vcc_lo, s26, v11
	;; [unrolled: 2-line block ×3, first 2 shown]
	v_cndmask_b32_e64 v19, 0, -1, vcc_lo
	v_cmp_eq_u32_e32 vcc_lo, s27, v14
	s_delay_alu instid0(VALU_DEP_2) | instskip(SKIP_3) | instid1(VALU_DEP_3)
	v_cndmask_b32_e64 v11, v19, v11, s1
	v_cndmask_b32_e32 v14, v18, v17, vcc_lo
	v_add_co_u32 v17, vcc_lo, v3, 1
	v_add_co_ci_u32_e32 v18, vcc_lo, 0, v13, vcc_lo
	v_cmp_ne_u32_e32 vcc_lo, 0, v14
	s_delay_alu instid0(VALU_DEP_3) | instskip(NEXT) | instid1(VALU_DEP_3)
	v_cndmask_b32_e32 v14, v17, v15, vcc_lo
	v_cndmask_b32_e32 v12, v18, v16, vcc_lo
	v_cmp_ne_u32_e32 vcc_lo, 0, v11
	s_delay_alu instid0(VALU_DEP_2)
	v_dual_cndmask_b32 v11, v3, v14 :: v_dual_cndmask_b32 v12, v13, v12
.LBB10_7:                               ;   in Loop: Header=BB10_5 Depth=2
	s_and_not1_saveexec_b32 s1, s44
	s_cbranch_execz .LBB10_9
; %bb.8:                                ;   in Loop: Header=BB10_5 Depth=2
	v_cvt_f32_u32_e32 v3, s26
	s_sub_i32 s44, 0, s26
	s_delay_alu instid0(VALU_DEP_1) | instskip(SKIP_2) | instid1(VALU_DEP_1)
	v_rcp_iflag_f32_e32 v3, v3
	s_waitcnt_depctr 0xfff
	v_mul_f32_e32 v3, 0x4f7ffffe, v3
	v_cvt_u32_f32_e32 v3, v3
	s_delay_alu instid0(VALU_DEP_1) | instskip(NEXT) | instid1(VALU_DEP_1)
	v_mul_lo_u32 v11, s44, v3
	v_mul_hi_u32 v11, v3, v11
	s_delay_alu instid0(VALU_DEP_1) | instskip(NEXT) | instid1(VALU_DEP_1)
	v_add_nc_u32_e32 v3, v3, v11
	v_mul_hi_u32 v3, v7, v3
	s_delay_alu instid0(VALU_DEP_1) | instskip(NEXT) | instid1(VALU_DEP_1)
	v_mul_lo_u32 v11, v3, s26
	v_sub_nc_u32_e32 v11, v7, v11
	s_delay_alu instid0(VALU_DEP_1) | instskip(SKIP_1) | instid1(VALU_DEP_2)
	v_subrev_nc_u32_e32 v13, s26, v11
	v_cmp_le_u32_e32 vcc_lo, s26, v11
	v_dual_cndmask_b32 v11, v11, v13 :: v_dual_add_nc_u32 v12, 1, v3
	s_delay_alu instid0(VALU_DEP_1) | instskip(NEXT) | instid1(VALU_DEP_2)
	v_cndmask_b32_e32 v3, v3, v12, vcc_lo
	v_cmp_le_u32_e32 vcc_lo, s26, v11
	s_delay_alu instid0(VALU_DEP_2) | instskip(NEXT) | instid1(VALU_DEP_1)
	v_add_nc_u32_e32 v12, 1, v3
	v_dual_cndmask_b32 v11, v3, v12 :: v_dual_mov_b32 v12, v2
.LBB10_9:                               ;   in Loop: Header=BB10_5 Depth=2
	s_or_b32 exec_lo, exec_lo, s1
	s_load_b64 s[44:45], s[24:25], 0xc8
	s_delay_alu instid0(VALU_DEP_1) | instskip(NEXT) | instid1(VALU_DEP_2)
	v_mul_lo_u32 v3, v12, s26
	v_mul_lo_u32 v15, v11, s27
	v_mad_u64_u32 v[13:14], null, v11, s26, 0
	s_add_i32 s43, s43, -1
	s_add_u32 s24, s24, -8
	s_addc_u32 s25, s25, -1
	s_cmp_gt_u32 s43, 2
	s_delay_alu instid0(VALU_DEP_1) | instskip(NEXT) | instid1(VALU_DEP_2)
	v_add3_u32 v3, v14, v15, v3
	v_sub_co_u32 v13, vcc_lo, v7, v13
	s_delay_alu instid0(VALU_DEP_2) | instskip(SKIP_1) | instid1(VALU_DEP_2)
	v_sub_co_ci_u32_e32 v3, vcc_lo, v8, v3, vcc_lo
	s_waitcnt lgkmcnt(0)
	v_mul_lo_u32 v14, s45, v13
	s_delay_alu instid0(VALU_DEP_2) | instskip(SKIP_1) | instid1(VALU_DEP_1)
	v_mul_lo_u32 v3, s44, v3
	v_mad_u64_u32 v[7:8], null, s44, v13, v[9:10]
	v_add3_u32 v10, v14, v8, v3
	s_delay_alu instid0(VALU_DEP_2)
	v_mov_b32_e32 v9, v7
	s_cbranch_scc0 .LBB10_11
; %bb.10:                               ;   in Loop: Header=BB10_5 Depth=2
	v_dual_mov_b32 v7, v11 :: v_dual_mov_b32 v8, v12
	s_branch .LBB10_5
.LBB10_11:                              ;   in Loop: Header=BB10_3 Depth=1
	s_delay_alu instid0(VALU_DEP_1) | instskip(SKIP_2) | instid1(VALU_DEP_1)
	v_mad_u64_u32 v[7:8], null, s14, v11, v[9:10]
	v_mul_lo_u32 v3, s14, v12
	v_mul_lo_u32 v9, s15, v11
	v_add3_u32 v8, v9, v8, v3
.LBB10_12:                              ;   in Loop: Header=BB10_3 Depth=1
	s_or_b32 exec_lo, exec_lo, s42
	v_mov_b32_e32 v9, 0
	v_mov_b32_e32 v10, 0
	s_and_saveexec_b32 s1, s0
	s_cbranch_execz .LBB10_21
; %bb.13:                               ;   in Loop: Header=BB10_3 Depth=1
	v_dual_mov_b32 v11, 0 :: v_dual_mov_b32 v10, v5
	v_dual_mov_b32 v12, 0 :: v_dual_mov_b32 v9, v4
	;; [unrolled: 1-line block ×3, first 2 shown]
	s_and_not1_b32 vcc_lo, exec_lo, s29
	s_mov_b64 s[24:25], s[22:23]
	s_mov_b32 s42, s34
	s_cbranch_vccnz .LBB10_20
.LBB10_14:                              ;   Parent Loop BB10_3 Depth=1
                                        ; =>  This Inner Loop Header: Depth=2
	s_load_b64 s[26:27], s[24:25], 0x0
                                        ; implicit-def: $vgpr13_vgpr14
	s_mov_b32 s0, exec_lo
	s_waitcnt lgkmcnt(0)
	v_or_b32_e32 v3, s27, v10
	s_delay_alu instid0(VALU_DEP_1)
	v_cmpx_ne_u64_e32 0, v[2:3]
	s_xor_b32 s43, exec_lo, s0
	s_cbranch_execz .LBB10_16
; %bb.15:                               ;   in Loop: Header=BB10_14 Depth=2
	v_cvt_f32_u32_e32 v3, s26
	v_cvt_f32_u32_e32 v13, s27
	s_sub_u32 s0, 0, s26
	s_subb_u32 s44, 0, s27
	s_delay_alu instid0(VALU_DEP_1) | instskip(NEXT) | instid1(VALU_DEP_1)
	v_fmac_f32_e32 v3, 0x4f800000, v13
	v_rcp_f32_e32 v3, v3
	s_waitcnt_depctr 0xfff
	v_mul_f32_e32 v3, 0x5f7ffffc, v3
	s_delay_alu instid0(VALU_DEP_1) | instskip(NEXT) | instid1(VALU_DEP_1)
	v_mul_f32_e32 v13, 0x2f800000, v3
	v_trunc_f32_e32 v13, v13
	s_delay_alu instid0(VALU_DEP_1) | instskip(SKIP_1) | instid1(VALU_DEP_2)
	v_fmac_f32_e32 v3, 0xcf800000, v13
	v_cvt_u32_f32_e32 v13, v13
	v_cvt_u32_f32_e32 v3, v3
	s_delay_alu instid0(VALU_DEP_2) | instskip(NEXT) | instid1(VALU_DEP_2)
	v_mul_lo_u32 v14, s0, v13
	v_mul_hi_u32 v15, s0, v3
	v_mul_lo_u32 v16, s44, v3
	s_delay_alu instid0(VALU_DEP_2) | instskip(SKIP_1) | instid1(VALU_DEP_2)
	v_add_nc_u32_e32 v14, v15, v14
	v_mul_lo_u32 v15, s0, v3
	v_add_nc_u32_e32 v14, v14, v16
	s_delay_alu instid0(VALU_DEP_2) | instskip(NEXT) | instid1(VALU_DEP_2)
	v_mul_hi_u32 v16, v3, v15
	v_mul_lo_u32 v17, v3, v14
	v_mul_hi_u32 v18, v3, v14
	v_mul_hi_u32 v19, v13, v15
	v_mul_lo_u32 v15, v13, v15
	v_mul_hi_u32 v20, v13, v14
	v_mul_lo_u32 v14, v13, v14
	v_add_co_u32 v16, vcc_lo, v16, v17
	v_add_co_ci_u32_e32 v17, vcc_lo, 0, v18, vcc_lo
	s_delay_alu instid0(VALU_DEP_2) | instskip(NEXT) | instid1(VALU_DEP_2)
	v_add_co_u32 v15, vcc_lo, v16, v15
	v_add_co_ci_u32_e32 v15, vcc_lo, v17, v19, vcc_lo
	v_add_co_ci_u32_e32 v16, vcc_lo, 0, v20, vcc_lo
	s_delay_alu instid0(VALU_DEP_2) | instskip(NEXT) | instid1(VALU_DEP_2)
	v_add_co_u32 v14, vcc_lo, v15, v14
	v_add_co_ci_u32_e32 v15, vcc_lo, 0, v16, vcc_lo
	s_delay_alu instid0(VALU_DEP_2) | instskip(NEXT) | instid1(VALU_DEP_2)
	v_add_co_u32 v3, vcc_lo, v3, v14
	v_add_co_ci_u32_e32 v13, vcc_lo, v13, v15, vcc_lo
	s_delay_alu instid0(VALU_DEP_2) | instskip(SKIP_1) | instid1(VALU_DEP_3)
	v_mul_hi_u32 v14, s0, v3
	v_mul_lo_u32 v16, s44, v3
	v_mul_lo_u32 v15, s0, v13
	s_delay_alu instid0(VALU_DEP_1) | instskip(SKIP_1) | instid1(VALU_DEP_2)
	v_add_nc_u32_e32 v14, v14, v15
	v_mul_lo_u32 v15, s0, v3
	v_add_nc_u32_e32 v14, v14, v16
	s_delay_alu instid0(VALU_DEP_2) | instskip(NEXT) | instid1(VALU_DEP_2)
	v_mul_hi_u32 v16, v3, v15
	v_mul_lo_u32 v17, v3, v14
	v_mul_hi_u32 v18, v3, v14
	v_mul_hi_u32 v19, v13, v15
	v_mul_lo_u32 v15, v13, v15
	v_mul_hi_u32 v20, v13, v14
	v_mul_lo_u32 v14, v13, v14
	v_add_co_u32 v16, vcc_lo, v16, v17
	v_add_co_ci_u32_e32 v17, vcc_lo, 0, v18, vcc_lo
	s_delay_alu instid0(VALU_DEP_2) | instskip(NEXT) | instid1(VALU_DEP_2)
	v_add_co_u32 v15, vcc_lo, v16, v15
	v_add_co_ci_u32_e32 v15, vcc_lo, v17, v19, vcc_lo
	v_add_co_ci_u32_e32 v16, vcc_lo, 0, v20, vcc_lo
	s_delay_alu instid0(VALU_DEP_2) | instskip(NEXT) | instid1(VALU_DEP_2)
	v_add_co_u32 v14, vcc_lo, v15, v14
	v_add_co_ci_u32_e32 v15, vcc_lo, 0, v16, vcc_lo
	s_delay_alu instid0(VALU_DEP_2) | instskip(NEXT) | instid1(VALU_DEP_2)
	v_add_co_u32 v3, vcc_lo, v3, v14
	v_add_co_ci_u32_e32 v19, vcc_lo, v13, v15, vcc_lo
	s_delay_alu instid0(VALU_DEP_2) | instskip(SKIP_1) | instid1(VALU_DEP_3)
	v_mul_hi_u32 v20, v9, v3
	v_mad_u64_u32 v[15:16], null, v10, v3, 0
	v_mad_u64_u32 v[13:14], null, v9, v19, 0
	;; [unrolled: 1-line block ×3, first 2 shown]
	s_delay_alu instid0(VALU_DEP_2) | instskip(NEXT) | instid1(VALU_DEP_3)
	v_add_co_u32 v3, vcc_lo, v20, v13
	v_add_co_ci_u32_e32 v13, vcc_lo, 0, v14, vcc_lo
	s_delay_alu instid0(VALU_DEP_2) | instskip(NEXT) | instid1(VALU_DEP_2)
	v_add_co_u32 v3, vcc_lo, v3, v15
	v_add_co_ci_u32_e32 v3, vcc_lo, v13, v16, vcc_lo
	v_add_co_ci_u32_e32 v13, vcc_lo, 0, v18, vcc_lo
	s_delay_alu instid0(VALU_DEP_2) | instskip(NEXT) | instid1(VALU_DEP_2)
	v_add_co_u32 v3, vcc_lo, v3, v17
	v_add_co_ci_u32_e32 v15, vcc_lo, 0, v13, vcc_lo
	s_delay_alu instid0(VALU_DEP_2) | instskip(SKIP_1) | instid1(VALU_DEP_3)
	v_mul_lo_u32 v16, s27, v3
	v_mad_u64_u32 v[13:14], null, s26, v3, 0
	v_mul_lo_u32 v17, s26, v15
	s_delay_alu instid0(VALU_DEP_2) | instskip(NEXT) | instid1(VALU_DEP_2)
	v_sub_co_u32 v13, vcc_lo, v9, v13
	v_add3_u32 v14, v14, v17, v16
	s_delay_alu instid0(VALU_DEP_1) | instskip(NEXT) | instid1(VALU_DEP_1)
	v_sub_nc_u32_e32 v16, v10, v14
	v_subrev_co_ci_u32_e64 v16, s0, s27, v16, vcc_lo
	v_add_co_u32 v17, s0, v3, 2
	s_delay_alu instid0(VALU_DEP_1) | instskip(SKIP_3) | instid1(VALU_DEP_3)
	v_add_co_ci_u32_e64 v18, s0, 0, v15, s0
	v_sub_co_u32 v19, s0, v13, s26
	v_sub_co_ci_u32_e32 v14, vcc_lo, v10, v14, vcc_lo
	v_subrev_co_ci_u32_e64 v16, s0, 0, v16, s0
	v_cmp_le_u32_e32 vcc_lo, s26, v19
	s_delay_alu instid0(VALU_DEP_3) | instskip(SKIP_1) | instid1(VALU_DEP_4)
	v_cmp_eq_u32_e64 s0, s27, v14
	v_cndmask_b32_e64 v19, 0, -1, vcc_lo
	v_cmp_le_u32_e32 vcc_lo, s27, v16
	v_cndmask_b32_e64 v20, 0, -1, vcc_lo
	v_cmp_le_u32_e32 vcc_lo, s26, v13
	;; [unrolled: 2-line block ×3, first 2 shown]
	v_cndmask_b32_e64 v21, 0, -1, vcc_lo
	v_cmp_eq_u32_e32 vcc_lo, s27, v16
	s_delay_alu instid0(VALU_DEP_2) | instskip(SKIP_3) | instid1(VALU_DEP_3)
	v_cndmask_b32_e64 v13, v21, v13, s0
	v_cndmask_b32_e32 v16, v20, v19, vcc_lo
	v_add_co_u32 v19, vcc_lo, v3, 1
	v_add_co_ci_u32_e32 v20, vcc_lo, 0, v15, vcc_lo
	v_cmp_ne_u32_e32 vcc_lo, 0, v16
	s_delay_alu instid0(VALU_DEP_3) | instskip(NEXT) | instid1(VALU_DEP_3)
	v_cndmask_b32_e32 v16, v19, v17, vcc_lo
	v_cndmask_b32_e32 v14, v20, v18, vcc_lo
	v_cmp_ne_u32_e32 vcc_lo, 0, v13
	s_delay_alu instid0(VALU_DEP_3) | instskip(NEXT) | instid1(VALU_DEP_3)
	v_cndmask_b32_e32 v13, v3, v16, vcc_lo
	v_cndmask_b32_e32 v14, v15, v14, vcc_lo
.LBB10_16:                              ;   in Loop: Header=BB10_14 Depth=2
	s_and_not1_saveexec_b32 s0, s43
	s_cbranch_execz .LBB10_18
; %bb.17:                               ;   in Loop: Header=BB10_14 Depth=2
	v_cvt_f32_u32_e32 v3, s26
	s_sub_i32 s43, 0, s26
	s_delay_alu instid0(VALU_DEP_1) | instskip(SKIP_2) | instid1(VALU_DEP_1)
	v_rcp_iflag_f32_e32 v3, v3
	s_waitcnt_depctr 0xfff
	v_mul_f32_e32 v3, 0x4f7ffffe, v3
	v_cvt_u32_f32_e32 v3, v3
	s_delay_alu instid0(VALU_DEP_1) | instskip(NEXT) | instid1(VALU_DEP_1)
	v_mul_lo_u32 v13, s43, v3
	v_mul_hi_u32 v13, v3, v13
	s_delay_alu instid0(VALU_DEP_1) | instskip(NEXT) | instid1(VALU_DEP_1)
	v_add_nc_u32_e32 v3, v3, v13
	v_mul_hi_u32 v3, v9, v3
	s_delay_alu instid0(VALU_DEP_1) | instskip(SKIP_1) | instid1(VALU_DEP_2)
	v_mul_lo_u32 v13, v3, s26
	v_add_nc_u32_e32 v14, 1, v3
	v_sub_nc_u32_e32 v13, v9, v13
	s_delay_alu instid0(VALU_DEP_1) | instskip(SKIP_1) | instid1(VALU_DEP_2)
	v_subrev_nc_u32_e32 v15, s26, v13
	v_cmp_le_u32_e32 vcc_lo, s26, v13
	v_cndmask_b32_e32 v13, v13, v15, vcc_lo
	v_cndmask_b32_e32 v3, v3, v14, vcc_lo
	s_delay_alu instid0(VALU_DEP_2) | instskip(NEXT) | instid1(VALU_DEP_2)
	v_cmp_le_u32_e32 vcc_lo, s26, v13
	v_add_nc_u32_e32 v14, 1, v3
	s_delay_alu instid0(VALU_DEP_1)
	v_dual_cndmask_b32 v13, v3, v14 :: v_dual_mov_b32 v14, v2
.LBB10_18:                              ;   in Loop: Header=BB10_14 Depth=2
	s_or_b32 exec_lo, exec_lo, s0
	s_load_b64 s[44:45], s[24:25], 0xc8
	s_delay_alu instid0(VALU_DEP_1) | instskip(NEXT) | instid1(VALU_DEP_2)
	v_mul_lo_u32 v3, v14, s26
	v_mul_lo_u32 v17, v13, s27
	v_mad_u64_u32 v[15:16], null, v13, s26, 0
	s_add_i32 s42, s42, -1
	s_add_u32 s24, s24, -8
	s_addc_u32 s25, s25, -1
	s_cmp_gt_u32 s42, 2
	s_delay_alu instid0(VALU_DEP_1) | instskip(NEXT) | instid1(VALU_DEP_2)
	v_add3_u32 v3, v16, v17, v3
	v_sub_co_u32 v15, vcc_lo, v9, v15
	s_delay_alu instid0(VALU_DEP_2) | instskip(SKIP_1) | instid1(VALU_DEP_2)
	v_sub_co_ci_u32_e32 v3, vcc_lo, v10, v3, vcc_lo
	s_waitcnt lgkmcnt(0)
	v_mul_lo_u32 v16, s45, v15
	s_delay_alu instid0(VALU_DEP_2) | instskip(SKIP_1) | instid1(VALU_DEP_1)
	v_mul_lo_u32 v3, s44, v3
	v_mad_u64_u32 v[9:10], null, s44, v15, v[11:12]
	v_add3_u32 v12, v16, v10, v3
	s_delay_alu instid0(VALU_DEP_2)
	v_mov_b32_e32 v11, v9
	s_cbranch_scc0 .LBB10_20
; %bb.19:                               ;   in Loop: Header=BB10_14 Depth=2
	v_dual_mov_b32 v9, v13 :: v_dual_mov_b32 v10, v14
	s_branch .LBB10_14
.LBB10_20:                              ;   in Loop: Header=BB10_3 Depth=1
	s_delay_alu instid0(VALU_DEP_1) | instskip(SKIP_2) | instid1(VALU_DEP_1)
	v_mad_u64_u32 v[9:10], null, s2, v13, v[11:12]
	v_mul_lo_u32 v3, s2, v14
	v_mul_lo_u32 v11, s3, v13
	v_add3_u32 v10, v11, v10, v3
.LBB10_21:                              ;   in Loop: Header=BB10_3 Depth=1
	s_or_b32 exec_lo, exec_lo, s1
	v_dual_mov_b32 v16, v5 :: v_dual_mov_b32 v11, 0
	v_or_b32_e32 v15, 1, v4
	v_mov_b32_e32 v12, 0
	v_cmp_lt_i32_e64 s0, 1, v40
	s_delay_alu instid0(VALU_DEP_1)
	s_and_saveexec_b32 s42, s0
	s_cbranch_execz .LBB10_30
; %bb.22:                               ;   in Loop: Header=BB10_3 Depth=1
	v_mov_b32_e32 v13, 0
	v_dual_mov_b32 v14, 0 :: v_dual_mov_b32 v11, v15
	v_mov_b32_e32 v12, v16
	v_dual_mov_b32 v18, v16 :: v_dual_mov_b32 v17, v15
	s_and_not1_b32 vcc_lo, exec_lo, s28
	s_mov_b64 s[24:25], s[20:21]
	s_mov_b32 s43, s33
	s_cbranch_vccnz .LBB10_29
.LBB10_23:                              ;   Parent Loop BB10_3 Depth=1
                                        ; =>  This Inner Loop Header: Depth=2
	s_load_b64 s[26:27], s[24:25], 0x0
                                        ; implicit-def: $vgpr17_vgpr18
	s_mov_b32 s1, exec_lo
	s_waitcnt lgkmcnt(0)
	v_or_b32_e32 v3, s27, v12
	s_delay_alu instid0(VALU_DEP_1)
	v_cmpx_ne_u64_e32 0, v[2:3]
	s_xor_b32 s44, exec_lo, s1
	s_cbranch_execz .LBB10_25
; %bb.24:                               ;   in Loop: Header=BB10_23 Depth=2
	v_cvt_f32_u32_e32 v3, s26
	v_cvt_f32_u32_e32 v17, s27
	s_sub_u32 s1, 0, s26
	s_subb_u32 s45, 0, s27
	s_delay_alu instid0(VALU_DEP_1) | instskip(NEXT) | instid1(VALU_DEP_1)
	v_fmac_f32_e32 v3, 0x4f800000, v17
	v_rcp_f32_e32 v3, v3
	s_waitcnt_depctr 0xfff
	v_mul_f32_e32 v3, 0x5f7ffffc, v3
	s_delay_alu instid0(VALU_DEP_1) | instskip(NEXT) | instid1(VALU_DEP_1)
	v_mul_f32_e32 v17, 0x2f800000, v3
	v_trunc_f32_e32 v17, v17
	s_delay_alu instid0(VALU_DEP_1) | instskip(SKIP_1) | instid1(VALU_DEP_2)
	v_fmac_f32_e32 v3, 0xcf800000, v17
	v_cvt_u32_f32_e32 v17, v17
	v_cvt_u32_f32_e32 v3, v3
	s_delay_alu instid0(VALU_DEP_2) | instskip(NEXT) | instid1(VALU_DEP_2)
	v_mul_lo_u32 v18, s1, v17
	v_mul_hi_u32 v19, s1, v3
	v_mul_lo_u32 v20, s45, v3
	s_delay_alu instid0(VALU_DEP_2) | instskip(SKIP_1) | instid1(VALU_DEP_2)
	v_add_nc_u32_e32 v18, v19, v18
	v_mul_lo_u32 v19, s1, v3
	v_add_nc_u32_e32 v18, v18, v20
	s_delay_alu instid0(VALU_DEP_2) | instskip(NEXT) | instid1(VALU_DEP_2)
	v_mul_hi_u32 v20, v3, v19
	v_mul_lo_u32 v21, v3, v18
	v_mul_hi_u32 v22, v3, v18
	v_mul_hi_u32 v23, v17, v19
	v_mul_lo_u32 v19, v17, v19
	v_mul_hi_u32 v24, v17, v18
	v_mul_lo_u32 v18, v17, v18
	v_add_co_u32 v20, vcc_lo, v20, v21
	v_add_co_ci_u32_e32 v21, vcc_lo, 0, v22, vcc_lo
	s_delay_alu instid0(VALU_DEP_2) | instskip(NEXT) | instid1(VALU_DEP_2)
	v_add_co_u32 v19, vcc_lo, v20, v19
	v_add_co_ci_u32_e32 v19, vcc_lo, v21, v23, vcc_lo
	v_add_co_ci_u32_e32 v20, vcc_lo, 0, v24, vcc_lo
	s_delay_alu instid0(VALU_DEP_2) | instskip(NEXT) | instid1(VALU_DEP_2)
	v_add_co_u32 v18, vcc_lo, v19, v18
	v_add_co_ci_u32_e32 v19, vcc_lo, 0, v20, vcc_lo
	s_delay_alu instid0(VALU_DEP_2) | instskip(NEXT) | instid1(VALU_DEP_2)
	v_add_co_u32 v3, vcc_lo, v3, v18
	v_add_co_ci_u32_e32 v17, vcc_lo, v17, v19, vcc_lo
	s_delay_alu instid0(VALU_DEP_2) | instskip(SKIP_1) | instid1(VALU_DEP_3)
	v_mul_hi_u32 v18, s1, v3
	v_mul_lo_u32 v20, s45, v3
	v_mul_lo_u32 v19, s1, v17
	s_delay_alu instid0(VALU_DEP_1) | instskip(SKIP_1) | instid1(VALU_DEP_2)
	v_add_nc_u32_e32 v18, v18, v19
	v_mul_lo_u32 v19, s1, v3
	v_add_nc_u32_e32 v18, v18, v20
	s_delay_alu instid0(VALU_DEP_2) | instskip(NEXT) | instid1(VALU_DEP_2)
	v_mul_hi_u32 v20, v3, v19
	v_mul_lo_u32 v21, v3, v18
	v_mul_hi_u32 v22, v3, v18
	v_mul_hi_u32 v23, v17, v19
	v_mul_lo_u32 v19, v17, v19
	v_mul_hi_u32 v24, v17, v18
	v_mul_lo_u32 v18, v17, v18
	v_add_co_u32 v20, vcc_lo, v20, v21
	v_add_co_ci_u32_e32 v21, vcc_lo, 0, v22, vcc_lo
	s_delay_alu instid0(VALU_DEP_2) | instskip(NEXT) | instid1(VALU_DEP_2)
	v_add_co_u32 v19, vcc_lo, v20, v19
	v_add_co_ci_u32_e32 v19, vcc_lo, v21, v23, vcc_lo
	v_add_co_ci_u32_e32 v20, vcc_lo, 0, v24, vcc_lo
	s_delay_alu instid0(VALU_DEP_2) | instskip(NEXT) | instid1(VALU_DEP_2)
	v_add_co_u32 v18, vcc_lo, v19, v18
	v_add_co_ci_u32_e32 v19, vcc_lo, 0, v20, vcc_lo
	s_delay_alu instid0(VALU_DEP_2) | instskip(NEXT) | instid1(VALU_DEP_2)
	v_add_co_u32 v3, vcc_lo, v3, v18
	v_add_co_ci_u32_e32 v23, vcc_lo, v17, v19, vcc_lo
	s_delay_alu instid0(VALU_DEP_2) | instskip(SKIP_1) | instid1(VALU_DEP_3)
	v_mul_hi_u32 v24, v11, v3
	v_mad_u64_u32 v[19:20], null, v12, v3, 0
	v_mad_u64_u32 v[17:18], null, v11, v23, 0
	;; [unrolled: 1-line block ×3, first 2 shown]
	s_delay_alu instid0(VALU_DEP_2) | instskip(NEXT) | instid1(VALU_DEP_3)
	v_add_co_u32 v3, vcc_lo, v24, v17
	v_add_co_ci_u32_e32 v17, vcc_lo, 0, v18, vcc_lo
	s_delay_alu instid0(VALU_DEP_2) | instskip(NEXT) | instid1(VALU_DEP_2)
	v_add_co_u32 v3, vcc_lo, v3, v19
	v_add_co_ci_u32_e32 v3, vcc_lo, v17, v20, vcc_lo
	v_add_co_ci_u32_e32 v17, vcc_lo, 0, v22, vcc_lo
	s_delay_alu instid0(VALU_DEP_2) | instskip(NEXT) | instid1(VALU_DEP_2)
	v_add_co_u32 v3, vcc_lo, v3, v21
	v_add_co_ci_u32_e32 v19, vcc_lo, 0, v17, vcc_lo
	s_delay_alu instid0(VALU_DEP_2) | instskip(SKIP_1) | instid1(VALU_DEP_3)
	v_mul_lo_u32 v20, s27, v3
	v_mad_u64_u32 v[17:18], null, s26, v3, 0
	v_mul_lo_u32 v21, s26, v19
	s_delay_alu instid0(VALU_DEP_2) | instskip(NEXT) | instid1(VALU_DEP_2)
	v_sub_co_u32 v17, vcc_lo, v11, v17
	v_add3_u32 v18, v18, v21, v20
	s_delay_alu instid0(VALU_DEP_1) | instskip(NEXT) | instid1(VALU_DEP_1)
	v_sub_nc_u32_e32 v20, v12, v18
	v_subrev_co_ci_u32_e64 v20, s1, s27, v20, vcc_lo
	v_add_co_u32 v21, s1, v3, 2
	s_delay_alu instid0(VALU_DEP_1) | instskip(SKIP_3) | instid1(VALU_DEP_3)
	v_add_co_ci_u32_e64 v22, s1, 0, v19, s1
	v_sub_co_u32 v23, s1, v17, s26
	v_sub_co_ci_u32_e32 v18, vcc_lo, v12, v18, vcc_lo
	v_subrev_co_ci_u32_e64 v20, s1, 0, v20, s1
	v_cmp_le_u32_e32 vcc_lo, s26, v23
	s_delay_alu instid0(VALU_DEP_3) | instskip(SKIP_1) | instid1(VALU_DEP_4)
	v_cmp_eq_u32_e64 s1, s27, v18
	v_cndmask_b32_e64 v23, 0, -1, vcc_lo
	v_cmp_le_u32_e32 vcc_lo, s27, v20
	v_cndmask_b32_e64 v24, 0, -1, vcc_lo
	v_cmp_le_u32_e32 vcc_lo, s26, v17
	;; [unrolled: 2-line block ×3, first 2 shown]
	v_cndmask_b32_e64 v25, 0, -1, vcc_lo
	v_cmp_eq_u32_e32 vcc_lo, s27, v20
	s_delay_alu instid0(VALU_DEP_2) | instskip(SKIP_3) | instid1(VALU_DEP_3)
	v_cndmask_b32_e64 v17, v25, v17, s1
	v_cndmask_b32_e32 v20, v24, v23, vcc_lo
	v_add_co_u32 v23, vcc_lo, v3, 1
	v_add_co_ci_u32_e32 v24, vcc_lo, 0, v19, vcc_lo
	v_cmp_ne_u32_e32 vcc_lo, 0, v20
	s_delay_alu instid0(VALU_DEP_3) | instskip(NEXT) | instid1(VALU_DEP_3)
	v_cndmask_b32_e32 v20, v23, v21, vcc_lo
	v_cndmask_b32_e32 v18, v24, v22, vcc_lo
	v_cmp_ne_u32_e32 vcc_lo, 0, v17
	s_delay_alu instid0(VALU_DEP_3) | instskip(NEXT) | instid1(VALU_DEP_3)
	v_cndmask_b32_e32 v17, v3, v20, vcc_lo
	v_cndmask_b32_e32 v18, v19, v18, vcc_lo
.LBB10_25:                              ;   in Loop: Header=BB10_23 Depth=2
	s_and_not1_saveexec_b32 s1, s44
	s_cbranch_execz .LBB10_27
; %bb.26:                               ;   in Loop: Header=BB10_23 Depth=2
	v_cvt_f32_u32_e32 v3, s26
	s_sub_i32 s44, 0, s26
	s_delay_alu instid0(VALU_DEP_1) | instskip(SKIP_2) | instid1(VALU_DEP_1)
	v_rcp_iflag_f32_e32 v3, v3
	s_waitcnt_depctr 0xfff
	v_mul_f32_e32 v3, 0x4f7ffffe, v3
	v_cvt_u32_f32_e32 v3, v3
	s_delay_alu instid0(VALU_DEP_1) | instskip(NEXT) | instid1(VALU_DEP_1)
	v_mul_lo_u32 v17, s44, v3
	v_mul_hi_u32 v17, v3, v17
	s_delay_alu instid0(VALU_DEP_1) | instskip(NEXT) | instid1(VALU_DEP_1)
	v_add_nc_u32_e32 v3, v3, v17
	v_mul_hi_u32 v3, v11, v3
	s_delay_alu instid0(VALU_DEP_1) | instskip(SKIP_1) | instid1(VALU_DEP_2)
	v_mul_lo_u32 v17, v3, s26
	v_add_nc_u32_e32 v18, 1, v3
	v_sub_nc_u32_e32 v17, v11, v17
	s_delay_alu instid0(VALU_DEP_1) | instskip(SKIP_1) | instid1(VALU_DEP_2)
	v_subrev_nc_u32_e32 v19, s26, v17
	v_cmp_le_u32_e32 vcc_lo, s26, v17
	v_cndmask_b32_e32 v17, v17, v19, vcc_lo
	v_cndmask_b32_e32 v3, v3, v18, vcc_lo
	s_delay_alu instid0(VALU_DEP_2) | instskip(NEXT) | instid1(VALU_DEP_2)
	v_cmp_le_u32_e32 vcc_lo, s26, v17
	v_add_nc_u32_e32 v18, 1, v3
	s_delay_alu instid0(VALU_DEP_1)
	v_dual_cndmask_b32 v17, v3, v18 :: v_dual_mov_b32 v18, v2
.LBB10_27:                              ;   in Loop: Header=BB10_23 Depth=2
	s_or_b32 exec_lo, exec_lo, s1
	s_load_b64 s[44:45], s[24:25], 0xc8
	s_delay_alu instid0(VALU_DEP_1) | instskip(NEXT) | instid1(VALU_DEP_2)
	v_mul_lo_u32 v3, v18, s26
	v_mul_lo_u32 v21, v17, s27
	v_mad_u64_u32 v[19:20], null, v17, s26, 0
	s_add_i32 s43, s43, -1
	s_add_u32 s24, s24, -8
	s_addc_u32 s25, s25, -1
	s_cmp_gt_u32 s43, 2
	s_delay_alu instid0(VALU_DEP_1) | instskip(NEXT) | instid1(VALU_DEP_2)
	v_add3_u32 v3, v20, v21, v3
	v_sub_co_u32 v19, vcc_lo, v11, v19
	s_delay_alu instid0(VALU_DEP_2) | instskip(SKIP_1) | instid1(VALU_DEP_2)
	v_sub_co_ci_u32_e32 v3, vcc_lo, v12, v3, vcc_lo
	s_waitcnt lgkmcnt(0)
	v_mul_lo_u32 v20, s45, v19
	s_delay_alu instid0(VALU_DEP_2) | instskip(SKIP_1) | instid1(VALU_DEP_1)
	v_mul_lo_u32 v3, s44, v3
	v_mad_u64_u32 v[11:12], null, s44, v19, v[13:14]
	v_add3_u32 v14, v20, v12, v3
	s_delay_alu instid0(VALU_DEP_2)
	v_mov_b32_e32 v13, v11
	s_cbranch_scc0 .LBB10_29
; %bb.28:                               ;   in Loop: Header=BB10_23 Depth=2
	v_dual_mov_b32 v11, v17 :: v_dual_mov_b32 v12, v18
	s_branch .LBB10_23
.LBB10_29:                              ;   in Loop: Header=BB10_3 Depth=1
	s_delay_alu instid0(VALU_DEP_1) | instskip(SKIP_2) | instid1(VALU_DEP_1)
	v_mad_u64_u32 v[11:12], null, s14, v17, v[13:14]
	v_mul_lo_u32 v3, s14, v18
	v_mul_lo_u32 v13, s15, v17
	v_add3_u32 v12, v13, v12, v3
.LBB10_30:                              ;   in Loop: Header=BB10_3 Depth=1
	s_or_b32 exec_lo, exec_lo, s42
	v_mov_b32_e32 v13, 0
	v_mov_b32_e32 v14, 0
	s_and_saveexec_b32 s1, s0
	s_cbranch_execz .LBB10_33
; %bb.31:                               ;   in Loop: Header=BB10_3 Depth=1
	v_mov_b32_e32 v17, 0
	v_mov_b32_e32 v18, 0
	s_and_not1_b32 vcc_lo, exec_lo, s29
	s_mov_b64 s[24:25], s[22:23]
	s_mov_b32 s42, s34
	s_cbranch_vccz .LBB10_42
.LBB10_32:                              ;   in Loop: Header=BB10_3 Depth=1
	s_delay_alu instid0(VALU_DEP_1) | instskip(NEXT) | instid1(VALU_DEP_3)
	v_mad_u64_u32 v[13:14], null, s2, v15, v[17:18]
	v_mul_lo_u32 v3, s2, v16
	v_mul_lo_u32 v15, s3, v15
	s_delay_alu instid0(VALU_DEP_1)
	v_add3_u32 v14, v15, v14, v3
.LBB10_33:                              ;   in Loop: Header=BB10_3 Depth=1
	s_or_b32 exec_lo, exec_lo, s1
	v_dual_mov_b32 v20, v5 :: v_dual_mov_b32 v15, 0
	v_or_b32_e32 v19, 2, v4
	v_mov_b32_e32 v16, 0
	v_cmp_lt_i32_e64 s0, 2, v40
	s_delay_alu instid0(VALU_DEP_1)
	s_and_saveexec_b32 s42, s0
	s_cbranch_execz .LBB10_47
; %bb.34:                               ;   in Loop: Header=BB10_3 Depth=1
	v_mov_b32_e32 v17, 0
	v_dual_mov_b32 v18, 0 :: v_dual_mov_b32 v15, v19
	v_mov_b32_e32 v16, v20
	v_dual_mov_b32 v22, v20 :: v_dual_mov_b32 v21, v19
	s_and_not1_b32 vcc_lo, exec_lo, s28
	s_mov_b64 s[24:25], s[20:21]
	s_mov_b32 s43, s33
	s_cbranch_vccnz .LBB10_46
.LBB10_35:                              ;   Parent Loop BB10_3 Depth=1
                                        ; =>  This Inner Loop Header: Depth=2
	s_load_b64 s[26:27], s[24:25], 0x0
                                        ; implicit-def: $vgpr21_vgpr22
	s_mov_b32 s1, exec_lo
	s_waitcnt lgkmcnt(0)
	v_or_b32_e32 v3, s27, v16
	s_delay_alu instid0(VALU_DEP_1)
	v_cmpx_ne_u64_e32 0, v[2:3]
	s_xor_b32 s44, exec_lo, s1
	s_cbranch_execz .LBB10_37
; %bb.36:                               ;   in Loop: Header=BB10_35 Depth=2
	v_cvt_f32_u32_e32 v3, s26
	v_cvt_f32_u32_e32 v21, s27
	s_sub_u32 s1, 0, s26
	s_subb_u32 s45, 0, s27
	s_delay_alu instid0(VALU_DEP_1) | instskip(NEXT) | instid1(VALU_DEP_1)
	v_fmac_f32_e32 v3, 0x4f800000, v21
	v_rcp_f32_e32 v3, v3
	s_waitcnt_depctr 0xfff
	v_mul_f32_e32 v3, 0x5f7ffffc, v3
	s_delay_alu instid0(VALU_DEP_1) | instskip(NEXT) | instid1(VALU_DEP_1)
	v_mul_f32_e32 v21, 0x2f800000, v3
	v_trunc_f32_e32 v21, v21
	s_delay_alu instid0(VALU_DEP_1) | instskip(SKIP_1) | instid1(VALU_DEP_2)
	v_fmac_f32_e32 v3, 0xcf800000, v21
	v_cvt_u32_f32_e32 v21, v21
	v_cvt_u32_f32_e32 v3, v3
	s_delay_alu instid0(VALU_DEP_2) | instskip(NEXT) | instid1(VALU_DEP_2)
	v_mul_lo_u32 v22, s1, v21
	v_mul_hi_u32 v23, s1, v3
	v_mul_lo_u32 v24, s45, v3
	s_delay_alu instid0(VALU_DEP_2) | instskip(SKIP_1) | instid1(VALU_DEP_2)
	v_add_nc_u32_e32 v22, v23, v22
	v_mul_lo_u32 v23, s1, v3
	v_add_nc_u32_e32 v22, v22, v24
	s_delay_alu instid0(VALU_DEP_2) | instskip(NEXT) | instid1(VALU_DEP_2)
	v_mul_hi_u32 v24, v3, v23
	v_mul_lo_u32 v25, v3, v22
	v_mul_hi_u32 v26, v3, v22
	v_mul_hi_u32 v27, v21, v23
	v_mul_lo_u32 v23, v21, v23
	v_mul_hi_u32 v28, v21, v22
	v_mul_lo_u32 v22, v21, v22
	v_add_co_u32 v24, vcc_lo, v24, v25
	v_add_co_ci_u32_e32 v25, vcc_lo, 0, v26, vcc_lo
	s_delay_alu instid0(VALU_DEP_2) | instskip(NEXT) | instid1(VALU_DEP_2)
	v_add_co_u32 v23, vcc_lo, v24, v23
	v_add_co_ci_u32_e32 v23, vcc_lo, v25, v27, vcc_lo
	v_add_co_ci_u32_e32 v24, vcc_lo, 0, v28, vcc_lo
	s_delay_alu instid0(VALU_DEP_2) | instskip(NEXT) | instid1(VALU_DEP_2)
	v_add_co_u32 v22, vcc_lo, v23, v22
	v_add_co_ci_u32_e32 v23, vcc_lo, 0, v24, vcc_lo
	s_delay_alu instid0(VALU_DEP_2) | instskip(NEXT) | instid1(VALU_DEP_2)
	v_add_co_u32 v3, vcc_lo, v3, v22
	v_add_co_ci_u32_e32 v21, vcc_lo, v21, v23, vcc_lo
	s_delay_alu instid0(VALU_DEP_2) | instskip(SKIP_1) | instid1(VALU_DEP_3)
	v_mul_hi_u32 v22, s1, v3
	v_mul_lo_u32 v24, s45, v3
	v_mul_lo_u32 v23, s1, v21
	s_delay_alu instid0(VALU_DEP_1) | instskip(SKIP_1) | instid1(VALU_DEP_2)
	v_add_nc_u32_e32 v22, v22, v23
	v_mul_lo_u32 v23, s1, v3
	v_add_nc_u32_e32 v22, v22, v24
	s_delay_alu instid0(VALU_DEP_2) | instskip(NEXT) | instid1(VALU_DEP_2)
	v_mul_hi_u32 v24, v3, v23
	v_mul_lo_u32 v25, v3, v22
	v_mul_hi_u32 v26, v3, v22
	v_mul_hi_u32 v27, v21, v23
	v_mul_lo_u32 v23, v21, v23
	v_mul_hi_u32 v28, v21, v22
	v_mul_lo_u32 v22, v21, v22
	v_add_co_u32 v24, vcc_lo, v24, v25
	v_add_co_ci_u32_e32 v25, vcc_lo, 0, v26, vcc_lo
	s_delay_alu instid0(VALU_DEP_2) | instskip(NEXT) | instid1(VALU_DEP_2)
	v_add_co_u32 v23, vcc_lo, v24, v23
	v_add_co_ci_u32_e32 v23, vcc_lo, v25, v27, vcc_lo
	v_add_co_ci_u32_e32 v24, vcc_lo, 0, v28, vcc_lo
	s_delay_alu instid0(VALU_DEP_2) | instskip(NEXT) | instid1(VALU_DEP_2)
	v_add_co_u32 v22, vcc_lo, v23, v22
	v_add_co_ci_u32_e32 v23, vcc_lo, 0, v24, vcc_lo
	s_delay_alu instid0(VALU_DEP_2) | instskip(NEXT) | instid1(VALU_DEP_2)
	v_add_co_u32 v3, vcc_lo, v3, v22
	v_add_co_ci_u32_e32 v27, vcc_lo, v21, v23, vcc_lo
	s_delay_alu instid0(VALU_DEP_2) | instskip(SKIP_1) | instid1(VALU_DEP_3)
	v_mul_hi_u32 v28, v15, v3
	v_mad_u64_u32 v[23:24], null, v16, v3, 0
	v_mad_u64_u32 v[21:22], null, v15, v27, 0
	;; [unrolled: 1-line block ×3, first 2 shown]
	s_delay_alu instid0(VALU_DEP_2) | instskip(NEXT) | instid1(VALU_DEP_3)
	v_add_co_u32 v3, vcc_lo, v28, v21
	v_add_co_ci_u32_e32 v21, vcc_lo, 0, v22, vcc_lo
	s_delay_alu instid0(VALU_DEP_2) | instskip(NEXT) | instid1(VALU_DEP_2)
	v_add_co_u32 v3, vcc_lo, v3, v23
	v_add_co_ci_u32_e32 v3, vcc_lo, v21, v24, vcc_lo
	v_add_co_ci_u32_e32 v21, vcc_lo, 0, v26, vcc_lo
	s_delay_alu instid0(VALU_DEP_2) | instskip(NEXT) | instid1(VALU_DEP_2)
	v_add_co_u32 v3, vcc_lo, v3, v25
	v_add_co_ci_u32_e32 v23, vcc_lo, 0, v21, vcc_lo
	s_delay_alu instid0(VALU_DEP_2) | instskip(SKIP_1) | instid1(VALU_DEP_3)
	v_mul_lo_u32 v24, s27, v3
	v_mad_u64_u32 v[21:22], null, s26, v3, 0
	v_mul_lo_u32 v25, s26, v23
	s_delay_alu instid0(VALU_DEP_2) | instskip(NEXT) | instid1(VALU_DEP_2)
	v_sub_co_u32 v21, vcc_lo, v15, v21
	v_add3_u32 v22, v22, v25, v24
	s_delay_alu instid0(VALU_DEP_1) | instskip(NEXT) | instid1(VALU_DEP_1)
	v_sub_nc_u32_e32 v24, v16, v22
	v_subrev_co_ci_u32_e64 v24, s1, s27, v24, vcc_lo
	v_add_co_u32 v25, s1, v3, 2
	s_delay_alu instid0(VALU_DEP_1) | instskip(SKIP_3) | instid1(VALU_DEP_3)
	v_add_co_ci_u32_e64 v26, s1, 0, v23, s1
	v_sub_co_u32 v27, s1, v21, s26
	v_sub_co_ci_u32_e32 v22, vcc_lo, v16, v22, vcc_lo
	v_subrev_co_ci_u32_e64 v24, s1, 0, v24, s1
	v_cmp_le_u32_e32 vcc_lo, s26, v27
	s_delay_alu instid0(VALU_DEP_3) | instskip(SKIP_1) | instid1(VALU_DEP_4)
	v_cmp_eq_u32_e64 s1, s27, v22
	v_cndmask_b32_e64 v27, 0, -1, vcc_lo
	v_cmp_le_u32_e32 vcc_lo, s27, v24
	v_cndmask_b32_e64 v28, 0, -1, vcc_lo
	v_cmp_le_u32_e32 vcc_lo, s26, v21
	;; [unrolled: 2-line block ×3, first 2 shown]
	v_cndmask_b32_e64 v29, 0, -1, vcc_lo
	v_cmp_eq_u32_e32 vcc_lo, s27, v24
	s_delay_alu instid0(VALU_DEP_2) | instskip(SKIP_3) | instid1(VALU_DEP_3)
	v_cndmask_b32_e64 v21, v29, v21, s1
	v_cndmask_b32_e32 v24, v28, v27, vcc_lo
	v_add_co_u32 v27, vcc_lo, v3, 1
	v_add_co_ci_u32_e32 v28, vcc_lo, 0, v23, vcc_lo
	v_cmp_ne_u32_e32 vcc_lo, 0, v24
	s_delay_alu instid0(VALU_DEP_3) | instskip(NEXT) | instid1(VALU_DEP_3)
	v_cndmask_b32_e32 v24, v27, v25, vcc_lo
	v_cndmask_b32_e32 v22, v28, v26, vcc_lo
	v_cmp_ne_u32_e32 vcc_lo, 0, v21
	s_delay_alu instid0(VALU_DEP_3) | instskip(NEXT) | instid1(VALU_DEP_3)
	v_cndmask_b32_e32 v21, v3, v24, vcc_lo
	v_cndmask_b32_e32 v22, v23, v22, vcc_lo
.LBB10_37:                              ;   in Loop: Header=BB10_35 Depth=2
	s_and_not1_saveexec_b32 s1, s44
	s_cbranch_execz .LBB10_39
; %bb.38:                               ;   in Loop: Header=BB10_35 Depth=2
	v_cvt_f32_u32_e32 v3, s26
	s_sub_i32 s44, 0, s26
	s_delay_alu instid0(VALU_DEP_1) | instskip(SKIP_2) | instid1(VALU_DEP_1)
	v_rcp_iflag_f32_e32 v3, v3
	s_waitcnt_depctr 0xfff
	v_mul_f32_e32 v3, 0x4f7ffffe, v3
	v_cvt_u32_f32_e32 v3, v3
	s_delay_alu instid0(VALU_DEP_1) | instskip(NEXT) | instid1(VALU_DEP_1)
	v_mul_lo_u32 v21, s44, v3
	v_mul_hi_u32 v21, v3, v21
	s_delay_alu instid0(VALU_DEP_1) | instskip(NEXT) | instid1(VALU_DEP_1)
	v_add_nc_u32_e32 v3, v3, v21
	v_mul_hi_u32 v3, v15, v3
	s_delay_alu instid0(VALU_DEP_1) | instskip(SKIP_1) | instid1(VALU_DEP_2)
	v_mul_lo_u32 v21, v3, s26
	v_add_nc_u32_e32 v22, 1, v3
	v_sub_nc_u32_e32 v21, v15, v21
	s_delay_alu instid0(VALU_DEP_1) | instskip(SKIP_1) | instid1(VALU_DEP_2)
	v_subrev_nc_u32_e32 v23, s26, v21
	v_cmp_le_u32_e32 vcc_lo, s26, v21
	v_cndmask_b32_e32 v21, v21, v23, vcc_lo
	v_cndmask_b32_e32 v3, v3, v22, vcc_lo
	s_delay_alu instid0(VALU_DEP_2) | instskip(NEXT) | instid1(VALU_DEP_2)
	v_cmp_le_u32_e32 vcc_lo, s26, v21
	v_add_nc_u32_e32 v22, 1, v3
	s_delay_alu instid0(VALU_DEP_1)
	v_dual_cndmask_b32 v21, v3, v22 :: v_dual_mov_b32 v22, v2
.LBB10_39:                              ;   in Loop: Header=BB10_35 Depth=2
	s_or_b32 exec_lo, exec_lo, s1
	s_load_b64 s[44:45], s[24:25], 0xc8
	s_delay_alu instid0(VALU_DEP_1) | instskip(NEXT) | instid1(VALU_DEP_2)
	v_mul_lo_u32 v3, v22, s26
	v_mul_lo_u32 v25, v21, s27
	v_mad_u64_u32 v[23:24], null, v21, s26, 0
	s_add_i32 s43, s43, -1
	s_add_u32 s24, s24, -8
	s_addc_u32 s25, s25, -1
	s_cmp_gt_u32 s43, 2
	s_delay_alu instid0(VALU_DEP_1) | instskip(NEXT) | instid1(VALU_DEP_2)
	v_add3_u32 v3, v24, v25, v3
	v_sub_co_u32 v23, vcc_lo, v15, v23
	s_delay_alu instid0(VALU_DEP_2) | instskip(SKIP_1) | instid1(VALU_DEP_2)
	v_sub_co_ci_u32_e32 v3, vcc_lo, v16, v3, vcc_lo
	s_waitcnt lgkmcnt(0)
	v_mul_lo_u32 v24, s45, v23
	s_delay_alu instid0(VALU_DEP_2) | instskip(SKIP_1) | instid1(VALU_DEP_1)
	v_mul_lo_u32 v3, s44, v3
	v_mad_u64_u32 v[15:16], null, s44, v23, v[17:18]
	v_add3_u32 v18, v24, v16, v3
	s_delay_alu instid0(VALU_DEP_2)
	v_mov_b32_e32 v17, v15
	s_cbranch_scc0 .LBB10_46
; %bb.40:                               ;   in Loop: Header=BB10_35 Depth=2
	v_dual_mov_b32 v15, v21 :: v_dual_mov_b32 v16, v22
	s_branch .LBB10_35
.LBB10_41:                              ;   in Loop: Header=BB10_42 Depth=2
	s_or_b32 exec_lo, exec_lo, s0
	s_load_b64 s[44:45], s[24:25], 0xc8
	s_delay_alu instid0(VALU_DEP_1)
	v_mul_lo_u32 v3, v14, s26
	v_mul_lo_u32 v21, v13, s27
	v_mad_u64_u32 v[19:20], null, v13, s26, 0
	s_add_i32 s42, s42, -1
	s_add_u32 s24, s24, -8
	s_addc_u32 s25, s25, -1
	s_cmp_gt_u32 s42, 2
	s_delay_alu instid0(VALU_DEP_1) | instskip(NEXT) | instid1(VALU_DEP_2)
	v_add3_u32 v3, v20, v21, v3
	v_sub_co_u32 v19, vcc_lo, v15, v19
	s_delay_alu instid0(VALU_DEP_2) | instskip(SKIP_1) | instid1(VALU_DEP_2)
	v_sub_co_ci_u32_e32 v3, vcc_lo, v16, v3, vcc_lo
	s_waitcnt lgkmcnt(0)
	v_mul_lo_u32 v20, s45, v19
	s_delay_alu instid0(VALU_DEP_2) | instskip(SKIP_1) | instid1(VALU_DEP_1)
	v_mul_lo_u32 v3, s44, v3
	v_mad_u64_u32 v[15:16], null, s44, v19, v[17:18]
	v_add3_u32 v18, v20, v16, v3
	s_delay_alu instid0(VALU_DEP_2)
	v_dual_mov_b32 v17, v15 :: v_dual_mov_b32 v16, v14
	v_mov_b32_e32 v15, v13
	s_cbranch_scc0 .LBB10_32
.LBB10_42:                              ;   Parent Loop BB10_3 Depth=1
                                        ; =>  This Inner Loop Header: Depth=2
	s_load_b64 s[26:27], s[24:25], 0x0
                                        ; implicit-def: $vgpr13_vgpr14
	s_mov_b32 s0, exec_lo
	s_waitcnt lgkmcnt(0)
	v_or_b32_e32 v3, s27, v16
	s_delay_alu instid0(VALU_DEP_1)
	v_cmpx_ne_u64_e32 0, v[2:3]
	s_xor_b32 s43, exec_lo, s0
	s_cbranch_execz .LBB10_44
; %bb.43:                               ;   in Loop: Header=BB10_42 Depth=2
	v_cvt_f32_u32_e32 v3, s26
	v_cvt_f32_u32_e32 v13, s27
	s_sub_u32 s0, 0, s26
	s_subb_u32 s44, 0, s27
	s_delay_alu instid0(VALU_DEP_1) | instskip(NEXT) | instid1(VALU_DEP_1)
	v_fmac_f32_e32 v3, 0x4f800000, v13
	v_rcp_f32_e32 v3, v3
	s_waitcnt_depctr 0xfff
	v_mul_f32_e32 v3, 0x5f7ffffc, v3
	s_delay_alu instid0(VALU_DEP_1) | instskip(NEXT) | instid1(VALU_DEP_1)
	v_mul_f32_e32 v13, 0x2f800000, v3
	v_trunc_f32_e32 v13, v13
	s_delay_alu instid0(VALU_DEP_1) | instskip(SKIP_1) | instid1(VALU_DEP_2)
	v_fmac_f32_e32 v3, 0xcf800000, v13
	v_cvt_u32_f32_e32 v13, v13
	v_cvt_u32_f32_e32 v3, v3
	s_delay_alu instid0(VALU_DEP_2) | instskip(NEXT) | instid1(VALU_DEP_2)
	v_mul_lo_u32 v14, s0, v13
	v_mul_hi_u32 v19, s0, v3
	v_mul_lo_u32 v20, s44, v3
	s_delay_alu instid0(VALU_DEP_2) | instskip(SKIP_1) | instid1(VALU_DEP_2)
	v_add_nc_u32_e32 v14, v19, v14
	v_mul_lo_u32 v19, s0, v3
	v_add_nc_u32_e32 v14, v14, v20
	s_delay_alu instid0(VALU_DEP_2) | instskip(NEXT) | instid1(VALU_DEP_2)
	v_mul_hi_u32 v20, v3, v19
	v_mul_lo_u32 v21, v3, v14
	v_mul_hi_u32 v22, v3, v14
	v_mul_hi_u32 v23, v13, v19
	v_mul_lo_u32 v19, v13, v19
	v_mul_hi_u32 v24, v13, v14
	v_mul_lo_u32 v14, v13, v14
	v_add_co_u32 v20, vcc_lo, v20, v21
	v_add_co_ci_u32_e32 v21, vcc_lo, 0, v22, vcc_lo
	s_delay_alu instid0(VALU_DEP_2) | instskip(NEXT) | instid1(VALU_DEP_2)
	v_add_co_u32 v19, vcc_lo, v20, v19
	v_add_co_ci_u32_e32 v19, vcc_lo, v21, v23, vcc_lo
	v_add_co_ci_u32_e32 v20, vcc_lo, 0, v24, vcc_lo
	s_delay_alu instid0(VALU_DEP_2) | instskip(NEXT) | instid1(VALU_DEP_2)
	v_add_co_u32 v14, vcc_lo, v19, v14
	v_add_co_ci_u32_e32 v19, vcc_lo, 0, v20, vcc_lo
	s_delay_alu instid0(VALU_DEP_2) | instskip(NEXT) | instid1(VALU_DEP_2)
	v_add_co_u32 v3, vcc_lo, v3, v14
	v_add_co_ci_u32_e32 v13, vcc_lo, v13, v19, vcc_lo
	s_delay_alu instid0(VALU_DEP_2) | instskip(SKIP_1) | instid1(VALU_DEP_3)
	v_mul_hi_u32 v14, s0, v3
	v_mul_lo_u32 v20, s44, v3
	v_mul_lo_u32 v19, s0, v13
	s_delay_alu instid0(VALU_DEP_1) | instskip(SKIP_1) | instid1(VALU_DEP_2)
	v_add_nc_u32_e32 v14, v14, v19
	v_mul_lo_u32 v19, s0, v3
	v_add_nc_u32_e32 v14, v14, v20
	s_delay_alu instid0(VALU_DEP_2) | instskip(NEXT) | instid1(VALU_DEP_2)
	v_mul_hi_u32 v20, v3, v19
	v_mul_lo_u32 v21, v3, v14
	v_mul_hi_u32 v22, v3, v14
	v_mul_hi_u32 v23, v13, v19
	v_mul_lo_u32 v19, v13, v19
	v_mul_hi_u32 v24, v13, v14
	v_mul_lo_u32 v14, v13, v14
	v_add_co_u32 v20, vcc_lo, v20, v21
	v_add_co_ci_u32_e32 v21, vcc_lo, 0, v22, vcc_lo
	s_delay_alu instid0(VALU_DEP_2) | instskip(NEXT) | instid1(VALU_DEP_2)
	v_add_co_u32 v19, vcc_lo, v20, v19
	v_add_co_ci_u32_e32 v19, vcc_lo, v21, v23, vcc_lo
	v_add_co_ci_u32_e32 v20, vcc_lo, 0, v24, vcc_lo
	s_delay_alu instid0(VALU_DEP_2) | instskip(NEXT) | instid1(VALU_DEP_2)
	v_add_co_u32 v14, vcc_lo, v19, v14
	v_add_co_ci_u32_e32 v19, vcc_lo, 0, v20, vcc_lo
	s_delay_alu instid0(VALU_DEP_2) | instskip(NEXT) | instid1(VALU_DEP_2)
	v_add_co_u32 v3, vcc_lo, v3, v14
	v_add_co_ci_u32_e32 v23, vcc_lo, v13, v19, vcc_lo
	s_delay_alu instid0(VALU_DEP_2) | instskip(SKIP_1) | instid1(VALU_DEP_3)
	v_mul_hi_u32 v24, v15, v3
	v_mad_u64_u32 v[19:20], null, v16, v3, 0
	v_mad_u64_u32 v[13:14], null, v15, v23, 0
	;; [unrolled: 1-line block ×3, first 2 shown]
	s_delay_alu instid0(VALU_DEP_2) | instskip(NEXT) | instid1(VALU_DEP_3)
	v_add_co_u32 v3, vcc_lo, v24, v13
	v_add_co_ci_u32_e32 v13, vcc_lo, 0, v14, vcc_lo
	s_delay_alu instid0(VALU_DEP_2) | instskip(NEXT) | instid1(VALU_DEP_2)
	v_add_co_u32 v3, vcc_lo, v3, v19
	v_add_co_ci_u32_e32 v3, vcc_lo, v13, v20, vcc_lo
	v_add_co_ci_u32_e32 v13, vcc_lo, 0, v22, vcc_lo
	s_delay_alu instid0(VALU_DEP_2) | instskip(NEXT) | instid1(VALU_DEP_2)
	v_add_co_u32 v3, vcc_lo, v3, v21
	v_add_co_ci_u32_e32 v19, vcc_lo, 0, v13, vcc_lo
	s_delay_alu instid0(VALU_DEP_2) | instskip(SKIP_1) | instid1(VALU_DEP_3)
	v_mul_lo_u32 v20, s27, v3
	v_mad_u64_u32 v[13:14], null, s26, v3, 0
	v_mul_lo_u32 v21, s26, v19
	s_delay_alu instid0(VALU_DEP_2) | instskip(NEXT) | instid1(VALU_DEP_2)
	v_sub_co_u32 v13, vcc_lo, v15, v13
	v_add3_u32 v14, v14, v21, v20
	s_delay_alu instid0(VALU_DEP_1) | instskip(NEXT) | instid1(VALU_DEP_1)
	v_sub_nc_u32_e32 v20, v16, v14
	v_subrev_co_ci_u32_e64 v20, s0, s27, v20, vcc_lo
	v_add_co_u32 v21, s0, v3, 2
	s_delay_alu instid0(VALU_DEP_1) | instskip(SKIP_3) | instid1(VALU_DEP_3)
	v_add_co_ci_u32_e64 v22, s0, 0, v19, s0
	v_sub_co_u32 v23, s0, v13, s26
	v_sub_co_ci_u32_e32 v14, vcc_lo, v16, v14, vcc_lo
	v_subrev_co_ci_u32_e64 v20, s0, 0, v20, s0
	v_cmp_le_u32_e32 vcc_lo, s26, v23
	s_delay_alu instid0(VALU_DEP_3) | instskip(SKIP_1) | instid1(VALU_DEP_4)
	v_cmp_eq_u32_e64 s0, s27, v14
	v_cndmask_b32_e64 v23, 0, -1, vcc_lo
	v_cmp_le_u32_e32 vcc_lo, s27, v20
	v_cndmask_b32_e64 v24, 0, -1, vcc_lo
	v_cmp_le_u32_e32 vcc_lo, s26, v13
	;; [unrolled: 2-line block ×3, first 2 shown]
	v_cndmask_b32_e64 v25, 0, -1, vcc_lo
	v_cmp_eq_u32_e32 vcc_lo, s27, v20
	s_delay_alu instid0(VALU_DEP_2) | instskip(SKIP_3) | instid1(VALU_DEP_3)
	v_cndmask_b32_e64 v13, v25, v13, s0
	v_cndmask_b32_e32 v20, v24, v23, vcc_lo
	v_add_co_u32 v23, vcc_lo, v3, 1
	v_add_co_ci_u32_e32 v24, vcc_lo, 0, v19, vcc_lo
	v_cmp_ne_u32_e32 vcc_lo, 0, v20
	s_delay_alu instid0(VALU_DEP_3) | instskip(NEXT) | instid1(VALU_DEP_3)
	v_cndmask_b32_e32 v20, v23, v21, vcc_lo
	v_cndmask_b32_e32 v14, v24, v22, vcc_lo
	v_cmp_ne_u32_e32 vcc_lo, 0, v13
	s_delay_alu instid0(VALU_DEP_3) | instskip(NEXT) | instid1(VALU_DEP_3)
	v_cndmask_b32_e32 v13, v3, v20, vcc_lo
	v_cndmask_b32_e32 v14, v19, v14, vcc_lo
.LBB10_44:                              ;   in Loop: Header=BB10_42 Depth=2
	s_and_not1_saveexec_b32 s0, s43
	s_cbranch_execz .LBB10_41
; %bb.45:                               ;   in Loop: Header=BB10_42 Depth=2
	v_cvt_f32_u32_e32 v3, s26
	s_sub_i32 s43, 0, s26
	s_delay_alu instid0(VALU_DEP_1) | instskip(SKIP_2) | instid1(VALU_DEP_1)
	v_rcp_iflag_f32_e32 v3, v3
	s_waitcnt_depctr 0xfff
	v_mul_f32_e32 v3, 0x4f7ffffe, v3
	v_cvt_u32_f32_e32 v3, v3
	s_delay_alu instid0(VALU_DEP_1) | instskip(NEXT) | instid1(VALU_DEP_1)
	v_mul_lo_u32 v13, s43, v3
	v_mul_hi_u32 v13, v3, v13
	s_delay_alu instid0(VALU_DEP_1) | instskip(NEXT) | instid1(VALU_DEP_1)
	v_add_nc_u32_e32 v3, v3, v13
	v_mul_hi_u32 v3, v15, v3
	s_delay_alu instid0(VALU_DEP_1) | instskip(SKIP_1) | instid1(VALU_DEP_2)
	v_mul_lo_u32 v13, v3, s26
	v_add_nc_u32_e32 v14, 1, v3
	v_sub_nc_u32_e32 v13, v15, v13
	s_delay_alu instid0(VALU_DEP_1) | instskip(SKIP_1) | instid1(VALU_DEP_2)
	v_subrev_nc_u32_e32 v19, s26, v13
	v_cmp_le_u32_e32 vcc_lo, s26, v13
	v_cndmask_b32_e32 v13, v13, v19, vcc_lo
	v_cndmask_b32_e32 v3, v3, v14, vcc_lo
	s_delay_alu instid0(VALU_DEP_2) | instskip(NEXT) | instid1(VALU_DEP_2)
	v_cmp_le_u32_e32 vcc_lo, s26, v13
	v_add_nc_u32_e32 v14, 1, v3
	s_delay_alu instid0(VALU_DEP_1)
	v_dual_cndmask_b32 v13, v3, v14 :: v_dual_mov_b32 v14, v2
	s_branch .LBB10_41
.LBB10_46:                              ;   in Loop: Header=BB10_3 Depth=1
	s_delay_alu instid0(VALU_DEP_1) | instskip(SKIP_2) | instid1(VALU_DEP_1)
	v_mad_u64_u32 v[15:16], null, s14, v21, v[17:18]
	v_mul_lo_u32 v3, s14, v22
	v_mul_lo_u32 v17, s15, v21
	v_add3_u32 v16, v17, v16, v3
.LBB10_47:                              ;   in Loop: Header=BB10_3 Depth=1
	s_or_b32 exec_lo, exec_lo, s42
	v_mov_b32_e32 v17, 0
	v_mov_b32_e32 v18, 0
	s_and_saveexec_b32 s1, s0
	s_cbranch_execz .LBB10_50
; %bb.48:                               ;   in Loop: Header=BB10_3 Depth=1
	v_mov_b32_e32 v21, 0
	v_mov_b32_e32 v22, 0
	s_and_not1_b32 vcc_lo, exec_lo, s29
	s_mov_b64 s[24:25], s[22:23]
	s_mov_b32 s42, s34
	s_cbranch_vccz .LBB10_59
.LBB10_49:                              ;   in Loop: Header=BB10_3 Depth=1
	s_delay_alu instid0(VALU_DEP_1) | instskip(NEXT) | instid1(VALU_DEP_3)
	v_mad_u64_u32 v[17:18], null, s2, v19, v[21:22]
	v_mul_lo_u32 v3, s2, v20
	v_mul_lo_u32 v19, s3, v19
	s_delay_alu instid0(VALU_DEP_1)
	v_add3_u32 v18, v19, v18, v3
.LBB10_50:                              ;   in Loop: Header=BB10_3 Depth=1
	s_or_b32 exec_lo, exec_lo, s1
	v_dual_mov_b32 v22, v5 :: v_dual_mov_b32 v19, 0
	v_or_b32_e32 v21, 3, v4
	v_mov_b32_e32 v20, 0
	v_cmp_lt_i32_e64 s0, 3, v40
	s_delay_alu instid0(VALU_DEP_1)
	s_and_saveexec_b32 s42, s0
	s_cbranch_execz .LBB10_64
; %bb.51:                               ;   in Loop: Header=BB10_3 Depth=1
	v_mov_b32_e32 v23, 0
	v_dual_mov_b32 v24, 0 :: v_dual_mov_b32 v19, v21
	v_mov_b32_e32 v20, v22
	v_dual_mov_b32 v26, v22 :: v_dual_mov_b32 v25, v21
	s_and_not1_b32 vcc_lo, exec_lo, s28
	s_mov_b64 s[24:25], s[20:21]
	s_mov_b32 s43, s33
	s_cbranch_vccnz .LBB10_63
.LBB10_52:                              ;   Parent Loop BB10_3 Depth=1
                                        ; =>  This Inner Loop Header: Depth=2
	s_load_b64 s[26:27], s[24:25], 0x0
                                        ; implicit-def: $vgpr25_vgpr26
	s_mov_b32 s1, exec_lo
	s_waitcnt lgkmcnt(0)
	v_or_b32_e32 v3, s27, v20
	s_delay_alu instid0(VALU_DEP_1)
	v_cmpx_ne_u64_e32 0, v[2:3]
	s_xor_b32 s44, exec_lo, s1
	s_cbranch_execz .LBB10_54
; %bb.53:                               ;   in Loop: Header=BB10_52 Depth=2
	v_cvt_f32_u32_e32 v3, s26
	v_cvt_f32_u32_e32 v25, s27
	s_sub_u32 s1, 0, s26
	s_subb_u32 s45, 0, s27
	s_delay_alu instid0(VALU_DEP_1) | instskip(NEXT) | instid1(VALU_DEP_1)
	v_fmac_f32_e32 v3, 0x4f800000, v25
	v_rcp_f32_e32 v3, v3
	s_waitcnt_depctr 0xfff
	v_mul_f32_e32 v3, 0x5f7ffffc, v3
	s_delay_alu instid0(VALU_DEP_1) | instskip(NEXT) | instid1(VALU_DEP_1)
	v_mul_f32_e32 v25, 0x2f800000, v3
	v_trunc_f32_e32 v25, v25
	s_delay_alu instid0(VALU_DEP_1) | instskip(SKIP_1) | instid1(VALU_DEP_2)
	v_fmac_f32_e32 v3, 0xcf800000, v25
	v_cvt_u32_f32_e32 v25, v25
	v_cvt_u32_f32_e32 v3, v3
	s_delay_alu instid0(VALU_DEP_2) | instskip(NEXT) | instid1(VALU_DEP_2)
	v_mul_lo_u32 v26, s1, v25
	v_mul_hi_u32 v27, s1, v3
	v_mul_lo_u32 v28, s45, v3
	s_delay_alu instid0(VALU_DEP_2) | instskip(SKIP_1) | instid1(VALU_DEP_2)
	v_add_nc_u32_e32 v26, v27, v26
	v_mul_lo_u32 v27, s1, v3
	v_add_nc_u32_e32 v26, v26, v28
	s_delay_alu instid0(VALU_DEP_2) | instskip(NEXT) | instid1(VALU_DEP_2)
	v_mul_hi_u32 v28, v3, v27
	v_mul_lo_u32 v29, v3, v26
	v_mul_hi_u32 v30, v3, v26
	v_mul_hi_u32 v31, v25, v27
	v_mul_lo_u32 v27, v25, v27
	v_mul_hi_u32 v32, v25, v26
	v_mul_lo_u32 v26, v25, v26
	v_add_co_u32 v28, vcc_lo, v28, v29
	v_add_co_ci_u32_e32 v29, vcc_lo, 0, v30, vcc_lo
	s_delay_alu instid0(VALU_DEP_2) | instskip(NEXT) | instid1(VALU_DEP_2)
	v_add_co_u32 v27, vcc_lo, v28, v27
	v_add_co_ci_u32_e32 v27, vcc_lo, v29, v31, vcc_lo
	v_add_co_ci_u32_e32 v28, vcc_lo, 0, v32, vcc_lo
	s_delay_alu instid0(VALU_DEP_2) | instskip(NEXT) | instid1(VALU_DEP_2)
	v_add_co_u32 v26, vcc_lo, v27, v26
	v_add_co_ci_u32_e32 v27, vcc_lo, 0, v28, vcc_lo
	s_delay_alu instid0(VALU_DEP_2) | instskip(NEXT) | instid1(VALU_DEP_2)
	v_add_co_u32 v3, vcc_lo, v3, v26
	v_add_co_ci_u32_e32 v25, vcc_lo, v25, v27, vcc_lo
	s_delay_alu instid0(VALU_DEP_2) | instskip(SKIP_1) | instid1(VALU_DEP_3)
	v_mul_hi_u32 v26, s1, v3
	v_mul_lo_u32 v28, s45, v3
	v_mul_lo_u32 v27, s1, v25
	s_delay_alu instid0(VALU_DEP_1) | instskip(SKIP_1) | instid1(VALU_DEP_2)
	v_add_nc_u32_e32 v26, v26, v27
	v_mul_lo_u32 v27, s1, v3
	v_add_nc_u32_e32 v26, v26, v28
	s_delay_alu instid0(VALU_DEP_2) | instskip(NEXT) | instid1(VALU_DEP_2)
	v_mul_hi_u32 v28, v3, v27
	v_mul_lo_u32 v29, v3, v26
	v_mul_hi_u32 v30, v3, v26
	v_mul_hi_u32 v31, v25, v27
	v_mul_lo_u32 v27, v25, v27
	v_mul_hi_u32 v32, v25, v26
	v_mul_lo_u32 v26, v25, v26
	v_add_co_u32 v28, vcc_lo, v28, v29
	v_add_co_ci_u32_e32 v29, vcc_lo, 0, v30, vcc_lo
	s_delay_alu instid0(VALU_DEP_2) | instskip(NEXT) | instid1(VALU_DEP_2)
	v_add_co_u32 v27, vcc_lo, v28, v27
	v_add_co_ci_u32_e32 v27, vcc_lo, v29, v31, vcc_lo
	v_add_co_ci_u32_e32 v28, vcc_lo, 0, v32, vcc_lo
	s_delay_alu instid0(VALU_DEP_2) | instskip(NEXT) | instid1(VALU_DEP_2)
	v_add_co_u32 v26, vcc_lo, v27, v26
	v_add_co_ci_u32_e32 v27, vcc_lo, 0, v28, vcc_lo
	s_delay_alu instid0(VALU_DEP_2) | instskip(NEXT) | instid1(VALU_DEP_2)
	v_add_co_u32 v3, vcc_lo, v3, v26
	v_add_co_ci_u32_e32 v31, vcc_lo, v25, v27, vcc_lo
	s_delay_alu instid0(VALU_DEP_2) | instskip(SKIP_1) | instid1(VALU_DEP_3)
	v_mul_hi_u32 v32, v19, v3
	v_mad_u64_u32 v[27:28], null, v20, v3, 0
	v_mad_u64_u32 v[25:26], null, v19, v31, 0
	;; [unrolled: 1-line block ×3, first 2 shown]
	s_delay_alu instid0(VALU_DEP_2) | instskip(NEXT) | instid1(VALU_DEP_3)
	v_add_co_u32 v3, vcc_lo, v32, v25
	v_add_co_ci_u32_e32 v25, vcc_lo, 0, v26, vcc_lo
	s_delay_alu instid0(VALU_DEP_2) | instskip(NEXT) | instid1(VALU_DEP_2)
	v_add_co_u32 v3, vcc_lo, v3, v27
	v_add_co_ci_u32_e32 v3, vcc_lo, v25, v28, vcc_lo
	v_add_co_ci_u32_e32 v25, vcc_lo, 0, v30, vcc_lo
	s_delay_alu instid0(VALU_DEP_2) | instskip(NEXT) | instid1(VALU_DEP_2)
	v_add_co_u32 v3, vcc_lo, v3, v29
	v_add_co_ci_u32_e32 v27, vcc_lo, 0, v25, vcc_lo
	s_delay_alu instid0(VALU_DEP_2) | instskip(SKIP_1) | instid1(VALU_DEP_3)
	v_mul_lo_u32 v28, s27, v3
	v_mad_u64_u32 v[25:26], null, s26, v3, 0
	v_mul_lo_u32 v29, s26, v27
	s_delay_alu instid0(VALU_DEP_2) | instskip(NEXT) | instid1(VALU_DEP_2)
	v_sub_co_u32 v25, vcc_lo, v19, v25
	v_add3_u32 v26, v26, v29, v28
	s_delay_alu instid0(VALU_DEP_1) | instskip(NEXT) | instid1(VALU_DEP_1)
	v_sub_nc_u32_e32 v28, v20, v26
	v_subrev_co_ci_u32_e64 v28, s1, s27, v28, vcc_lo
	v_add_co_u32 v29, s1, v3, 2
	s_delay_alu instid0(VALU_DEP_1) | instskip(SKIP_3) | instid1(VALU_DEP_3)
	v_add_co_ci_u32_e64 v30, s1, 0, v27, s1
	v_sub_co_u32 v31, s1, v25, s26
	v_sub_co_ci_u32_e32 v26, vcc_lo, v20, v26, vcc_lo
	v_subrev_co_ci_u32_e64 v28, s1, 0, v28, s1
	v_cmp_le_u32_e32 vcc_lo, s26, v31
	s_delay_alu instid0(VALU_DEP_3) | instskip(SKIP_1) | instid1(VALU_DEP_4)
	v_cmp_eq_u32_e64 s1, s27, v26
	v_cndmask_b32_e64 v31, 0, -1, vcc_lo
	v_cmp_le_u32_e32 vcc_lo, s27, v28
	v_cndmask_b32_e64 v32, 0, -1, vcc_lo
	v_cmp_le_u32_e32 vcc_lo, s26, v25
	;; [unrolled: 2-line block ×3, first 2 shown]
	v_cndmask_b32_e64 v33, 0, -1, vcc_lo
	v_cmp_eq_u32_e32 vcc_lo, s27, v28
	s_delay_alu instid0(VALU_DEP_2) | instskip(SKIP_3) | instid1(VALU_DEP_3)
	v_cndmask_b32_e64 v25, v33, v25, s1
	v_cndmask_b32_e32 v28, v32, v31, vcc_lo
	v_add_co_u32 v31, vcc_lo, v3, 1
	v_add_co_ci_u32_e32 v32, vcc_lo, 0, v27, vcc_lo
	v_cmp_ne_u32_e32 vcc_lo, 0, v28
	s_delay_alu instid0(VALU_DEP_3) | instskip(NEXT) | instid1(VALU_DEP_3)
	v_cndmask_b32_e32 v28, v31, v29, vcc_lo
	v_cndmask_b32_e32 v26, v32, v30, vcc_lo
	v_cmp_ne_u32_e32 vcc_lo, 0, v25
	s_delay_alu instid0(VALU_DEP_3) | instskip(NEXT) | instid1(VALU_DEP_3)
	v_cndmask_b32_e32 v25, v3, v28, vcc_lo
	v_cndmask_b32_e32 v26, v27, v26, vcc_lo
.LBB10_54:                              ;   in Loop: Header=BB10_52 Depth=2
	s_and_not1_saveexec_b32 s1, s44
	s_cbranch_execz .LBB10_56
; %bb.55:                               ;   in Loop: Header=BB10_52 Depth=2
	v_cvt_f32_u32_e32 v3, s26
	s_sub_i32 s44, 0, s26
	s_delay_alu instid0(VALU_DEP_1) | instskip(SKIP_2) | instid1(VALU_DEP_1)
	v_rcp_iflag_f32_e32 v3, v3
	s_waitcnt_depctr 0xfff
	v_mul_f32_e32 v3, 0x4f7ffffe, v3
	v_cvt_u32_f32_e32 v3, v3
	s_delay_alu instid0(VALU_DEP_1) | instskip(NEXT) | instid1(VALU_DEP_1)
	v_mul_lo_u32 v25, s44, v3
	v_mul_hi_u32 v25, v3, v25
	s_delay_alu instid0(VALU_DEP_1) | instskip(NEXT) | instid1(VALU_DEP_1)
	v_add_nc_u32_e32 v3, v3, v25
	v_mul_hi_u32 v3, v19, v3
	s_delay_alu instid0(VALU_DEP_1) | instskip(SKIP_1) | instid1(VALU_DEP_2)
	v_mul_lo_u32 v25, v3, s26
	v_add_nc_u32_e32 v26, 1, v3
	v_sub_nc_u32_e32 v25, v19, v25
	s_delay_alu instid0(VALU_DEP_1) | instskip(SKIP_1) | instid1(VALU_DEP_2)
	v_subrev_nc_u32_e32 v27, s26, v25
	v_cmp_le_u32_e32 vcc_lo, s26, v25
	v_cndmask_b32_e32 v25, v25, v27, vcc_lo
	v_cndmask_b32_e32 v3, v3, v26, vcc_lo
	s_delay_alu instid0(VALU_DEP_2) | instskip(NEXT) | instid1(VALU_DEP_2)
	v_cmp_le_u32_e32 vcc_lo, s26, v25
	v_add_nc_u32_e32 v26, 1, v3
	s_delay_alu instid0(VALU_DEP_1)
	v_dual_cndmask_b32 v25, v3, v26 :: v_dual_mov_b32 v26, v2
.LBB10_56:                              ;   in Loop: Header=BB10_52 Depth=2
	s_or_b32 exec_lo, exec_lo, s1
	s_load_b64 s[44:45], s[24:25], 0xc8
	s_delay_alu instid0(VALU_DEP_1) | instskip(NEXT) | instid1(VALU_DEP_2)
	v_mul_lo_u32 v3, v26, s26
	v_mul_lo_u32 v29, v25, s27
	v_mad_u64_u32 v[27:28], null, v25, s26, 0
	s_add_i32 s43, s43, -1
	s_add_u32 s24, s24, -8
	s_addc_u32 s25, s25, -1
	s_cmp_gt_u32 s43, 2
	s_delay_alu instid0(VALU_DEP_1) | instskip(NEXT) | instid1(VALU_DEP_2)
	v_add3_u32 v3, v28, v29, v3
	v_sub_co_u32 v27, vcc_lo, v19, v27
	s_delay_alu instid0(VALU_DEP_2) | instskip(SKIP_1) | instid1(VALU_DEP_2)
	v_sub_co_ci_u32_e32 v3, vcc_lo, v20, v3, vcc_lo
	s_waitcnt lgkmcnt(0)
	v_mul_lo_u32 v28, s45, v27
	s_delay_alu instid0(VALU_DEP_2) | instskip(SKIP_1) | instid1(VALU_DEP_1)
	v_mul_lo_u32 v3, s44, v3
	v_mad_u64_u32 v[19:20], null, s44, v27, v[23:24]
	v_add3_u32 v24, v28, v20, v3
	s_delay_alu instid0(VALU_DEP_2)
	v_mov_b32_e32 v23, v19
	s_cbranch_scc0 .LBB10_63
; %bb.57:                               ;   in Loop: Header=BB10_52 Depth=2
	v_dual_mov_b32 v19, v25 :: v_dual_mov_b32 v20, v26
	s_branch .LBB10_52
.LBB10_58:                              ;   in Loop: Header=BB10_59 Depth=2
	s_or_b32 exec_lo, exec_lo, s0
	s_load_b64 s[44:45], s[24:25], 0xc8
	s_delay_alu instid0(VALU_DEP_1)
	v_mul_lo_u32 v3, v18, s26
	v_mul_lo_u32 v25, v17, s27
	v_mad_u64_u32 v[23:24], null, v17, s26, 0
	s_add_i32 s42, s42, -1
	s_add_u32 s24, s24, -8
	s_addc_u32 s25, s25, -1
	s_cmp_gt_u32 s42, 2
	s_delay_alu instid0(VALU_DEP_1) | instskip(NEXT) | instid1(VALU_DEP_2)
	v_add3_u32 v3, v24, v25, v3
	v_sub_co_u32 v23, vcc_lo, v19, v23
	s_delay_alu instid0(VALU_DEP_2) | instskip(SKIP_1) | instid1(VALU_DEP_2)
	v_sub_co_ci_u32_e32 v3, vcc_lo, v20, v3, vcc_lo
	s_waitcnt lgkmcnt(0)
	v_mul_lo_u32 v24, s45, v23
	s_delay_alu instid0(VALU_DEP_2) | instskip(SKIP_1) | instid1(VALU_DEP_1)
	v_mul_lo_u32 v3, s44, v3
	v_mad_u64_u32 v[19:20], null, s44, v23, v[21:22]
	v_add3_u32 v22, v24, v20, v3
	s_delay_alu instid0(VALU_DEP_2)
	v_dual_mov_b32 v21, v19 :: v_dual_mov_b32 v20, v18
	v_mov_b32_e32 v19, v17
	s_cbranch_scc0 .LBB10_49
.LBB10_59:                              ;   Parent Loop BB10_3 Depth=1
                                        ; =>  This Inner Loop Header: Depth=2
	s_load_b64 s[26:27], s[24:25], 0x0
                                        ; implicit-def: $vgpr17_vgpr18
	s_mov_b32 s0, exec_lo
	s_waitcnt lgkmcnt(0)
	v_or_b32_e32 v3, s27, v20
	s_delay_alu instid0(VALU_DEP_1)
	v_cmpx_ne_u64_e32 0, v[2:3]
	s_xor_b32 s43, exec_lo, s0
	s_cbranch_execz .LBB10_61
; %bb.60:                               ;   in Loop: Header=BB10_59 Depth=2
	v_cvt_f32_u32_e32 v3, s26
	v_cvt_f32_u32_e32 v17, s27
	s_sub_u32 s0, 0, s26
	s_subb_u32 s44, 0, s27
	s_delay_alu instid0(VALU_DEP_1) | instskip(NEXT) | instid1(VALU_DEP_1)
	v_fmac_f32_e32 v3, 0x4f800000, v17
	v_rcp_f32_e32 v3, v3
	s_waitcnt_depctr 0xfff
	v_mul_f32_e32 v3, 0x5f7ffffc, v3
	s_delay_alu instid0(VALU_DEP_1) | instskip(NEXT) | instid1(VALU_DEP_1)
	v_mul_f32_e32 v17, 0x2f800000, v3
	v_trunc_f32_e32 v17, v17
	s_delay_alu instid0(VALU_DEP_1) | instskip(SKIP_1) | instid1(VALU_DEP_2)
	v_fmac_f32_e32 v3, 0xcf800000, v17
	v_cvt_u32_f32_e32 v17, v17
	v_cvt_u32_f32_e32 v3, v3
	s_delay_alu instid0(VALU_DEP_2) | instskip(NEXT) | instid1(VALU_DEP_2)
	v_mul_lo_u32 v18, s0, v17
	v_mul_hi_u32 v23, s0, v3
	v_mul_lo_u32 v24, s44, v3
	s_delay_alu instid0(VALU_DEP_2) | instskip(SKIP_1) | instid1(VALU_DEP_2)
	v_add_nc_u32_e32 v18, v23, v18
	v_mul_lo_u32 v23, s0, v3
	v_add_nc_u32_e32 v18, v18, v24
	s_delay_alu instid0(VALU_DEP_2) | instskip(NEXT) | instid1(VALU_DEP_2)
	v_mul_hi_u32 v24, v3, v23
	v_mul_lo_u32 v25, v3, v18
	v_mul_hi_u32 v26, v3, v18
	v_mul_hi_u32 v27, v17, v23
	v_mul_lo_u32 v23, v17, v23
	v_mul_hi_u32 v28, v17, v18
	v_mul_lo_u32 v18, v17, v18
	v_add_co_u32 v24, vcc_lo, v24, v25
	v_add_co_ci_u32_e32 v25, vcc_lo, 0, v26, vcc_lo
	s_delay_alu instid0(VALU_DEP_2) | instskip(NEXT) | instid1(VALU_DEP_2)
	v_add_co_u32 v23, vcc_lo, v24, v23
	v_add_co_ci_u32_e32 v23, vcc_lo, v25, v27, vcc_lo
	v_add_co_ci_u32_e32 v24, vcc_lo, 0, v28, vcc_lo
	s_delay_alu instid0(VALU_DEP_2) | instskip(NEXT) | instid1(VALU_DEP_2)
	v_add_co_u32 v18, vcc_lo, v23, v18
	v_add_co_ci_u32_e32 v23, vcc_lo, 0, v24, vcc_lo
	s_delay_alu instid0(VALU_DEP_2) | instskip(NEXT) | instid1(VALU_DEP_2)
	v_add_co_u32 v3, vcc_lo, v3, v18
	v_add_co_ci_u32_e32 v17, vcc_lo, v17, v23, vcc_lo
	s_delay_alu instid0(VALU_DEP_2) | instskip(SKIP_1) | instid1(VALU_DEP_3)
	v_mul_hi_u32 v18, s0, v3
	v_mul_lo_u32 v24, s44, v3
	v_mul_lo_u32 v23, s0, v17
	s_delay_alu instid0(VALU_DEP_1) | instskip(SKIP_1) | instid1(VALU_DEP_2)
	v_add_nc_u32_e32 v18, v18, v23
	v_mul_lo_u32 v23, s0, v3
	v_add_nc_u32_e32 v18, v18, v24
	s_delay_alu instid0(VALU_DEP_2) | instskip(NEXT) | instid1(VALU_DEP_2)
	v_mul_hi_u32 v24, v3, v23
	v_mul_lo_u32 v25, v3, v18
	v_mul_hi_u32 v26, v3, v18
	v_mul_hi_u32 v27, v17, v23
	v_mul_lo_u32 v23, v17, v23
	v_mul_hi_u32 v28, v17, v18
	v_mul_lo_u32 v18, v17, v18
	v_add_co_u32 v24, vcc_lo, v24, v25
	v_add_co_ci_u32_e32 v25, vcc_lo, 0, v26, vcc_lo
	s_delay_alu instid0(VALU_DEP_2) | instskip(NEXT) | instid1(VALU_DEP_2)
	v_add_co_u32 v23, vcc_lo, v24, v23
	v_add_co_ci_u32_e32 v23, vcc_lo, v25, v27, vcc_lo
	v_add_co_ci_u32_e32 v24, vcc_lo, 0, v28, vcc_lo
	s_delay_alu instid0(VALU_DEP_2) | instskip(NEXT) | instid1(VALU_DEP_2)
	v_add_co_u32 v18, vcc_lo, v23, v18
	v_add_co_ci_u32_e32 v23, vcc_lo, 0, v24, vcc_lo
	s_delay_alu instid0(VALU_DEP_2) | instskip(NEXT) | instid1(VALU_DEP_2)
	v_add_co_u32 v3, vcc_lo, v3, v18
	v_add_co_ci_u32_e32 v27, vcc_lo, v17, v23, vcc_lo
	s_delay_alu instid0(VALU_DEP_2) | instskip(SKIP_1) | instid1(VALU_DEP_3)
	v_mul_hi_u32 v28, v19, v3
	v_mad_u64_u32 v[23:24], null, v20, v3, 0
	v_mad_u64_u32 v[17:18], null, v19, v27, 0
	;; [unrolled: 1-line block ×3, first 2 shown]
	s_delay_alu instid0(VALU_DEP_2) | instskip(NEXT) | instid1(VALU_DEP_3)
	v_add_co_u32 v3, vcc_lo, v28, v17
	v_add_co_ci_u32_e32 v17, vcc_lo, 0, v18, vcc_lo
	s_delay_alu instid0(VALU_DEP_2) | instskip(NEXT) | instid1(VALU_DEP_2)
	v_add_co_u32 v3, vcc_lo, v3, v23
	v_add_co_ci_u32_e32 v3, vcc_lo, v17, v24, vcc_lo
	v_add_co_ci_u32_e32 v17, vcc_lo, 0, v26, vcc_lo
	s_delay_alu instid0(VALU_DEP_2) | instskip(NEXT) | instid1(VALU_DEP_2)
	v_add_co_u32 v3, vcc_lo, v3, v25
	v_add_co_ci_u32_e32 v23, vcc_lo, 0, v17, vcc_lo
	s_delay_alu instid0(VALU_DEP_2) | instskip(SKIP_1) | instid1(VALU_DEP_3)
	v_mul_lo_u32 v24, s27, v3
	v_mad_u64_u32 v[17:18], null, s26, v3, 0
	v_mul_lo_u32 v25, s26, v23
	s_delay_alu instid0(VALU_DEP_2) | instskip(NEXT) | instid1(VALU_DEP_2)
	v_sub_co_u32 v17, vcc_lo, v19, v17
	v_add3_u32 v18, v18, v25, v24
	s_delay_alu instid0(VALU_DEP_1) | instskip(NEXT) | instid1(VALU_DEP_1)
	v_sub_nc_u32_e32 v24, v20, v18
	v_subrev_co_ci_u32_e64 v24, s0, s27, v24, vcc_lo
	v_add_co_u32 v25, s0, v3, 2
	s_delay_alu instid0(VALU_DEP_1) | instskip(SKIP_3) | instid1(VALU_DEP_3)
	v_add_co_ci_u32_e64 v26, s0, 0, v23, s0
	v_sub_co_u32 v27, s0, v17, s26
	v_sub_co_ci_u32_e32 v18, vcc_lo, v20, v18, vcc_lo
	v_subrev_co_ci_u32_e64 v24, s0, 0, v24, s0
	v_cmp_le_u32_e32 vcc_lo, s26, v27
	s_delay_alu instid0(VALU_DEP_3) | instskip(SKIP_1) | instid1(VALU_DEP_4)
	v_cmp_eq_u32_e64 s0, s27, v18
	v_cndmask_b32_e64 v27, 0, -1, vcc_lo
	v_cmp_le_u32_e32 vcc_lo, s27, v24
	v_cndmask_b32_e64 v28, 0, -1, vcc_lo
	v_cmp_le_u32_e32 vcc_lo, s26, v17
	;; [unrolled: 2-line block ×3, first 2 shown]
	v_cndmask_b32_e64 v29, 0, -1, vcc_lo
	v_cmp_eq_u32_e32 vcc_lo, s27, v24
	s_delay_alu instid0(VALU_DEP_2) | instskip(SKIP_3) | instid1(VALU_DEP_3)
	v_cndmask_b32_e64 v17, v29, v17, s0
	v_cndmask_b32_e32 v24, v28, v27, vcc_lo
	v_add_co_u32 v27, vcc_lo, v3, 1
	v_add_co_ci_u32_e32 v28, vcc_lo, 0, v23, vcc_lo
	v_cmp_ne_u32_e32 vcc_lo, 0, v24
	s_delay_alu instid0(VALU_DEP_3) | instskip(NEXT) | instid1(VALU_DEP_3)
	v_cndmask_b32_e32 v24, v27, v25, vcc_lo
	v_cndmask_b32_e32 v18, v28, v26, vcc_lo
	v_cmp_ne_u32_e32 vcc_lo, 0, v17
	s_delay_alu instid0(VALU_DEP_3) | instskip(NEXT) | instid1(VALU_DEP_3)
	v_cndmask_b32_e32 v17, v3, v24, vcc_lo
	v_cndmask_b32_e32 v18, v23, v18, vcc_lo
.LBB10_61:                              ;   in Loop: Header=BB10_59 Depth=2
	s_and_not1_saveexec_b32 s0, s43
	s_cbranch_execz .LBB10_58
; %bb.62:                               ;   in Loop: Header=BB10_59 Depth=2
	v_cvt_f32_u32_e32 v3, s26
	s_sub_i32 s43, 0, s26
	s_delay_alu instid0(VALU_DEP_1) | instskip(SKIP_2) | instid1(VALU_DEP_1)
	v_rcp_iflag_f32_e32 v3, v3
	s_waitcnt_depctr 0xfff
	v_mul_f32_e32 v3, 0x4f7ffffe, v3
	v_cvt_u32_f32_e32 v3, v3
	s_delay_alu instid0(VALU_DEP_1) | instskip(NEXT) | instid1(VALU_DEP_1)
	v_mul_lo_u32 v17, s43, v3
	v_mul_hi_u32 v17, v3, v17
	s_delay_alu instid0(VALU_DEP_1) | instskip(NEXT) | instid1(VALU_DEP_1)
	v_add_nc_u32_e32 v3, v3, v17
	v_mul_hi_u32 v3, v19, v3
	s_delay_alu instid0(VALU_DEP_1) | instskip(SKIP_1) | instid1(VALU_DEP_2)
	v_mul_lo_u32 v17, v3, s26
	v_add_nc_u32_e32 v18, 1, v3
	v_sub_nc_u32_e32 v17, v19, v17
	s_delay_alu instid0(VALU_DEP_1) | instskip(SKIP_1) | instid1(VALU_DEP_2)
	v_subrev_nc_u32_e32 v23, s26, v17
	v_cmp_le_u32_e32 vcc_lo, s26, v17
	v_cndmask_b32_e32 v17, v17, v23, vcc_lo
	v_cndmask_b32_e32 v3, v3, v18, vcc_lo
	s_delay_alu instid0(VALU_DEP_2) | instskip(NEXT) | instid1(VALU_DEP_2)
	v_cmp_le_u32_e32 vcc_lo, s26, v17
	v_add_nc_u32_e32 v18, 1, v3
	s_delay_alu instid0(VALU_DEP_1)
	v_dual_cndmask_b32 v17, v3, v18 :: v_dual_mov_b32 v18, v2
	s_branch .LBB10_58
.LBB10_63:                              ;   in Loop: Header=BB10_3 Depth=1
	s_delay_alu instid0(VALU_DEP_1) | instskip(SKIP_2) | instid1(VALU_DEP_1)
	v_mad_u64_u32 v[19:20], null, s14, v25, v[23:24]
	v_mul_lo_u32 v3, s14, v26
	v_mul_lo_u32 v23, s15, v25
	v_add3_u32 v20, v23, v20, v3
.LBB10_64:                              ;   in Loop: Header=BB10_3 Depth=1
	s_or_b32 exec_lo, exec_lo, s42
	v_mov_b32_e32 v25, 0
	v_mov_b32_e32 v26, 0
	s_and_saveexec_b32 s1, s0
	s_cbranch_execz .LBB10_67
; %bb.65:                               ;   in Loop: Header=BB10_3 Depth=1
	v_mov_b32_e32 v23, 0
	v_mov_b32_e32 v24, 0
	s_and_not1_b32 vcc_lo, exec_lo, s29
	s_mov_b64 s[24:25], s[22:23]
	s_mov_b32 s42, s34
	s_cbranch_vccz .LBB10_97
.LBB10_66:                              ;   in Loop: Header=BB10_3 Depth=1
	s_delay_alu instid0(VALU_DEP_1) | instskip(NEXT) | instid1(VALU_DEP_2)
	v_mad_u64_u32 v[25:26], null, s2, v21, v[23:24]
	v_mul_lo_u32 v3, s2, v22
	v_mul_lo_u32 v21, s3, v21
	s_delay_alu instid0(VALU_DEP_1)
	v_add3_u32 v26, v21, v26, v3
.LBB10_67:                              ;   in Loop: Header=BB10_3 Depth=1
	s_or_b32 exec_lo, exec_lo, s1
	s_delay_alu instid0(VALU_DEP_1) | instskip(SKIP_2) | instid1(VALU_DEP_3)
	v_lshlrev_b64 v[21:22], 3, v[25:26]
	v_dual_mov_b32 v28, s9 :: v_dual_mov_b32 v27, s8
	v_dual_mov_b32 v30, s7 :: v_dual_mov_b32 v29, s6
	v_add_co_u32 v21, vcc_lo, s12, v21
	s_delay_alu instid0(VALU_DEP_4)
	v_add_co_ci_u32_e32 v22, vcc_lo, s13, v22, vcc_lo
	s_and_not1_b32 vcc_lo, exec_lo, s30
	global_load_b64 v[23:24], v[21:22], off
	s_cbranch_vccnz .LBB10_69
; %bb.68:                               ;   in Loop: Header=BB10_3 Depth=1
	v_dual_mov_b32 v22, s9 :: v_dual_mov_b32 v21, s8
	v_dual_mov_b32 v26, s7 :: v_dual_mov_b32 v25, s6
	flat_load_b64 v[21:22], v[21:22]
	flat_load_b64 v[29:30], v[25:26]
	s_waitcnt vmcnt(1) lgkmcnt(1)
	v_add_co_u32 v27, vcc_lo, v21, s10
	v_add_co_ci_u32_e32 v28, vcc_lo, s11, v22, vcc_lo
.LBB10_69:                              ;   in Loop: Header=BB10_3 Depth=1
	s_delay_alu instid0(VALU_DEP_1)
	v_alignbit_b32 v3, v28, v27, 2
	v_lshrrev_b32_e32 v25, 2, v28
	s_waitcnt vmcnt(0) lgkmcnt(0)
	v_add_nc_u32_e32 v41, 0x9e3779b9, v29
	v_add_nc_u32_e32 v43, 0x3c6ef372, v29
	;; [unrolled: 1-line block ×3, first 2 shown]
	v_add_co_u32 v26, vcc_lo, v3, 1
	s_delay_alu instid0(VALU_DEP_1) | instskip(SKIP_4) | instid1(VALU_DEP_4)
	v_cndmask_b32_e64 v21, 0, 1, vcc_lo
	v_add_co_ci_u32_e32 v28, vcc_lo, 0, v25, vcc_lo
	v_xor3_b32 v33, v0, v29, v25
	v_add_nc_u32_e32 v46, 0xed9eba14, v30
	v_add_nc_u32_e32 v47, 0x1fd5c5a3, v30
	v_cmp_eq_u32_e32 vcc_lo, 0, v28
	s_mov_b32 s0, exec_lo
	v_add_nc_u32_e32 v42, 0xbb67ae85, v30
	v_dual_cndmask_b32 v31, 0, v21 :: v_dual_add_nc_u32 v44, 0x76cf5d0a, v30
	v_mad_u64_u32 v[21:22], null, 0xd2511f53, v26, 0
	v_mad_u64_u32 v[25:26], null, 0xd2511f53, v3, 0
	s_delay_alu instid0(VALU_DEP_3) | instskip(NEXT) | instid1(VALU_DEP_3)
	v_add_nc_u32_e32 v35, v31, v1
	v_xor_b32_e32 v22, v22, v30
	s_delay_alu instid0(VALU_DEP_2) | instskip(SKIP_1) | instid1(VALU_DEP_1)
	v_cmp_eq_u32_e32 vcc_lo, 0, v35
	v_cndmask_b32_e32 v31, 0, v31, vcc_lo
	v_xor_b32_e32 v3, v31, v22
	v_mad_u64_u32 v[31:32], null, 0xd2511f53, v33, 0
	v_mad_u64_u32 v[33:34], null, 0xcd9e8d57, v35, 0
	s_delay_alu instid0(VALU_DEP_3) | instskip(SKIP_1) | instid1(VALU_DEP_4)
	v_mad_u64_u32 v[35:36], null, 0xcd9e8d57, v3, 0
	v_xor_b32_e32 v3, v26, v30
	v_xor3_b32 v22, v42, v32, v25
	s_delay_alu instid0(VALU_DEP_2) | instskip(SKIP_2) | instid1(VALU_DEP_4)
	v_mad_u64_u32 v[25:26], null, 0xcd9e8d57, v3, 0
	v_xor3_b32 v3, v34, v29, v28
	v_xor3_b32 v28, v41, v36, v33
	v_mad_u64_u32 v[32:33], null, 0xcd9e8d57, v22, 0
	s_delay_alu instid0(VALU_DEP_3) | instskip(NEXT) | instid1(VALU_DEP_3)
	v_mad_u64_u32 v[36:37], null, 0xd2511f53, v3, 0
	v_mad_u64_u32 v[38:39], null, 0xd2511f53, v28, 0
	v_xor3_b32 v3, v6, v26, v41
	s_delay_alu instid0(VALU_DEP_4) | instskip(SKIP_1) | instid1(VALU_DEP_3)
	v_xor3_b32 v33, v43, v33, v25
	v_add_nc_u32_e32 v28, 0xdaa66d2b, v29
	v_mad_u64_u32 v[25:26], null, 0xd2511f53, v3, 0
	v_xor3_b32 v3, v42, v37, v21
	v_xor3_b32 v39, v44, v39, v36
	v_mad_u64_u32 v[21:22], null, 0xd2511f53, v33, 0
	s_delay_alu instid0(VALU_DEP_3) | instskip(NEXT) | instid1(VALU_DEP_3)
	v_mad_u64_u32 v[33:34], null, 0xcd9e8d57, v3, 0
	v_mad_u64_u32 v[36:37], null, 0xcd9e8d57, v39, 0
	v_xor3_b32 v3, v44, v26, v31
	s_delay_alu instid0(VALU_DEP_4) | instskip(SKIP_1) | instid1(VALU_DEP_3)
	v_xor3_b32 v22, v45, v22, v25
	v_add_nc_u32_e32 v39, 0x78dde6e4, v29
	v_mad_u64_u32 v[25:26], null, 0xcd9e8d57, v3, 0
	v_xor3_b32 v3, v43, v34, v35
	v_xor3_b32 v31, v28, v37, v33
	v_mad_u64_u32 v[33:34], null, 0xcd9e8d57, v22, 0
	v_add_nc_u32_e32 v35, 0xa9066899, v30
	s_delay_alu instid0(VALU_DEP_4) | instskip(NEXT) | instid1(VALU_DEP_4)
	v_mad_u64_u32 v[41:42], null, 0xd2511f53, v3, 0
	v_mad_u64_u32 v[43:44], null, 0xd2511f53, v31, 0
	v_xor3_b32 v3, v28, v26, v32
	v_xor3_b32 v22, v39, v34, v25
	v_add_nc_u32_e32 v28, 0x1715609d, v29
	s_delay_alu instid0(VALU_DEP_3) | instskip(SKIP_4) | instid1(VALU_DEP_4)
	v_mad_u64_u32 v[25:26], null, 0xd2511f53, v3, 0
	v_xor3_b32 v3, v45, v42, v38
	v_xor3_b32 v34, v46, v44, v41
	v_mad_u64_u32 v[37:38], null, 0xd2511f53, v22, 0
	v_add_nc_u32_e32 v42, 0xb54cda56, v29
	v_mad_u64_u32 v[31:32], null, 0xcd9e8d57, v3, 0
	s_delay_alu instid0(VALU_DEP_4) | instskip(SKIP_3) | instid1(VALU_DEP_3)
	v_mad_u64_u32 v[44:45], null, 0xcd9e8d57, v34, 0
	v_xor3_b32 v3, v46, v26, v21
	v_xor3_b32 v34, v35, v38, v25
	v_add_nc_u32_e32 v41, 0x646e171e, v30
	v_mad_u64_u32 v[21:22], null, 0xcd9e8d57, v3, 0
	v_xor3_b32 v3, v39, v32, v36
	v_xor3_b32 v36, v28, v45, v31
	v_mad_u64_u32 v[25:26], null, 0xcd9e8d57, v34, 0
	s_delay_alu instid0(VALU_DEP_3) | instskip(NEXT) | instid1(VALU_DEP_3)
	v_mad_u64_u32 v[31:32], null, 0xd2511f53, v3, 0
	v_mad_u64_u32 v[45:46], null, 0xd2511f53, v36, 0
	v_xor3_b32 v3, v28, v22, v33
	s_delay_alu instid0(VALU_DEP_4) | instskip(SKIP_1) | instid1(VALU_DEP_3)
	v_xor3_b32 v26, v42, v26, v21
	v_add_nc_u32_e32 v28, 0x5384540f, v29
	v_mad_u64_u32 v[21:22], null, 0xd2511f53, v3, 0
	v_xor3_b32 v3, v35, v32, v43
	v_xor3_b32 v33, v41, v46, v31
	v_mad_u64_u32 v[31:32], null, 0xd2511f53, v26, 0
	s_delay_alu instid0(VALU_DEP_3) | instskip(NEXT) | instid1(VALU_DEP_3)
	v_mad_u64_u32 v[38:39], null, 0xcd9e8d57, v3, 0
	v_mad_u64_u32 v[34:35], null, 0xcd9e8d57, v33, 0
	v_xor3_b32 v3, v41, v22, v37
	s_delay_alu instid0(VALU_DEP_4) | instskip(SKIP_1) | instid1(VALU_DEP_3)
	v_xor3_b32 v26, v47, v32, v21
	v_add_co_u32 v41, null, 0xf1bbcdc8, v29
	v_mad_u64_u32 v[21:22], null, 0xcd9e8d57, v3, 0
	v_xor3_b32 v3, v42, v39, v44
	v_xor3_b32 v35, v28, v35, v38
	v_mad_u64_u32 v[32:33], null, 0xcd9e8d57, v26, 0
	v_add_nc_u32_e32 v42, 0xdb3d7428, v30
	s_delay_alu instid0(VALU_DEP_4) | instskip(NEXT) | instid1(VALU_DEP_4)
	v_mad_u64_u32 v[43:44], null, 0xd2511f53, v3, 0
	v_mad_u64_u32 v[37:38], null, 0xd2511f53, v35, 0
	v_xor3_b32 v3, v28, v22, v25
	v_xor3_b32 v25, v41, v33, v21
	v_add_nc_u32_e32 v33, 0x96a522ad, v30
	v_add_nc_u32_e32 v30, 0x8ff34781, v29
	v_and_b32_e32 v29, 3, v27
	v_mad_u64_u32 v[35:36], null, 0xd2511f53, v3, 0
	v_xor3_b32 v3, v47, v44, v45
	v_xor3_b32 v28, v42, v38, v43
	v_mad_u64_u32 v[21:22], null, 0xd2511f53, v25, 0
	s_delay_alu instid0(VALU_DEP_3) | instskip(NEXT) | instid1(VALU_DEP_3)
	v_mad_u64_u32 v[38:39], null, 0xcd9e8d57, v3, 0
	v_mad_u64_u32 v[25:26], null, 0xcd9e8d57, v28, 0
                                        ; implicit-def: $vgpr3
	s_delay_alu instid0(VALU_DEP_3) | instskip(NEXT) | instid1(VALU_DEP_2)
	v_xor3_b32 v28, v22, v35, v33
	v_xor3_b32 v22, v26, v38, v30
	v_cmpx_lt_i32_e32 1, v29
	s_xor_b32 s0, exec_lo, s0
	s_cbranch_execz .LBB10_75
; %bb.70:                               ;   in Loop: Header=BB10_3 Depth=1
	s_mov_b32 s1, exec_lo
                                        ; implicit-def: $vgpr3
	v_cmpx_lt_i32_e32 2, v29
	s_xor_b32 s1, exec_lo, s1
; %bb.71:                               ;   in Loop: Header=BB10_3 Depth=1
	v_xor3_b32 v3, v41, v39, v34
                                        ; implicit-def: $vgpr28
	s_delay_alu instid0(VALU_DEP_1) | instskip(NEXT) | instid1(VALU_DEP_1)
	v_mul_hi_u32 v3, 0xd2511f53, v3
	v_xor3_b32 v3, v3, v37, v33
; %bb.72:                               ;   in Loop: Header=BB10_3 Depth=1
	s_and_not1_saveexec_b32 s1, s1
; %bb.73:                               ;   in Loop: Header=BB10_3 Depth=1
	v_mov_b32_e32 v3, v25
	v_dual_mov_b32 v25, v22 :: v_dual_mov_b32 v22, v21
	v_mov_b32_e32 v21, v28
; %bb.74:                               ;   in Loop: Header=BB10_3 Depth=1
	s_or_b32 exec_lo, exec_lo, s1
                                        ; implicit-def: $vgpr31_vgpr32
                                        ; implicit-def: $vgpr29
                                        ; implicit-def: $vgpr28
                                        ; implicit-def: $vgpr42
                                        ; implicit-def: $vgpr35_vgpr36
                                        ; implicit-def: $vgpr30
                                        ; implicit-def: $vgpr32_vgpr33
.LBB10_75:                              ;   in Loop: Header=BB10_3 Depth=1
	s_and_not1_saveexec_b32 s0, s0
	s_cbranch_execz .LBB10_79
; %bb.76:                               ;   in Loop: Header=BB10_3 Depth=1
	v_xor3_b32 v3, v42, v36, v31
	v_cmp_eq_u32_e32 vcc_lo, 1, v29
	v_mov_b32_e32 v25, v28
	s_delay_alu instid0(VALU_DEP_3) | instskip(SKIP_1) | instid1(VALU_DEP_2)
	v_mad_u64_u32 v[26:27], null, 0xcd9e8d57, v3, 0
	v_mov_b32_e32 v3, v21
	v_xor3_b32 v29, v27, v32, v30
	s_delay_alu instid0(VALU_DEP_3)
	v_mov_b32_e32 v27, v26
	s_and_saveexec_b32 s1, vcc_lo
; %bb.77:                               ;   in Loop: Header=BB10_3 Depth=1
	v_mov_b32_e32 v3, v22
	v_mov_b32_e32 v25, v21
	v_mov_b32_e32 v27, v28
	v_mov_b32_e32 v29, v26
; %bb.78:                               ;   in Loop: Header=BB10_3 Depth=1
	s_or_b32 exec_lo, exec_lo, s1
	s_delay_alu instid0(VALU_DEP_1)
	v_dual_mov_b32 v21, v29 :: v_dual_mov_b32 v22, v27
.LBB10_79:                              ;   in Loop: Header=BB10_3 Depth=1
	s_or_b32 exec_lo, exec_lo, s0
	v_min_i32_e32 v26, 4, v40
	s_mov_b32 s1, 0
	s_mov_b32 s43, 0
	;; [unrolled: 1-line block ×3, first 2 shown]
                                        ; implicit-def: $sgpr25
                                        ; implicit-def: $sgpr26
                                        ; implicit-def: $sgpr27
	s_mov_b32 s0, exec_lo
	v_cmpx_lt_i32_e32 2, v26
	s_xor_b32 s42, exec_lo, s0
	s_cbranch_execz .LBB10_91
; %bb.80:                               ;   in Loop: Header=BB10_3 Depth=1
	s_mov_b32 s0, -1
	s_mov_b32 s44, 0
	s_mov_b32 s26, exec_lo
                                        ; implicit-def: $sgpr24
                                        ; implicit-def: $sgpr25
	v_cmpx_lt_i32_e32 3, v26
	s_cbranch_execz .LBB10_86
; %bb.81:                               ;   in Loop: Header=BB10_3 Depth=1
	s_mov_b32 s0, 0
	s_mov_b32 s44, -1
	s_mov_b32 s27, exec_lo
                                        ; implicit-def: $sgpr24
                                        ; implicit-def: $sgpr25
	v_cmpx_eq_u32_e32 4, v26
	s_cbranch_execz .LBB10_85
; %bb.82:                               ;   in Loop: Header=BB10_3 Depth=1
	v_cmp_le_f64_e32 vcc_lo, 0, v[23:24]
	v_cmp_ge_f64_e64 s0, 1.0, v[23:24]
	s_mov_b32 s24, 0
	s_delay_alu instid0(VALU_DEP_1)
	s_and_b32 s44, vcc_lo, s0
	s_mov_b32 s0, 0
	s_and_saveexec_b32 s25, s44
	s_cbranch_execz .LBB10_84
; %bb.83:                               ;   in Loop: Header=BB10_3 Depth=1
	v_cvt_f32_u32_e32 v3, v3
	v_lshlrev_b64 v[19:20], 3, v[19:20]
	s_mov_b32 s0, exec_lo
	s_delay_alu instid0(VALU_DEP_2) | instskip(NEXT) | instid1(VALU_DEP_2)
	v_fmaak_f32 v3, 0x2f800000, v3, 0x2f800000
	v_add_co_u32 v19, vcc_lo, s16, v19
	s_delay_alu instid0(VALU_DEP_3) | instskip(NEXT) | instid1(VALU_DEP_3)
	v_add_co_ci_u32_e32 v20, vcc_lo, s17, v20, vcc_lo
	v_cvt_f64_f32_e32 v[27:28], v3
	s_delay_alu instid0(VALU_DEP_1)
	v_cmp_ge_f64_e32 vcc_lo, v[23:24], v[27:28]
	v_cndmask_b32_e64 v3, 0, 0x3ff00000, vcc_lo
	global_store_b64 v[19:20], v[2:3], off
.LBB10_84:                              ;   in Loop: Header=BB10_3 Depth=1
	s_or_b32 exec_lo, exec_lo, s25
	s_mov_b32 s25, -1
	s_xor_b32 s44, exec_lo, -1
	s_and_b32 s0, s0, exec_lo
.LBB10_85:                              ;   in Loop: Header=BB10_3 Depth=1
	s_or_b32 exec_lo, exec_lo, s27
	s_delay_alu instid0(SALU_CYCLE_1)
	s_and_b32 s44, s44, exec_lo
	s_or_not1_b32 s0, s0, exec_lo
.LBB10_86:                              ;   in Loop: Header=BB10_3 Depth=1
	s_or_b32 exec_lo, exec_lo, s26
	s_mov_b32 s27, s24
	s_and_saveexec_b32 s26, s0
	s_cbranch_execz .LBB10_90
; %bb.87:                               ;   in Loop: Header=BB10_3 Depth=1
	v_lshlrev_b64 v[17:18], 3, v[17:18]
	s_delay_alu instid0(VALU_DEP_1) | instskip(NEXT) | instid1(VALU_DEP_2)
	v_add_co_u32 v17, vcc_lo, s12, v17
	v_add_co_ci_u32_e32 v18, vcc_lo, s13, v18, vcc_lo
	global_load_b64 v[17:18], v[17:18], off
	s_waitcnt vmcnt(0)
	v_cmp_le_f64_e32 vcc_lo, 0, v[17:18]
	v_cmp_ge_f64_e64 s0, 1.0, v[17:18]
	s_delay_alu instid0(VALU_DEP_1) | instskip(SKIP_2) | instid1(SALU_CYCLE_1)
	s_and_b32 s27, vcc_lo, s0
	s_mov_b32 s0, 0
	s_and_saveexec_b32 s43, s27
	s_xor_b32 s27, exec_lo, s43
	s_cbranch_execz .LBB10_89
; %bb.88:                               ;   in Loop: Header=BB10_3 Depth=1
	v_cvt_f32_u32_e32 v3, v25
	v_lshlrev_b64 v[15:16], 3, v[15:16]
	s_mov_b32 s0, exec_lo
	s_delay_alu instid0(VALU_DEP_2) | instskip(NEXT) | instid1(VALU_DEP_2)
	v_fmaak_f32 v3, 0x2f800000, v3, 0x2f800000
	v_add_co_u32 v15, vcc_lo, s16, v15
	s_delay_alu instid0(VALU_DEP_3) | instskip(NEXT) | instid1(VALU_DEP_3)
	v_add_co_ci_u32_e32 v16, vcc_lo, s17, v16, vcc_lo
	v_cvt_f64_f32_e32 v[19:20], v3
	s_delay_alu instid0(VALU_DEP_1)
	v_cmp_ge_f64_e32 vcc_lo, v[17:18], v[19:20]
	v_cndmask_b32_e64 v3, 0, 0x3ff00000, vcc_lo
	global_store_b64 v[15:16], v[2:3], off
.LBB10_89:                              ;   in Loop: Header=BB10_3 Depth=1
	s_or_b32 exec_lo, exec_lo, s27
	s_delay_alu instid0(SALU_CYCLE_1)
	s_and_not1_b32 s27, s24, exec_lo
	s_or_b32 s24, s24, exec_lo
	s_and_not1_b32 s25, s25, exec_lo
	s_and_b32 s43, s0, exec_lo
.LBB10_90:                              ;   in Loop: Header=BB10_3 Depth=1
	s_or_b32 exec_lo, exec_lo, s26
	s_delay_alu instid0(SALU_CYCLE_1)
	s_and_b32 s27, s27, exec_lo
	s_and_b32 s26, s24, exec_lo
	;; [unrolled: 1-line block ×5, first 2 shown]
.LBB10_91:                              ;   in Loop: Header=BB10_3 Depth=1
	s_and_not1_saveexec_b32 s0, s42
; %bb.92:                               ;   in Loop: Header=BB10_3 Depth=1
	v_cmp_lt_i32_e32 vcc_lo, 1, v26
	s_and_not1_b32 s42, s43, exec_lo
	s_mov_b32 s1, exec_lo
	s_and_not1_b32 s27, s27, exec_lo
	s_and_not1_b32 s26, s26, exec_lo
	s_and_b32 s43, vcc_lo, exec_lo
	s_and_not1_b32 s25, s25, exec_lo
	s_or_b32 s43, s42, s43
; %bb.93:                               ;   in Loop: Header=BB10_3 Depth=1
	s_or_b32 exec_lo, exec_lo, s0
	s_mov_b32 s0, 0
	s_mov_b32 s42, s27
	s_and_saveexec_b32 s44, s43
	s_cbranch_execnz .LBB10_101
; %bb.94:                               ;   in Loop: Header=BB10_3 Depth=1
	s_or_b32 exec_lo, exec_lo, s44
	s_and_saveexec_b32 s43, s1
	s_cbranch_execnz .LBB10_104
.LBB10_95:                              ;   in Loop: Header=BB10_3 Depth=1
	s_or_b32 exec_lo, exec_lo, s43
	s_and_saveexec_b32 s1, s0
	s_cbranch_execnz .LBB10_105
	s_branch .LBB10_108
.LBB10_96:                              ;   in Loop: Header=BB10_97 Depth=2
	s_or_b32 exec_lo, exec_lo, s0
	s_load_b64 s[44:45], s[24:25], 0xc8
	s_delay_alu instid0(VALU_DEP_1)
	v_mul_lo_u32 v3, v26, s26
	v_mul_lo_u32 v29, v25, s27
	v_mad_u64_u32 v[27:28], null, v25, s26, 0
	s_add_i32 s42, s42, -1
	s_add_u32 s24, s24, -8
	s_addc_u32 s25, s25, -1
	s_cmp_gt_u32 s42, 2
	s_delay_alu instid0(VALU_DEP_1) | instskip(NEXT) | instid1(VALU_DEP_2)
	v_add3_u32 v3, v28, v29, v3
	v_sub_co_u32 v27, vcc_lo, v21, v27
	s_delay_alu instid0(VALU_DEP_2) | instskip(SKIP_1) | instid1(VALU_DEP_2)
	v_sub_co_ci_u32_e32 v3, vcc_lo, v22, v3, vcc_lo
	s_waitcnt lgkmcnt(0)
	v_mul_lo_u32 v28, s45, v27
	s_delay_alu instid0(VALU_DEP_2) | instskip(SKIP_1) | instid1(VALU_DEP_1)
	v_mul_lo_u32 v3, s44, v3
	v_mad_u64_u32 v[21:22], null, s44, v27, v[23:24]
	v_add3_u32 v24, v28, v22, v3
	s_delay_alu instid0(VALU_DEP_2)
	v_mov_b32_e32 v23, v21
	v_dual_mov_b32 v21, v25 :: v_dual_mov_b32 v22, v26
	s_cbranch_scc0 .LBB10_66
.LBB10_97:                              ;   Parent Loop BB10_3 Depth=1
                                        ; =>  This Inner Loop Header: Depth=2
	s_load_b64 s[26:27], s[24:25], 0x0
                                        ; implicit-def: $vgpr25_vgpr26
	s_mov_b32 s0, exec_lo
	s_waitcnt lgkmcnt(0)
	v_or_b32_e32 v3, s27, v22
	s_delay_alu instid0(VALU_DEP_1)
	v_cmpx_ne_u64_e32 0, v[2:3]
	s_xor_b32 s43, exec_lo, s0
	s_cbranch_execz .LBB10_99
; %bb.98:                               ;   in Loop: Header=BB10_97 Depth=2
	v_cvt_f32_u32_e32 v3, s26
	v_cvt_f32_u32_e32 v25, s27
	s_sub_u32 s0, 0, s26
	s_subb_u32 s44, 0, s27
	s_delay_alu instid0(VALU_DEP_1) | instskip(NEXT) | instid1(VALU_DEP_1)
	v_fmac_f32_e32 v3, 0x4f800000, v25
	v_rcp_f32_e32 v3, v3
	s_waitcnt_depctr 0xfff
	v_mul_f32_e32 v3, 0x5f7ffffc, v3
	s_delay_alu instid0(VALU_DEP_1) | instskip(NEXT) | instid1(VALU_DEP_1)
	v_mul_f32_e32 v25, 0x2f800000, v3
	v_trunc_f32_e32 v25, v25
	s_delay_alu instid0(VALU_DEP_1) | instskip(SKIP_1) | instid1(VALU_DEP_2)
	v_fmac_f32_e32 v3, 0xcf800000, v25
	v_cvt_u32_f32_e32 v25, v25
	v_cvt_u32_f32_e32 v3, v3
	s_delay_alu instid0(VALU_DEP_2) | instskip(NEXT) | instid1(VALU_DEP_2)
	v_mul_lo_u32 v26, s0, v25
	v_mul_hi_u32 v27, s0, v3
	v_mul_lo_u32 v28, s44, v3
	s_delay_alu instid0(VALU_DEP_2) | instskip(SKIP_1) | instid1(VALU_DEP_2)
	v_add_nc_u32_e32 v26, v27, v26
	v_mul_lo_u32 v27, s0, v3
	v_add_nc_u32_e32 v26, v26, v28
	s_delay_alu instid0(VALU_DEP_2) | instskip(NEXT) | instid1(VALU_DEP_2)
	v_mul_hi_u32 v28, v3, v27
	v_mul_lo_u32 v29, v3, v26
	v_mul_hi_u32 v30, v3, v26
	v_mul_hi_u32 v31, v25, v27
	v_mul_lo_u32 v27, v25, v27
	v_mul_hi_u32 v32, v25, v26
	v_mul_lo_u32 v26, v25, v26
	v_add_co_u32 v28, vcc_lo, v28, v29
	v_add_co_ci_u32_e32 v29, vcc_lo, 0, v30, vcc_lo
	s_delay_alu instid0(VALU_DEP_2) | instskip(NEXT) | instid1(VALU_DEP_2)
	v_add_co_u32 v27, vcc_lo, v28, v27
	v_add_co_ci_u32_e32 v27, vcc_lo, v29, v31, vcc_lo
	v_add_co_ci_u32_e32 v28, vcc_lo, 0, v32, vcc_lo
	s_delay_alu instid0(VALU_DEP_2) | instskip(NEXT) | instid1(VALU_DEP_2)
	v_add_co_u32 v26, vcc_lo, v27, v26
	v_add_co_ci_u32_e32 v27, vcc_lo, 0, v28, vcc_lo
	s_delay_alu instid0(VALU_DEP_2) | instskip(NEXT) | instid1(VALU_DEP_2)
	v_add_co_u32 v3, vcc_lo, v3, v26
	v_add_co_ci_u32_e32 v25, vcc_lo, v25, v27, vcc_lo
	s_delay_alu instid0(VALU_DEP_2) | instskip(SKIP_1) | instid1(VALU_DEP_3)
	v_mul_hi_u32 v26, s0, v3
	v_mul_lo_u32 v28, s44, v3
	v_mul_lo_u32 v27, s0, v25
	s_delay_alu instid0(VALU_DEP_1) | instskip(SKIP_1) | instid1(VALU_DEP_2)
	v_add_nc_u32_e32 v26, v26, v27
	v_mul_lo_u32 v27, s0, v3
	v_add_nc_u32_e32 v26, v26, v28
	s_delay_alu instid0(VALU_DEP_2) | instskip(NEXT) | instid1(VALU_DEP_2)
	v_mul_hi_u32 v28, v3, v27
	v_mul_lo_u32 v29, v3, v26
	v_mul_hi_u32 v30, v3, v26
	v_mul_hi_u32 v31, v25, v27
	v_mul_lo_u32 v27, v25, v27
	v_mul_hi_u32 v32, v25, v26
	v_mul_lo_u32 v26, v25, v26
	v_add_co_u32 v28, vcc_lo, v28, v29
	v_add_co_ci_u32_e32 v29, vcc_lo, 0, v30, vcc_lo
	s_delay_alu instid0(VALU_DEP_2) | instskip(NEXT) | instid1(VALU_DEP_2)
	v_add_co_u32 v27, vcc_lo, v28, v27
	v_add_co_ci_u32_e32 v27, vcc_lo, v29, v31, vcc_lo
	v_add_co_ci_u32_e32 v28, vcc_lo, 0, v32, vcc_lo
	s_delay_alu instid0(VALU_DEP_2) | instskip(NEXT) | instid1(VALU_DEP_2)
	v_add_co_u32 v26, vcc_lo, v27, v26
	v_add_co_ci_u32_e32 v27, vcc_lo, 0, v28, vcc_lo
	s_delay_alu instid0(VALU_DEP_2) | instskip(NEXT) | instid1(VALU_DEP_2)
	v_add_co_u32 v3, vcc_lo, v3, v26
	v_add_co_ci_u32_e32 v31, vcc_lo, v25, v27, vcc_lo
	s_delay_alu instid0(VALU_DEP_2) | instskip(SKIP_1) | instid1(VALU_DEP_3)
	v_mul_hi_u32 v32, v21, v3
	v_mad_u64_u32 v[27:28], null, v22, v3, 0
	v_mad_u64_u32 v[25:26], null, v21, v31, 0
	;; [unrolled: 1-line block ×3, first 2 shown]
	s_delay_alu instid0(VALU_DEP_2) | instskip(NEXT) | instid1(VALU_DEP_3)
	v_add_co_u32 v3, vcc_lo, v32, v25
	v_add_co_ci_u32_e32 v25, vcc_lo, 0, v26, vcc_lo
	s_delay_alu instid0(VALU_DEP_2) | instskip(NEXT) | instid1(VALU_DEP_2)
	v_add_co_u32 v3, vcc_lo, v3, v27
	v_add_co_ci_u32_e32 v3, vcc_lo, v25, v28, vcc_lo
	v_add_co_ci_u32_e32 v25, vcc_lo, 0, v30, vcc_lo
	s_delay_alu instid0(VALU_DEP_2) | instskip(NEXT) | instid1(VALU_DEP_2)
	v_add_co_u32 v3, vcc_lo, v3, v29
	v_add_co_ci_u32_e32 v27, vcc_lo, 0, v25, vcc_lo
	s_delay_alu instid0(VALU_DEP_2) | instskip(SKIP_1) | instid1(VALU_DEP_3)
	v_mul_lo_u32 v28, s27, v3
	v_mad_u64_u32 v[25:26], null, s26, v3, 0
	v_mul_lo_u32 v29, s26, v27
	s_delay_alu instid0(VALU_DEP_2) | instskip(NEXT) | instid1(VALU_DEP_2)
	v_sub_co_u32 v25, vcc_lo, v21, v25
	v_add3_u32 v26, v26, v29, v28
	s_delay_alu instid0(VALU_DEP_1) | instskip(NEXT) | instid1(VALU_DEP_1)
	v_sub_nc_u32_e32 v28, v22, v26
	v_subrev_co_ci_u32_e64 v28, s0, s27, v28, vcc_lo
	v_add_co_u32 v29, s0, v3, 2
	s_delay_alu instid0(VALU_DEP_1) | instskip(SKIP_3) | instid1(VALU_DEP_3)
	v_add_co_ci_u32_e64 v30, s0, 0, v27, s0
	v_sub_co_u32 v31, s0, v25, s26
	v_sub_co_ci_u32_e32 v26, vcc_lo, v22, v26, vcc_lo
	v_subrev_co_ci_u32_e64 v28, s0, 0, v28, s0
	v_cmp_le_u32_e32 vcc_lo, s26, v31
	s_delay_alu instid0(VALU_DEP_3) | instskip(SKIP_1) | instid1(VALU_DEP_4)
	v_cmp_eq_u32_e64 s0, s27, v26
	v_cndmask_b32_e64 v31, 0, -1, vcc_lo
	v_cmp_le_u32_e32 vcc_lo, s27, v28
	v_cndmask_b32_e64 v32, 0, -1, vcc_lo
	v_cmp_le_u32_e32 vcc_lo, s26, v25
	;; [unrolled: 2-line block ×3, first 2 shown]
	v_cndmask_b32_e64 v33, 0, -1, vcc_lo
	v_cmp_eq_u32_e32 vcc_lo, s27, v28
	s_delay_alu instid0(VALU_DEP_2) | instskip(SKIP_3) | instid1(VALU_DEP_3)
	v_cndmask_b32_e64 v25, v33, v25, s0
	v_cndmask_b32_e32 v28, v32, v31, vcc_lo
	v_add_co_u32 v31, vcc_lo, v3, 1
	v_add_co_ci_u32_e32 v32, vcc_lo, 0, v27, vcc_lo
	v_cmp_ne_u32_e32 vcc_lo, 0, v28
	s_delay_alu instid0(VALU_DEP_3) | instskip(NEXT) | instid1(VALU_DEP_3)
	v_cndmask_b32_e32 v28, v31, v29, vcc_lo
	v_cndmask_b32_e32 v26, v32, v30, vcc_lo
	v_cmp_ne_u32_e32 vcc_lo, 0, v25
	s_delay_alu instid0(VALU_DEP_3) | instskip(NEXT) | instid1(VALU_DEP_3)
	v_cndmask_b32_e32 v25, v3, v28, vcc_lo
	v_cndmask_b32_e32 v26, v27, v26, vcc_lo
.LBB10_99:                              ;   in Loop: Header=BB10_97 Depth=2
	s_and_not1_saveexec_b32 s0, s43
	s_cbranch_execz .LBB10_96
; %bb.100:                              ;   in Loop: Header=BB10_97 Depth=2
	v_cvt_f32_u32_e32 v3, s26
	s_sub_i32 s43, 0, s26
	s_delay_alu instid0(VALU_DEP_1) | instskip(SKIP_2) | instid1(VALU_DEP_1)
	v_rcp_iflag_f32_e32 v3, v3
	s_waitcnt_depctr 0xfff
	v_mul_f32_e32 v3, 0x4f7ffffe, v3
	v_cvt_u32_f32_e32 v3, v3
	s_delay_alu instid0(VALU_DEP_1) | instskip(NEXT) | instid1(VALU_DEP_1)
	v_mul_lo_u32 v25, s43, v3
	v_mul_hi_u32 v25, v3, v25
	s_delay_alu instid0(VALU_DEP_1) | instskip(NEXT) | instid1(VALU_DEP_1)
	v_add_nc_u32_e32 v3, v3, v25
	v_mul_hi_u32 v3, v21, v3
	s_delay_alu instid0(VALU_DEP_1) | instskip(SKIP_1) | instid1(VALU_DEP_2)
	v_mul_lo_u32 v25, v3, s26
	v_add_nc_u32_e32 v26, 1, v3
	v_sub_nc_u32_e32 v25, v21, v25
	s_delay_alu instid0(VALU_DEP_1) | instskip(SKIP_1) | instid1(VALU_DEP_2)
	v_subrev_nc_u32_e32 v27, s26, v25
	v_cmp_le_u32_e32 vcc_lo, s26, v25
	v_cndmask_b32_e32 v25, v25, v27, vcc_lo
	v_cndmask_b32_e32 v3, v3, v26, vcc_lo
	s_delay_alu instid0(VALU_DEP_2) | instskip(NEXT) | instid1(VALU_DEP_2)
	v_cmp_le_u32_e32 vcc_lo, s26, v25
	v_add_nc_u32_e32 v26, 1, v3
	s_delay_alu instid0(VALU_DEP_1)
	v_dual_cndmask_b32 v25, v3, v26 :: v_dual_mov_b32 v26, v2
	s_branch .LBB10_96
.LBB10_101:                             ;   in Loop: Header=BB10_3 Depth=1
	v_lshlrev_b64 v[13:14], 3, v[13:14]
	s_delay_alu instid0(VALU_DEP_1) | instskip(NEXT) | instid1(VALU_DEP_2)
	v_add_co_u32 v13, vcc_lo, s12, v13
	v_add_co_ci_u32_e32 v14, vcc_lo, s13, v14, vcc_lo
	global_load_b64 v[13:14], v[13:14], off
	s_waitcnt vmcnt(0)
	v_cmp_le_f64_e32 vcc_lo, 0, v[13:14]
	v_cmp_ge_f64_e64 s0, 1.0, v[13:14]
	s_delay_alu instid0(VALU_DEP_1) | instskip(SKIP_2) | instid1(SALU_CYCLE_1)
	s_and_b32 s42, vcc_lo, s0
	s_mov_b32 s0, 0
	s_and_saveexec_b32 s43, s42
	s_xor_b32 s42, exec_lo, s43
	s_cbranch_execz .LBB10_103
; %bb.102:                              ;   in Loop: Header=BB10_3 Depth=1
	v_cvt_f32_u32_e32 v3, v22
	v_lshlrev_b64 v[11:12], 3, v[11:12]
	s_mov_b32 s0, exec_lo
	s_delay_alu instid0(VALU_DEP_2) | instskip(NEXT) | instid1(VALU_DEP_2)
	v_fmaak_f32 v3, 0x2f800000, v3, 0x2f800000
	v_add_co_u32 v11, vcc_lo, s16, v11
	s_delay_alu instid0(VALU_DEP_3) | instskip(NEXT) | instid1(VALU_DEP_3)
	v_add_co_ci_u32_e32 v12, vcc_lo, s17, v12, vcc_lo
	v_cvt_f64_f32_e32 v[15:16], v3
	s_delay_alu instid0(VALU_DEP_1)
	v_cmp_ge_f64_e32 vcc_lo, v[13:14], v[15:16]
	v_cndmask_b32_e64 v3, 0, 0x3ff00000, vcc_lo
	global_store_b64 v[11:12], v[2:3], off
.LBB10_103:                             ;   in Loop: Header=BB10_3 Depth=1
	s_or_b32 exec_lo, exec_lo, s42
	s_delay_alu instid0(SALU_CYCLE_1)
	s_and_not1_b32 s42, s27, exec_lo
	s_or_b32 s27, s27, exec_lo
	s_and_not1_b32 s26, s26, exec_lo
	s_and_not1_b32 s25, s25, exec_lo
	s_and_b32 s0, s0, exec_lo
	s_and_not1_b32 s1, s1, exec_lo
	s_or_b32 exec_lo, exec_lo, s44
	s_and_saveexec_b32 s43, s1
	s_cbranch_execz .LBB10_95
.LBB10_104:                             ;   in Loop: Header=BB10_3 Depth=1
	v_cmp_eq_u32_e32 vcc_lo, 1, v26
	s_and_not1_b32 s0, s0, exec_lo
	s_and_not1_b32 s42, s42, exec_lo
	;; [unrolled: 1-line block ×4, first 2 shown]
	s_and_b32 s1, vcc_lo, exec_lo
	s_and_not1_b32 s25, s25, exec_lo
	s_or_b32 s24, s24, exec_lo
	s_or_b32 s0, s0, s1
	s_or_b32 exec_lo, exec_lo, s43
	s_and_saveexec_b32 s1, s0
	s_cbranch_execz .LBB10_108
.LBB10_105:                             ;   in Loop: Header=BB10_3 Depth=1
	v_lshlrev_b64 v[9:10], 3, v[9:10]
	s_delay_alu instid0(VALU_DEP_1) | instskip(NEXT) | instid1(VALU_DEP_2)
	v_add_co_u32 v9, vcc_lo, s12, v9
	v_add_co_ci_u32_e32 v10, vcc_lo, s13, v10, vcc_lo
	global_load_b64 v[9:10], v[9:10], off
	s_waitcnt vmcnt(0)
	v_cmp_le_f64_e32 vcc_lo, 0, v[9:10]
	v_cmp_ge_f64_e64 s0, 1.0, v[9:10]
	s_delay_alu instid0(VALU_DEP_1)
	s_and_b32 s44, vcc_lo, s0
	s_mov_b32 s0, 0
	s_and_saveexec_b32 s43, s44
	s_cbranch_execz .LBB10_107
; %bb.106:                              ;   in Loop: Header=BB10_3 Depth=1
	v_cvt_f32_u32_e32 v3, v21
	v_lshlrev_b64 v[7:8], 3, v[7:8]
	s_mov_b32 s0, exec_lo
	s_delay_alu instid0(VALU_DEP_2) | instskip(NEXT) | instid1(VALU_DEP_2)
	v_fmaak_f32 v3, 0x2f800000, v3, 0x2f800000
	v_add_co_u32 v7, vcc_lo, s16, v7
	s_delay_alu instid0(VALU_DEP_3) | instskip(NEXT) | instid1(VALU_DEP_3)
	v_add_co_ci_u32_e32 v8, vcc_lo, s17, v8, vcc_lo
	v_cvt_f64_f32_e32 v[11:12], v3
	s_delay_alu instid0(VALU_DEP_1)
	v_cmp_ge_f64_e32 vcc_lo, v[9:10], v[11:12]
	v_cndmask_b32_e64 v3, 0, 0x3ff00000, vcc_lo
	global_store_b64 v[7:8], v[2:3], off
.LBB10_107:                             ;   in Loop: Header=BB10_3 Depth=1
	s_or_b32 exec_lo, exec_lo, s43
	s_delay_alu instid0(SALU_CYCLE_1)
	s_and_not1_b32 s24, s24, exec_lo
	s_and_b32 s0, s0, exec_lo
	s_or_b32 s42, s42, exec_lo
	s_and_not1_b32 s27, s27, exec_lo
	s_and_not1_b32 s26, s26, exec_lo
	;; [unrolled: 1-line block ×3, first 2 shown]
	s_or_b32 s24, s24, s0
.LBB10_108:                             ;   in Loop: Header=BB10_3 Depth=1
	s_or_b32 exec_lo, exec_lo, s1
	s_delay_alu instid0(SALU_CYCLE_1)
	s_and_not1_b32 s1, s41, exec_lo
	s_and_b32 s41, s42, exec_lo
	s_and_not1_b32 s39, s39, exec_lo
	s_and_b32 s27, s27, exec_lo
	s_or_b32 s41, s1, s41
	s_or_b32 s39, s39, s27
	s_and_not1_b32 s1, s40, exec_lo
	s_and_b32 s26, s26, exec_lo
	s_and_not1_b32 s27, s38, exec_lo
	s_and_b32 s25, s25, exec_lo
	s_mov_b32 s0, -1
	s_or_b32 s40, s1, s26
	s_or_b32 s38, s27, s25
	s_and_saveexec_b32 s1, s24
	s_cbranch_execz .LBB10_2
; %bb.109:                              ;   in Loop: Header=BB10_3 Depth=1
	v_add_co_u32 v4, vcc_lo, v4, s31
	v_add_co_ci_u32_e32 v5, vcc_lo, 0, v5, vcc_lo
	s_and_not1_b32 s41, s41, exec_lo
	s_and_not1_b32 s39, s39, exec_lo
	;; [unrolled: 1-line block ×3, first 2 shown]
	s_delay_alu instid0(VALU_DEP_1)
	v_cmp_le_u64_e32 vcc_lo, s[4:5], v[4:5]
	s_and_not1_b32 s38, s38, exec_lo
	s_or_not1_b32 s0, vcc_lo, exec_lo
	s_branch .LBB10_2
.LBB10_110:
	s_or_b32 exec_lo, exec_lo, s19
	s_xor_b32 s3, s36, -1
	s_xor_b32 s4, s37, -1
	;; [unrolled: 1-line block ×3, first 2 shown]
	s_mov_b32 s1, 0
	s_and_saveexec_b32 s2, s0
	s_delay_alu instid0(SALU_CYCLE_1)
	s_xor_b32 s0, exec_lo, s2
	s_cbranch_execz .LBB10_119
; %bb.111:
	s_mov_b32 s2, 0
	s_and_saveexec_b32 s1, s4
	s_delay_alu instid0(SALU_CYCLE_1)
	s_xor_b32 s1, exec_lo, s1
	s_cbranch_execz .LBB10_117
; %bb.112:
	s_and_saveexec_b32 s4, s3
	s_delay_alu instid0(SALU_CYCLE_1)
	s_xor_b32 s3, exec_lo, s4
	s_cbranch_execz .LBB10_115
; %bb.113:
	s_and_saveexec_b32 s4, s18
	s_delay_alu instid0(SALU_CYCLE_1)
	s_xor_b32 s4, exec_lo, s4
	s_cbranch_execnz .LBB10_133
.LBB10_114:
	s_or_b32 exec_lo, exec_lo, s4
	s_delay_alu instid0(SALU_CYCLE_1)
	s_and_b32 s2, s2, exec_lo
.LBB10_115:
	s_and_not1_saveexec_b32 s3, s3
	s_cbranch_execnz .LBB10_129
.LBB10_116:
	s_or_b32 exec_lo, exec_lo, s3
	s_delay_alu instid0(SALU_CYCLE_1)
	s_and_b32 s2, s2, exec_lo
.LBB10_117:
	s_and_not1_saveexec_b32 s1, s1
	s_cbranch_execnz .LBB10_125
.LBB10_118:
	s_or_b32 exec_lo, exec_lo, s1
	s_delay_alu instid0(SALU_CYCLE_1)
	s_and_b32 s1, s2, exec_lo
.LBB10_119:
	s_and_not1_saveexec_b32 s0, s0
	s_cbranch_execnz .LBB10_123
; %bb.120:
	s_or_b32 exec_lo, exec_lo, s0
	s_delay_alu instid0(SALU_CYCLE_1)
	s_and_b32 exec_lo, exec_lo, s1
.LBB10_121:
	; divergent unreachable
.LBB10_122:
	s_nop 0
	s_sendmsg sendmsg(MSG_DEALLOC_VGPRS)
	s_endpgm
.LBB10_123:
	s_cbranch_execnz .LBB10_127
; %bb.124:
	s_or_b32 s1, s1, exec_lo
	s_or_b32 exec_lo, exec_lo, s0
	s_delay_alu instid0(SALU_CYCLE_1)
	s_and_b32 exec_lo, exec_lo, s1
	s_cbranch_execnz .LBB10_121
	s_branch .LBB10_122
.LBB10_125:
	s_cbranch_execnz .LBB10_131
; %bb.126:
	s_or_b32 s2, s2, exec_lo
	s_branch .LBB10_118
.LBB10_127:
	s_trap 2
	s_sendmsg_rtn_b32 s0, sendmsg(MSG_RTN_GET_DOORBELL)
	s_mov_b32 ttmp2, m0
	s_waitcnt lgkmcnt(0)
	s_and_b32 s0, s0, 0x3ff
	s_delay_alu instid0(SALU_CYCLE_1) | instskip(NEXT) | instid1(SALU_CYCLE_1)
	s_bitset1_b32 s0, 10
	s_mov_b32 m0, s0
	s_sendmsg sendmsg(MSG_INTERRUPT)
	s_mov_b32 m0, ttmp2
.LBB10_128:                             ; =>This Inner Loop Header: Depth=1
	s_sethalt 5
	s_branch .LBB10_128
.LBB10_129:
	s_cbranch_execnz .LBB10_135
; %bb.130:
	s_or_b32 s2, s2, exec_lo
	s_branch .LBB10_116
.LBB10_131:
	s_trap 2
	s_sendmsg_rtn_b32 s0, sendmsg(MSG_RTN_GET_DOORBELL)
	s_mov_b32 ttmp2, m0
	s_waitcnt lgkmcnt(0)
	s_and_b32 s0, s0, 0x3ff
	s_delay_alu instid0(SALU_CYCLE_1) | instskip(NEXT) | instid1(SALU_CYCLE_1)
	s_bitset1_b32 s0, 10
	s_mov_b32 m0, s0
	s_sendmsg sendmsg(MSG_INTERRUPT)
	s_mov_b32 m0, ttmp2
.LBB10_132:                             ; =>This Inner Loop Header: Depth=1
	s_sethalt 5
	s_branch .LBB10_132
.LBB10_133:
	s_cbranch_execnz .LBB10_137
; %bb.134:
	s_mov_b32 s2, exec_lo
	s_branch .LBB10_114
.LBB10_135:
	s_trap 2
	s_sendmsg_rtn_b32 s0, sendmsg(MSG_RTN_GET_DOORBELL)
	s_mov_b32 ttmp2, m0
	s_waitcnt lgkmcnt(0)
	s_and_b32 s0, s0, 0x3ff
	s_delay_alu instid0(SALU_CYCLE_1) | instskip(NEXT) | instid1(SALU_CYCLE_1)
	s_bitset1_b32 s0, 10
	s_mov_b32 m0, s0
	s_sendmsg sendmsg(MSG_INTERRUPT)
	s_mov_b32 m0, ttmp2
.LBB10_136:                             ; =>This Inner Loop Header: Depth=1
	s_sethalt 5
	s_branch .LBB10_136
.LBB10_137:
	s_trap 2
	s_sendmsg_rtn_b32 s0, sendmsg(MSG_RTN_GET_DOORBELL)
	s_mov_b32 ttmp2, m0
	s_waitcnt lgkmcnt(0)
	s_and_b32 s0, s0, 0x3ff
	s_delay_alu instid0(SALU_CYCLE_1) | instskip(NEXT) | instid1(SALU_CYCLE_1)
	s_bitset1_b32 s0, 10
	s_mov_b32 m0, s0
	s_sendmsg sendmsg(MSG_INTERRUPT)
	s_mov_b32 m0, ttmp2
.LBB10_138:                             ; =>This Inner Loop Header: Depth=1
	s_sethalt 5
	s_branch .LBB10_138
	.section	.rodata,"a",@progbits
	.p2align	6, 0x0
	.amdhsa_kernel _ZN2at4cuda12_GLOBAL__N_121kernelPointwiseApply2IZNS_6native9templates4cuda28bernoulli_tensor_cuda_kernelIddEEvRKNS_10TensorBaseES9_NS_15PhiloxCudaStateEEUliRdSB_SB_SB_RKdSD_SD_SD_E_dSC_mLin1ELin1ELi4ELi512ELi2EEEvNS0_6detail10TensorInfoIT0_T2_EENSG_IT1_SI_EESI_T_
		.amdhsa_group_segment_fixed_size 0
		.amdhsa_private_segment_fixed_size 0
		.amdhsa_kernarg_size 1128
		.amdhsa_user_sgpr_count 15
		.amdhsa_user_sgpr_dispatch_ptr 0
		.amdhsa_user_sgpr_queue_ptr 0
		.amdhsa_user_sgpr_kernarg_segment_ptr 1
		.amdhsa_user_sgpr_dispatch_id 0
		.amdhsa_user_sgpr_private_segment_size 0
		.amdhsa_wavefront_size32 1
		.amdhsa_uses_dynamic_stack 0
		.amdhsa_enable_private_segment 0
		.amdhsa_system_sgpr_workgroup_id_x 1
		.amdhsa_system_sgpr_workgroup_id_y 0
		.amdhsa_system_sgpr_workgroup_id_z 0
		.amdhsa_system_sgpr_workgroup_info 0
		.amdhsa_system_vgpr_workitem_id 0
		.amdhsa_next_free_vgpr 48
		.amdhsa_next_free_sgpr 46
		.amdhsa_reserve_vcc 1
		.amdhsa_float_round_mode_32 0
		.amdhsa_float_round_mode_16_64 0
		.amdhsa_float_denorm_mode_32 3
		.amdhsa_float_denorm_mode_16_64 3
		.amdhsa_dx10_clamp 1
		.amdhsa_ieee_mode 1
		.amdhsa_fp16_overflow 0
		.amdhsa_workgroup_processor_mode 1
		.amdhsa_memory_ordered 1
		.amdhsa_forward_progress 0
		.amdhsa_shared_vgpr_count 0
		.amdhsa_exception_fp_ieee_invalid_op 0
		.amdhsa_exception_fp_denorm_src 0
		.amdhsa_exception_fp_ieee_div_zero 0
		.amdhsa_exception_fp_ieee_overflow 0
		.amdhsa_exception_fp_ieee_underflow 0
		.amdhsa_exception_fp_ieee_inexact 0
		.amdhsa_exception_int_div_zero 0
	.end_amdhsa_kernel
	.section	.text._ZN2at4cuda12_GLOBAL__N_121kernelPointwiseApply2IZNS_6native9templates4cuda28bernoulli_tensor_cuda_kernelIddEEvRKNS_10TensorBaseES9_NS_15PhiloxCudaStateEEUliRdSB_SB_SB_RKdSD_SD_SD_E_dSC_mLin1ELin1ELi4ELi512ELi2EEEvNS0_6detail10TensorInfoIT0_T2_EENSG_IT1_SI_EESI_T_,"axG",@progbits,_ZN2at4cuda12_GLOBAL__N_121kernelPointwiseApply2IZNS_6native9templates4cuda28bernoulli_tensor_cuda_kernelIddEEvRKNS_10TensorBaseES9_NS_15PhiloxCudaStateEEUliRdSB_SB_SB_RKdSD_SD_SD_E_dSC_mLin1ELin1ELi4ELi512ELi2EEEvNS0_6detail10TensorInfoIT0_T2_EENSG_IT1_SI_EESI_T_,comdat
.Lfunc_end10:
	.size	_ZN2at4cuda12_GLOBAL__N_121kernelPointwiseApply2IZNS_6native9templates4cuda28bernoulli_tensor_cuda_kernelIddEEvRKNS_10TensorBaseES9_NS_15PhiloxCudaStateEEUliRdSB_SB_SB_RKdSD_SD_SD_E_dSC_mLin1ELin1ELi4ELi512ELi2EEEvNS0_6detail10TensorInfoIT0_T2_EENSG_IT1_SI_EESI_T_, .Lfunc_end10-_ZN2at4cuda12_GLOBAL__N_121kernelPointwiseApply2IZNS_6native9templates4cuda28bernoulli_tensor_cuda_kernelIddEEvRKNS_10TensorBaseES9_NS_15PhiloxCudaStateEEUliRdSB_SB_SB_RKdSD_SD_SD_E_dSC_mLin1ELin1ELi4ELi512ELi2EEEvNS0_6detail10TensorInfoIT0_T2_EENSG_IT1_SI_EESI_T_
                                        ; -- End function
	.section	.AMDGPU.csdata,"",@progbits
; Kernel info:
; codeLenInByte = 12484
; NumSgprs: 48
; NumVgprs: 48
; ScratchSize: 0
; MemoryBound: 0
; FloatMode: 240
; IeeeMode: 1
; LDSByteSize: 0 bytes/workgroup (compile time only)
; SGPRBlocks: 5
; VGPRBlocks: 5
; NumSGPRsForWavesPerEU: 48
; NumVGPRsForWavesPerEU: 48
; Occupancy: 16
; WaveLimiterHint : 1
; COMPUTE_PGM_RSRC2:SCRATCH_EN: 0
; COMPUTE_PGM_RSRC2:USER_SGPR: 15
; COMPUTE_PGM_RSRC2:TRAP_HANDLER: 0
; COMPUTE_PGM_RSRC2:TGID_X_EN: 1
; COMPUTE_PGM_RSRC2:TGID_Y_EN: 0
; COMPUTE_PGM_RSRC2:TGID_Z_EN: 0
; COMPUTE_PGM_RSRC2:TIDIG_COMP_CNT: 0
	.section	.text._ZN2at4cuda12_GLOBAL__N_121kernelPointwiseApply2IZNS_6native9templates4cuda28bernoulli_tensor_cuda_kernelIhfEEvRKNS_10TensorBaseES9_NS_15PhiloxCudaStateEEUliRhSB_SB_SB_RKfSD_SD_SD_E_hSC_jLi1ELi1ELi4ELi512ELi2EEEvNS0_6detail10TensorInfoIT0_T2_EENSG_IT1_SI_EESI_T_,"axG",@progbits,_ZN2at4cuda12_GLOBAL__N_121kernelPointwiseApply2IZNS_6native9templates4cuda28bernoulli_tensor_cuda_kernelIhfEEvRKNS_10TensorBaseES9_NS_15PhiloxCudaStateEEUliRhSB_SB_SB_RKfSD_SD_SD_E_hSC_jLi1ELi1ELi4ELi512ELi2EEEvNS0_6detail10TensorInfoIT0_T2_EENSG_IT1_SI_EESI_T_,comdat
	.globl	_ZN2at4cuda12_GLOBAL__N_121kernelPointwiseApply2IZNS_6native9templates4cuda28bernoulli_tensor_cuda_kernelIhfEEvRKNS_10TensorBaseES9_NS_15PhiloxCudaStateEEUliRhSB_SB_SB_RKfSD_SD_SD_E_hSC_jLi1ELi1ELi4ELi512ELi2EEEvNS0_6detail10TensorInfoIT0_T2_EENSG_IT1_SI_EESI_T_ ; -- Begin function _ZN2at4cuda12_GLOBAL__N_121kernelPointwiseApply2IZNS_6native9templates4cuda28bernoulli_tensor_cuda_kernelIhfEEvRKNS_10TensorBaseES9_NS_15PhiloxCudaStateEEUliRhSB_SB_SB_RKfSD_SD_SD_E_hSC_jLi1ELi1ELi4ELi512ELi2EEEvNS0_6detail10TensorInfoIT0_T2_EENSG_IT1_SI_EESI_T_
	.p2align	8
	.type	_ZN2at4cuda12_GLOBAL__N_121kernelPointwiseApply2IZNS_6native9templates4cuda28bernoulli_tensor_cuda_kernelIhfEEvRKNS_10TensorBaseES9_NS_15PhiloxCudaStateEEUliRhSB_SB_SB_RKfSD_SD_SD_E_hSC_jLi1ELi1ELi4ELi512ELi2EEEvNS0_6detail10TensorInfoIT0_T2_EENSG_IT1_SI_EESI_T_,@function
_ZN2at4cuda12_GLOBAL__N_121kernelPointwiseApply2IZNS_6native9templates4cuda28bernoulli_tensor_cuda_kernelIhfEEvRKNS_10TensorBaseES9_NS_15PhiloxCudaStateEEUliRhSB_SB_SB_RKfSD_SD_SD_E_hSC_jLi1ELi1ELi4ELi512ELi2EEEvNS0_6detail10TensorInfoIT0_T2_EENSG_IT1_SI_EESI_T_: ; @_ZN2at4cuda12_GLOBAL__N_121kernelPointwiseApply2IZNS_6native9templates4cuda28bernoulli_tensor_cuda_kernelIhfEEvRKNS_10TensorBaseES9_NS_15PhiloxCudaStateEEUliRhSB_SB_SB_RKfSD_SD_SD_E_hSC_jLi1ELi1ELi4ELi512ELi2EEEvNS0_6detail10TensorInfoIT0_T2_EENSG_IT1_SI_EESI_T_
; %bb.0:
	s_clause 0x1
	s_load_b32 s4, s[0:1], 0x1e4
	s_load_b32 s12, s[0:1], 0x1b0
	s_add_u32 s2, s0, 0x1d8
	s_addc_u32 s3, s1, 0
	s_waitcnt lgkmcnt(0)
	s_and_b32 s14, s4, 0xffff
	s_mov_b32 s4, exec_lo
	v_mad_u64_u32 v[1:2], null, s15, s14, v[0:1]
	s_delay_alu instid0(VALU_DEP_1) | instskip(NEXT) | instid1(VALU_DEP_1)
	v_lshlrev_b32_e32 v0, 2, v1
	v_cmpx_gt_u32_e64 s12, v0
	s_cbranch_execz .LBB11_51
; %bb.1:
	s_load_b32 s15, s[2:3], 0x0
	s_clause 0x4
	s_load_b32 s17, s[0:1], 0x1d0
	s_load_b32 s16, s[0:1], 0x6c
	;; [unrolled: 1-line block ×3, first 2 shown]
	s_load_b64 s[2:3], s[0:1], 0x0
	s_load_b64 s[8:9], s[0:1], 0xd8
	v_mad_u64_u32 v[2:3], null, 0xcd9e8d57, v1, 0
	s_clause 0x1
	s_load_b64 s[10:11], s[0:1], 0x1c8
	s_load_b128 s[4:7], s[0:1], 0x1b8
	v_dual_mov_b32 v4, 0 :: v_dual_add_nc_u32 v9, 3, v0
	v_add_nc_u32_e32 v8, 2, v0
	v_sub_nc_u32_e32 v24, s12, v0
	s_mov_b32 s13, 0
	v_mov_b32_e32 v25, v3
	s_mov_b32 s21, 0
                                        ; implicit-def: $sgpr20
                                        ; implicit-def: $sgpr23
                                        ; implicit-def: $sgpr22
                                        ; implicit-def: $sgpr24
                                        ; implicit-def: $sgpr26
                                        ; implicit-def: $sgpr25
                                        ; implicit-def: $sgpr27
	s_waitcnt lgkmcnt(0)
	s_mul_i32 s0, s15, s14
	s_bitcmp1_b32 s17, 0
	v_mul_lo_u32 v3, s16, v1
	v_mul_lo_u32 v10, s18, v1
	v_mad_u64_u32 v[5:6], null, s16, v0, s[16:17]
	v_mul_lo_u32 v26, s16, v8
	v_mul_lo_u32 v27, s16, v9
	v_mad_u64_u32 v[6:7], null, s18, v0, s[18:19]
	v_mul_lo_u32 v29, s18, v8
	v_mul_lo_u32 v30, s18, v9
	v_lshlrev_b32_e32 v28, 2, v3
	v_lshlrev_b32_e32 v31, 2, v10
	s_mul_i32 s1, s0, s16
	s_cselect_b32 s15, -1, 0
	s_lshl_b32 s16, s0, 2
	s_mul_i32 s0, s0, s18
	s_lshl_b32 s17, s1, 2
	s_lshl_b32 s18, s0, 2
	s_mov_b32 s19, 0
                                        ; implicit-def: $sgpr14
	s_branch .LBB11_3
.LBB11_2:                               ;   in Loop: Header=BB11_3 Depth=1
	s_or_b32 exec_lo, exec_lo, s1
	s_delay_alu instid0(SALU_CYCLE_1) | instskip(NEXT) | instid1(SALU_CYCLE_1)
	s_and_b32 s0, exec_lo, s0
	s_or_b32 s13, s0, s13
	s_and_not1_b32 s0, s14, exec_lo
	s_and_b32 s1, s27, exec_lo
	s_and_not1_b32 s22, s22, exec_lo
	s_and_b32 s28, s25, exec_lo
	s_or_b32 s14, s0, s1
	s_or_b32 s22, s22, s28
	s_and_not1_b32 s0, s23, exec_lo
	s_and_b32 s1, s26, exec_lo
	s_and_not1_b32 s20, s20, exec_lo
	s_and_b32 s28, s24, exec_lo
	s_or_b32 s23, s0, s1
	s_or_b32 s20, s20, s28
	s_and_not1_b32 exec_lo, exec_lo, s13
	s_cbranch_execz .LBB11_39
.LBB11_3:                               ; =>This Inner Loop Header: Depth=1
	v_dual_mov_b32 v12, s7 :: v_dual_add_nc_u32 v3, s19, v30
	v_cmp_lt_i32_e64 s0, 3, v24
	v_dual_mov_b32 v11, s6 :: v_dual_mov_b32 v14, s5
	v_mov_b32_e32 v13, s4
	s_delay_alu instid0(VALU_DEP_3) | instskip(NEXT) | instid1(VALU_DEP_1)
	v_cndmask_b32_e64 v3, 0, v3, s0
	v_lshlrev_b64 v[7:8], 2, v[3:4]
	s_delay_alu instid0(VALU_DEP_1) | instskip(NEXT) | instid1(VALU_DEP_2)
	v_add_co_u32 v7, vcc_lo, s8, v7
	v_add_co_ci_u32_e32 v8, vcc_lo, s9, v8, vcc_lo
	s_and_not1_b32 vcc_lo, exec_lo, s15
	global_load_b32 v3, v[7:8], off
	s_cbranch_vccnz .LBB11_5
; %bb.4:                                ;   in Loop: Header=BB11_3 Depth=1
	v_dual_mov_b32 v8, s7 :: v_dual_mov_b32 v7, s6
	v_dual_mov_b32 v10, s5 :: v_dual_mov_b32 v9, s4
	flat_load_b64 v[7:8], v[7:8]
	flat_load_b64 v[13:14], v[9:10]
	s_waitcnt vmcnt(1) lgkmcnt(1)
	v_add_co_u32 v11, vcc_lo, v7, s10
	v_add_co_ci_u32_e32 v12, vcc_lo, s11, v8, vcc_lo
.LBB11_5:                               ;   in Loop: Header=BB11_3 Depth=1
	s_delay_alu instid0(VALU_DEP_1)
	v_alignbit_b32 v10, v12, v11, 2
	v_lshrrev_b32_e32 v9, 2, v12
	s_waitcnt vmcnt(0) lgkmcnt(0)
	v_add_nc_u32_e32 v33, 0xbb67ae85, v14
	v_add_nc_u32_e32 v34, 0x76cf5d0a, v14
	;; [unrolled: 1-line block ×3, first 2 shown]
	v_add_co_u32 v12, vcc_lo, v10, 1
	s_delay_alu instid0(VALU_DEP_1) | instskip(SKIP_4) | instid1(VALU_DEP_4)
	v_cndmask_b32_e64 v7, 0, 1, vcc_lo
	v_add_co_ci_u32_e32 v21, vcc_lo, 0, v9, vcc_lo
	v_xor3_b32 v17, v25, v13, v9
	v_add_nc_u32_e32 v36, 0x32370b8f, v14
	v_add_nc_u32_e32 v37, 0xed9eba14, v14
	v_cmp_eq_u32_e32 vcc_lo, 0, v21
	v_add_nc_u32_e32 v38, 0x1715609d, v13
	v_add_nc_u32_e32 v39, 0xa9066899, v14
	s_mov_b32 s1, exec_lo
	v_dual_cndmask_b32 v15, 0, v7 :: v_dual_add_nc_u32 v32, 0x9e3779b9, v13
	v_mad_u64_u32 v[7:8], null, 0xd2511f53, v12, 0
	s_delay_alu instid0(VALU_DEP_2) | instskip(NEXT) | instid1(VALU_DEP_2)
	v_add_nc_u32_e32 v12, v15, v1
	v_xor_b32_e32 v16, v8, v14
	s_delay_alu instid0(VALU_DEP_2) | instskip(SKIP_2) | instid1(VALU_DEP_1)
	v_cmp_eq_u32_e32 vcc_lo, 0, v12
	v_mad_u64_u32 v[8:9], null, 0xd2511f53, v10, 0
	v_cndmask_b32_e32 v15, 0, v15, vcc_lo
	v_xor_b32_e32 v10, v15, v16
	v_mad_u64_u32 v[15:16], null, 0xd2511f53, v17, 0
	v_mad_u64_u32 v[17:18], null, 0xcd9e8d57, v12, 0
	s_delay_alu instid0(VALU_DEP_3) | instskip(SKIP_3) | instid1(VALU_DEP_3)
	v_mad_u64_u32 v[19:20], null, 0xcd9e8d57, v10, 0
	v_xor_b32_e32 v10, v9, v14
	v_add_nc_u32_e32 v12, 0x3c6ef372, v13
	v_xor3_b32 v22, v33, v16, v8
	v_mad_u64_u32 v[8:9], null, 0xcd9e8d57, v10, 0
	v_xor3_b32 v10, v18, v13, v21
	v_xor3_b32 v18, v32, v20, v17
	s_delay_alu instid0(VALU_DEP_4) | instskip(NEXT) | instid1(VALU_DEP_3)
	v_mad_u64_u32 v[16:17], null, 0xcd9e8d57, v22, 0
	v_mad_u64_u32 v[20:21], null, 0xd2511f53, v10, 0
	s_delay_alu instid0(VALU_DEP_3) | instskip(SKIP_1) | instid1(VALU_DEP_4)
	v_mad_u64_u32 v[22:23], null, 0xd2511f53, v18, 0
	v_xor3_b32 v10, v2, v9, v32
	v_xor3_b32 v32, v12, v17, v8
	s_delay_alu instid0(VALU_DEP_4) | instskip(NEXT) | instid1(VALU_DEP_3)
	v_xor3_b32 v7, v33, v21, v7
	v_mad_u64_u32 v[8:9], null, 0xd2511f53, v10, 0
	v_xor3_b32 v10, v34, v23, v20
	s_delay_alu instid0(VALU_DEP_4) | instskip(NEXT) | instid1(VALU_DEP_4)
	v_mad_u64_u32 v[17:18], null, 0xd2511f53, v32, 0
	v_mad_u64_u32 v[20:21], null, 0xcd9e8d57, v7, 0
	s_delay_alu instid0(VALU_DEP_3) | instskip(SKIP_4) | instid1(VALU_DEP_4)
	v_mad_u64_u32 v[32:33], null, 0xcd9e8d57, v10, 0
	v_xor3_b32 v9, v34, v9, v15
	v_add_nc_u32_e32 v23, 0x78dde6e4, v13
	v_xor3_b32 v15, v36, v18, v8
	v_xor3_b32 v12, v12, v21, v19
	v_mad_u64_u32 v[7:8], null, 0xcd9e8d57, v9, 0
	v_xor3_b32 v33, v35, v33, v20
	s_delay_alu instid0(VALU_DEP_4) | instskip(NEXT) | instid1(VALU_DEP_4)
	v_mad_u64_u32 v[9:10], null, 0xcd9e8d57, v15, 0
	v_mad_u64_u32 v[18:19], null, 0xd2511f53, v12, 0
	s_delay_alu instid0(VALU_DEP_3) | instskip(SKIP_1) | instid1(VALU_DEP_4)
	v_mad_u64_u32 v[20:21], null, 0xd2511f53, v33, 0
	v_xor3_b32 v12, v35, v8, v16
	v_xor3_b32 v10, v23, v10, v7
	s_delay_alu instid0(VALU_DEP_2) | instskip(SKIP_2) | instid1(VALU_DEP_4)
	v_mad_u64_u32 v[7:8], null, 0xd2511f53, v12, 0
	v_xor3_b32 v12, v36, v19, v22
	v_xor3_b32 v18, v37, v21, v18
	v_mad_u64_u32 v[21:22], null, 0xd2511f53, v10, 0
	s_delay_alu instid0(VALU_DEP_3) | instskip(NEXT) | instid1(VALU_DEP_3)
	v_mad_u64_u32 v[15:16], null, 0xcd9e8d57, v12, 0
	v_mad_u64_u32 v[33:34], null, 0xcd9e8d57, v18, 0
	v_xor3_b32 v10, v37, v8, v17
	s_delay_alu instid0(VALU_DEP_4) | instskip(SKIP_2) | instid1(VALU_DEP_4)
	v_xor3_b32 v18, v39, v22, v7
	v_add_nc_u32_e32 v12, 0xb54cda56, v13
	v_add_nc_u32_e32 v17, 0x646e171e, v14
	v_mad_u64_u32 v[7:8], null, 0xcd9e8d57, v10, 0
	v_xor3_b32 v10, v23, v16, v32
	v_xor3_b32 v19, v38, v34, v15
	v_mad_u64_u32 v[34:35], null, 0xcd9e8d57, v18, 0
	v_add_nc_u32_e32 v23, 0x5384540f, v13
	s_delay_alu instid0(VALU_DEP_4) | instskip(NEXT) | instid1(VALU_DEP_4)
	v_mad_u64_u32 v[15:16], null, 0xd2511f53, v10, 0
	v_mad_u64_u32 v[36:37], null, 0xd2511f53, v19, 0
	v_xor3_b32 v9, v38, v8, v9
	v_xor3_b32 v10, v12, v35, v7
	v_add_nc_u32_e32 v38, 0x1fd5c5a3, v14
	v_add_co_u32 v32, null, 0xf1bbcdc8, v13
	v_xor3_b32 v18, v39, v16, v20
	v_xor3_b32 v20, v17, v37, v15
	v_mad_u64_u32 v[7:8], null, 0xd2511f53, v9, 0
	v_mad_u64_u32 v[15:16], null, 0xd2511f53, v10, 0
	s_delay_alu instid0(VALU_DEP_4) | instskip(NEXT) | instid1(VALU_DEP_4)
	v_mad_u64_u32 v[9:10], null, 0xcd9e8d57, v18, 0
	v_mad_u64_u32 v[18:19], null, 0xcd9e8d57, v20, 0
	s_delay_alu instid0(VALU_DEP_4) | instskip(NEXT) | instid1(VALU_DEP_4)
	v_xor3_b32 v17, v17, v8, v21
	v_xor3_b32 v20, v38, v16, v7
	s_delay_alu instid0(VALU_DEP_4) | instskip(NEXT) | instid1(VALU_DEP_3)
	v_xor3_b32 v12, v12, v10, v33
	v_mad_u64_u32 v[7:8], null, 0xcd9e8d57, v17, 0
	v_xor3_b32 v19, v23, v19, v9
	s_delay_alu instid0(VALU_DEP_4) | instskip(NEXT) | instid1(VALU_DEP_4)
	v_mad_u64_u32 v[16:17], null, 0xcd9e8d57, v20, 0
	v_mad_u64_u32 v[9:10], null, 0xd2511f53, v12, 0
	s_delay_alu instid0(VALU_DEP_3)
	v_mad_u64_u32 v[21:22], null, 0xd2511f53, v19, 0
	v_add_nc_u32_e32 v33, 0xdb3d7428, v14
	v_xor3_b32 v8, v23, v8, v34
	v_xor3_b32 v12, v32, v17, v7
	v_add_nc_u32_e32 v34, 0x96a522ad, v14
	v_xor3_b32 v10, v38, v10, v36
	v_and_b32_e32 v14, 3, v11
	v_xor3_b32 v17, v33, v22, v9
	v_mad_u64_u32 v[19:20], null, 0xd2511f53, v8, 0
	v_mad_u64_u32 v[7:8], null, 0xd2511f53, v12, 0
	;; [unrolled: 1-line block ×3, first 2 shown]
	s_delay_alu instid0(VALU_DEP_4) | instskip(SKIP_1) | instid1(VALU_DEP_4)
	v_mad_u64_u32 v[9:10], null, 0xcd9e8d57, v17, 0
	v_add_nc_u32_e32 v17, 0x8ff34781, v13
                                        ; implicit-def: $vgpr12
	v_xor3_b32 v13, v8, v19, v34
	s_delay_alu instid0(VALU_DEP_2)
	v_xor3_b32 v8, v10, v22, v17
	v_cmpx_lt_i32_e32 1, v14
	s_xor_b32 s1, exec_lo, s1
	s_cbranch_execz .LBB11_11
; %bb.6:                                ;   in Loop: Header=BB11_3 Depth=1
	s_mov_b32 s28, exec_lo
                                        ; implicit-def: $vgpr12
	v_cmpx_lt_i32_e32 2, v14
	s_xor_b32 s28, exec_lo, s28
; %bb.7:                                ;   in Loop: Header=BB11_3 Depth=1
	v_xor3_b32 v10, v32, v23, v18
                                        ; implicit-def: $vgpr13
	s_delay_alu instid0(VALU_DEP_1) | instskip(NEXT) | instid1(VALU_DEP_1)
	v_mul_hi_u32 v10, 0xd2511f53, v10
	v_xor3_b32 v12, v10, v21, v34
; %bb.8:                                ;   in Loop: Header=BB11_3 Depth=1
	s_and_not1_saveexec_b32 s28, s28
; %bb.9:                                ;   in Loop: Header=BB11_3 Depth=1
	v_dual_mov_b32 v12, v9 :: v_dual_mov_b32 v9, v8
	v_dual_mov_b32 v8, v7 :: v_dual_mov_b32 v7, v13
; %bb.10:                               ;   in Loop: Header=BB11_3 Depth=1
	s_or_b32 exec_lo, exec_lo, s28
                                        ; implicit-def: $vgpr15_vgpr16
                                        ; implicit-def: $vgpr14
                                        ; implicit-def: $vgpr13
                                        ; implicit-def: $vgpr33
                                        ; implicit-def: $vgpr19_vgpr20
                                        ; implicit-def: $vgpr16_vgpr17
                                        ; implicit-def: $vgpr17
.LBB11_11:                              ;   in Loop: Header=BB11_3 Depth=1
	s_and_not1_saveexec_b32 s1, s1
	s_cbranch_execz .LBB11_15
; %bb.12:                               ;   in Loop: Header=BB11_3 Depth=1
	v_xor3_b32 v9, v33, v20, v15
	v_cmp_eq_u32_e32 vcc_lo, 1, v14
	v_mov_b32_e32 v12, v7
	s_delay_alu instid0(VALU_DEP_3) | instskip(SKIP_1) | instid1(VALU_DEP_2)
	v_mad_u64_u32 v[10:11], null, 0xcd9e8d57, v9, 0
	v_mov_b32_e32 v9, v13
	v_xor3_b32 v14, v11, v16, v17
	s_delay_alu instid0(VALU_DEP_3)
	v_mov_b32_e32 v11, v10
	s_and_saveexec_b32 s28, vcc_lo
; %bb.13:                               ;   in Loop: Header=BB11_3 Depth=1
	v_dual_mov_b32 v12, v8 :: v_dual_mov_b32 v9, v7
	v_dual_mov_b32 v11, v13 :: v_dual_mov_b32 v14, v10
; %bb.14:                               ;   in Loop: Header=BB11_3 Depth=1
	s_or_b32 exec_lo, exec_lo, s28
	s_delay_alu instid0(VALU_DEP_1)
	v_dual_mov_b32 v7, v14 :: v_dual_mov_b32 v8, v11
.LBB11_15:                              ;   in Loop: Header=BB11_3 Depth=1
	s_or_b32 exec_lo, exec_lo, s1
	v_min_i32_e32 v10, 4, v24
	s_mov_b32 s28, 0
	s_mov_b32 s1, 0
	s_mov_b32 s33, exec_lo
                                        ; implicit-def: $sgpr29
                                        ; implicit-def: $sgpr30
                                        ; implicit-def: $sgpr31
	s_delay_alu instid0(VALU_DEP_1)
	v_cmpx_lt_i32_e32 2, v10
	s_xor_b32 s33, exec_lo, s33
	s_cbranch_execz .LBB11_25
; %bb.16:                               ;   in Loop: Header=BB11_3 Depth=1
	s_mov_b32 s1, -1
	s_mov_b32 s30, exec_lo
                                        ; implicit-def: $sgpr29
                                        ; implicit-def: $sgpr34
	v_cmpx_lt_i32_e32 3, v10
	s_cbranch_execz .LBB11_20
; %bb.17:                               ;   in Loop: Header=BB11_3 Depth=1
	v_cmp_le_f32_e32 vcc_lo, 0, v3
	v_cmp_ge_f32_e64 s1, 1.0, v3
	s_mov_b32 s29, 0
	s_delay_alu instid0(VALU_DEP_1)
	s_and_b32 s34, vcc_lo, s1
	s_mov_b32 s1, 0
	s_and_saveexec_b32 s31, s34
	s_cbranch_execz .LBB11_19
; %bb.18:                               ;   in Loop: Header=BB11_3 Depth=1
	v_cvt_f32_u32_e32 v11, v12
	v_add_nc_u32_e32 v12, s21, v27
	s_mov_b32 s1, exec_lo
	s_delay_alu instid0(VALU_DEP_2) | instskip(NEXT) | instid1(VALU_DEP_2)
	v_fmaak_f32 v11, 0x2f800000, v11, 0x2f800000
	v_cndmask_b32_e64 v12, 0, v12, s0
	s_delay_alu instid0(VALU_DEP_2)
	v_cmp_le_f32_e32 vcc_lo, v11, v3
	v_cndmask_b32_e64 v3, 0, 1, vcc_lo
	global_store_b8 v12, v3, s[2:3]
.LBB11_19:                              ;   in Loop: Header=BB11_3 Depth=1
	s_or_b32 exec_lo, exec_lo, s31
	s_mov_b32 s34, -1
	s_or_not1_b32 s1, s1, exec_lo
.LBB11_20:                              ;   in Loop: Header=BB11_3 Depth=1
	s_or_b32 exec_lo, exec_lo, s30
	s_mov_b32 s0, 0
	s_mov_b32 s35, s29
	s_and_saveexec_b32 s30, s1
	s_cbranch_execz .LBB11_24
; %bb.21:                               ;   in Loop: Header=BB11_3 Depth=1
	v_add_nc_u32_e32 v3, s19, v29
	v_cmp_lt_i32_e32 vcc_lo, 2, v24
	s_mov_b32 s31, 0
	s_delay_alu instid0(VALU_DEP_2) | instskip(NEXT) | instid1(VALU_DEP_1)
	v_cndmask_b32_e32 v3, 0, v3, vcc_lo
	v_lshlrev_b64 v[11:12], 2, v[3:4]
	s_delay_alu instid0(VALU_DEP_1) | instskip(NEXT) | instid1(VALU_DEP_1)
	v_add_co_u32 v11, s0, s8, v11
	v_add_co_ci_u32_e64 v12, s0, s9, v12, s0
	global_load_b32 v3, v[11:12], off
	s_waitcnt vmcnt(0)
	v_cmp_le_f32_e64 s0, 0, v3
	v_cmp_ge_f32_e64 s1, 1.0, v3
	s_delay_alu instid0(VALU_DEP_1) | instskip(NEXT) | instid1(SALU_CYCLE_1)
	s_and_b32 s0, s0, s1
	s_and_saveexec_b32 s1, s0
	s_delay_alu instid0(SALU_CYCLE_1)
	s_xor_b32 s0, exec_lo, s1
	s_cbranch_execz .LBB11_23
; %bb.22:                               ;   in Loop: Header=BB11_3 Depth=1
	v_cvt_f32_u32_e32 v9, v9
	v_add_nc_u32_e32 v11, s21, v26
	s_mov_b32 s31, exec_lo
	s_delay_alu instid0(VALU_DEP_2) | instskip(NEXT) | instid1(VALU_DEP_2)
	v_fmaak_f32 v9, 0x2f800000, v9, 0x2f800000
	v_cndmask_b32_e32 v11, 0, v11, vcc_lo
	s_delay_alu instid0(VALU_DEP_2)
	v_cmp_le_f32_e32 vcc_lo, v9, v3
	v_cndmask_b32_e64 v3, 0, 1, vcc_lo
	global_store_b8 v11, v3, s[2:3]
.LBB11_23:                              ;   in Loop: Header=BB11_3 Depth=1
	s_or_b32 exec_lo, exec_lo, s0
	s_delay_alu instid0(SALU_CYCLE_1)
	s_and_not1_b32 s35, s29, exec_lo
	s_or_b32 s29, s29, exec_lo
	s_and_not1_b32 s34, s34, exec_lo
	s_and_b32 s0, s31, exec_lo
.LBB11_24:                              ;   in Loop: Header=BB11_3 Depth=1
	s_or_b32 exec_lo, exec_lo, s30
	s_delay_alu instid0(SALU_CYCLE_1)
	s_and_b32 s31, s35, exec_lo
	s_and_b32 s30, s29, exec_lo
	;; [unrolled: 1-line block ×4, first 2 shown]
.LBB11_25:                              ;   in Loop: Header=BB11_3 Depth=1
	s_and_not1_saveexec_b32 s0, s33
; %bb.26:                               ;   in Loop: Header=BB11_3 Depth=1
	v_cmp_lt_i32_e32 vcc_lo, 1, v10
	s_and_not1_b32 s1, s1, exec_lo
	s_mov_b32 s28, exec_lo
	s_and_not1_b32 s31, s31, exec_lo
	s_and_not1_b32 s30, s30, exec_lo
	s_and_b32 s33, vcc_lo, exec_lo
	s_and_not1_b32 s29, s29, exec_lo
	s_or_b32 s1, s1, s33
; %bb.27:                               ;   in Loop: Header=BB11_3 Depth=1
	s_or_b32 exec_lo, exec_lo, s0
	s_mov_b32 s33, 0
	s_mov_b32 s0, 0
	s_mov_b32 s34, s31
	s_and_saveexec_b32 s35, s1
	s_cbranch_execnz .LBB11_30
; %bb.28:                               ;   in Loop: Header=BB11_3 Depth=1
	s_or_b32 exec_lo, exec_lo, s35
	s_and_saveexec_b32 s1, s28
	s_cbranch_execnz .LBB11_33
.LBB11_29:                              ;   in Loop: Header=BB11_3 Depth=1
	s_or_b32 exec_lo, exec_lo, s1
	s_and_saveexec_b32 s28, s0
	s_cbranch_execnz .LBB11_34
	s_branch .LBB11_37
.LBB11_30:                              ;   in Loop: Header=BB11_3 Depth=1
	v_add_nc_u32_e32 v3, s19, v6
	v_cmp_lt_i32_e32 vcc_lo, 1, v24
	s_mov_b32 s36, 0
	s_delay_alu instid0(VALU_DEP_2) | instskip(NEXT) | instid1(VALU_DEP_1)
	v_cndmask_b32_e32 v3, 0, v3, vcc_lo
	v_lshlrev_b64 v[11:12], 2, v[3:4]
	s_delay_alu instid0(VALU_DEP_1) | instskip(NEXT) | instid1(VALU_DEP_1)
	v_add_co_u32 v11, s0, s8, v11
	v_add_co_ci_u32_e64 v12, s0, s9, v12, s0
	global_load_b32 v3, v[11:12], off
	s_waitcnt vmcnt(0)
	v_cmp_le_f32_e64 s0, 0, v3
	v_cmp_ge_f32_e64 s1, 1.0, v3
	s_delay_alu instid0(VALU_DEP_1) | instskip(NEXT) | instid1(SALU_CYCLE_1)
	s_and_b32 s0, s0, s1
	s_and_saveexec_b32 s1, s0
	s_delay_alu instid0(SALU_CYCLE_1)
	s_xor_b32 s0, exec_lo, s1
	s_cbranch_execz .LBB11_32
; %bb.31:                               ;   in Loop: Header=BB11_3 Depth=1
	v_cvt_f32_u32_e32 v8, v8
	v_add_nc_u32_e32 v9, s21, v5
	s_mov_b32 s36, exec_lo
	s_delay_alu instid0(VALU_DEP_1) | instskip(NEXT) | instid1(VALU_DEP_1)
	v_dual_fmaak_f32 v8, 0x2f800000, v8, 0x2f800000 :: v_dual_cndmask_b32 v9, 0, v9
	v_cmp_le_f32_e32 vcc_lo, v8, v3
	v_cndmask_b32_e64 v3, 0, 1, vcc_lo
	global_store_b8 v9, v3, s[2:3]
.LBB11_32:                              ;   in Loop: Header=BB11_3 Depth=1
	s_or_b32 exec_lo, exec_lo, s0
	s_delay_alu instid0(SALU_CYCLE_1)
	s_and_not1_b32 s34, s31, exec_lo
	s_or_b32 s31, s31, exec_lo
	s_and_not1_b32 s30, s30, exec_lo
	s_and_not1_b32 s29, s29, exec_lo
	s_and_b32 s0, s36, exec_lo
	s_and_not1_b32 s28, s28, exec_lo
	s_or_b32 exec_lo, exec_lo, s35
	s_and_saveexec_b32 s1, s28
	s_cbranch_execz .LBB11_29
.LBB11_33:                              ;   in Loop: Header=BB11_3 Depth=1
	v_cmp_eq_u32_e32 vcc_lo, 1, v10
	s_and_not1_b32 s0, s0, exec_lo
	s_mov_b32 s33, exec_lo
	s_and_not1_b32 s34, s34, exec_lo
	s_and_not1_b32 s31, s31, exec_lo
	s_and_b32 s28, vcc_lo, exec_lo
	s_and_not1_b32 s30, s30, exec_lo
	s_and_not1_b32 s29, s29, exec_lo
	s_or_b32 s0, s0, s28
	s_or_b32 exec_lo, exec_lo, s1
	s_and_saveexec_b32 s28, s0
	s_cbranch_execz .LBB11_37
.LBB11_34:                              ;   in Loop: Header=BB11_3 Depth=1
	v_add_nc_u32_e32 v3, s19, v31
	v_cmp_lt_i32_e32 vcc_lo, 0, v24
	s_mov_b32 s35, 0
	s_delay_alu instid0(VALU_DEP_2) | instskip(NEXT) | instid1(VALU_DEP_1)
	v_cndmask_b32_e32 v3, 0, v3, vcc_lo
	v_lshlrev_b64 v[8:9], 2, v[3:4]
	s_delay_alu instid0(VALU_DEP_1) | instskip(NEXT) | instid1(VALU_DEP_1)
	v_add_co_u32 v8, s0, s8, v8
	v_add_co_ci_u32_e64 v9, s0, s9, v9, s0
	global_load_b32 v3, v[8:9], off
	s_waitcnt vmcnt(0)
	v_cmp_le_f32_e64 s0, 0, v3
	v_cmp_ge_f32_e64 s1, 1.0, v3
	s_delay_alu instid0(VALU_DEP_1) | instskip(NEXT) | instid1(SALU_CYCLE_1)
	s_and_b32 s1, s0, s1
	s_and_saveexec_b32 s0, s1
	s_cbranch_execz .LBB11_36
; %bb.35:                               ;   in Loop: Header=BB11_3 Depth=1
	v_cvt_f32_u32_e32 v7, v7
	v_add_nc_u32_e32 v8, s21, v28
	s_mov_b32 s35, exec_lo
	s_delay_alu instid0(VALU_DEP_1) | instskip(NEXT) | instid1(VALU_DEP_1)
	v_dual_fmaak_f32 v7, 0x2f800000, v7, 0x2f800000 :: v_dual_cndmask_b32 v8, 0, v8
	v_cmp_le_f32_e32 vcc_lo, v7, v3
	v_cndmask_b32_e64 v3, 0, 1, vcc_lo
	global_store_b8 v8, v3, s[2:3]
.LBB11_36:                              ;   in Loop: Header=BB11_3 Depth=1
	s_or_b32 exec_lo, exec_lo, s0
	s_delay_alu instid0(SALU_CYCLE_1)
	s_and_not1_b32 s0, s33, exec_lo
	s_and_b32 s1, s35, exec_lo
	s_or_b32 s34, s34, exec_lo
	s_and_not1_b32 s31, s31, exec_lo
	s_and_not1_b32 s30, s30, exec_lo
	s_and_not1_b32 s29, s29, exec_lo
	s_or_b32 s33, s0, s1
.LBB11_37:                              ;   in Loop: Header=BB11_3 Depth=1
	s_or_b32 exec_lo, exec_lo, s28
	s_delay_alu instid0(SALU_CYCLE_1)
	s_and_not1_b32 s1, s27, exec_lo
	s_and_b32 s27, s34, exec_lo
	s_and_not1_b32 s25, s25, exec_lo
	s_and_b32 s28, s31, exec_lo
	s_or_b32 s27, s1, s27
	s_or_b32 s25, s25, s28
	s_and_not1_b32 s1, s26, exec_lo
	s_and_b32 s26, s30, exec_lo
	s_and_not1_b32 s24, s24, exec_lo
	s_and_b32 s28, s29, exec_lo
	s_mov_b32 s0, -1
	s_or_b32 s26, s1, s26
	s_or_b32 s24, s24, s28
	s_and_saveexec_b32 s1, s33
	s_cbranch_execz .LBB11_2
; %bb.38:                               ;   in Loop: Header=BB11_3 Depth=1
	v_add_nc_u32_e32 v0, s16, v0
	v_subrev_nc_u32_e32 v24, s16, v24
	s_add_i32 s21, s21, s17
	s_add_i32 s19, s19, s18
	s_and_not1_b32 s27, s27, exec_lo
	v_cmp_le_u32_e32 vcc_lo, s12, v0
	s_and_not1_b32 s25, s25, exec_lo
	s_and_not1_b32 s26, s26, exec_lo
	;; [unrolled: 1-line block ×3, first 2 shown]
	s_or_not1_b32 s0, vcc_lo, exec_lo
	s_branch .LBB11_2
.LBB11_39:
	s_or_b32 exec_lo, exec_lo, s13
	s_xor_b32 s3, s22, -1
	s_xor_b32 s4, s23, -1
	;; [unrolled: 1-line block ×3, first 2 shown]
	s_mov_b32 s1, 0
	s_and_saveexec_b32 s2, s0
	s_delay_alu instid0(SALU_CYCLE_1)
	s_xor_b32 s0, exec_lo, s2
	s_cbranch_execz .LBB11_48
; %bb.40:
	s_mov_b32 s2, 0
	s_and_saveexec_b32 s1, s4
	s_delay_alu instid0(SALU_CYCLE_1)
	s_xor_b32 s1, exec_lo, s1
	s_cbranch_execz .LBB11_46
; %bb.41:
	s_and_saveexec_b32 s4, s3
	s_delay_alu instid0(SALU_CYCLE_1)
	s_xor_b32 s3, exec_lo, s4
	s_cbranch_execz .LBB11_44
; %bb.42:
	s_and_saveexec_b32 s4, s14
	s_delay_alu instid0(SALU_CYCLE_1)
	s_xor_b32 s4, exec_lo, s4
	s_cbranch_execnz .LBB11_62
.LBB11_43:
	s_or_b32 exec_lo, exec_lo, s4
	s_delay_alu instid0(SALU_CYCLE_1)
	s_and_b32 s2, s2, exec_lo
.LBB11_44:
	s_and_not1_saveexec_b32 s3, s3
	s_cbranch_execnz .LBB11_58
.LBB11_45:
	s_or_b32 exec_lo, exec_lo, s3
	s_delay_alu instid0(SALU_CYCLE_1)
	s_and_b32 s2, s2, exec_lo
.LBB11_46:
	s_and_not1_saveexec_b32 s1, s1
	s_cbranch_execnz .LBB11_54
.LBB11_47:
	s_or_b32 exec_lo, exec_lo, s1
	s_delay_alu instid0(SALU_CYCLE_1)
	s_and_b32 s1, s2, exec_lo
.LBB11_48:
	s_and_not1_saveexec_b32 s0, s0
	s_cbranch_execnz .LBB11_52
; %bb.49:
	s_or_b32 exec_lo, exec_lo, s0
	s_delay_alu instid0(SALU_CYCLE_1)
	s_and_b32 exec_lo, exec_lo, s1
.LBB11_50:
	; divergent unreachable
.LBB11_51:
	s_nop 0
	s_sendmsg sendmsg(MSG_DEALLOC_VGPRS)
	s_endpgm
.LBB11_52:
	s_cbranch_execnz .LBB11_56
; %bb.53:
	s_or_b32 s1, s1, exec_lo
	s_or_b32 exec_lo, exec_lo, s0
	s_delay_alu instid0(SALU_CYCLE_1)
	s_and_b32 exec_lo, exec_lo, s1
	s_cbranch_execnz .LBB11_50
	s_branch .LBB11_51
.LBB11_54:
	s_cbranch_execnz .LBB11_60
; %bb.55:
	s_or_b32 s2, s2, exec_lo
	s_branch .LBB11_47
.LBB11_56:
	s_trap 2
	s_sendmsg_rtn_b32 s0, sendmsg(MSG_RTN_GET_DOORBELL)
	s_mov_b32 ttmp2, m0
	s_waitcnt lgkmcnt(0)
	s_and_b32 s0, s0, 0x3ff
	s_delay_alu instid0(SALU_CYCLE_1) | instskip(NEXT) | instid1(SALU_CYCLE_1)
	s_bitset1_b32 s0, 10
	s_mov_b32 m0, s0
	s_sendmsg sendmsg(MSG_INTERRUPT)
	s_mov_b32 m0, ttmp2
.LBB11_57:                              ; =>This Inner Loop Header: Depth=1
	s_sethalt 5
	s_branch .LBB11_57
.LBB11_58:
	s_cbranch_execnz .LBB11_64
; %bb.59:
	s_or_b32 s2, s2, exec_lo
	s_branch .LBB11_45
.LBB11_60:
	s_trap 2
	s_sendmsg_rtn_b32 s0, sendmsg(MSG_RTN_GET_DOORBELL)
	s_mov_b32 ttmp2, m0
	s_waitcnt lgkmcnt(0)
	s_and_b32 s0, s0, 0x3ff
	s_delay_alu instid0(SALU_CYCLE_1) | instskip(NEXT) | instid1(SALU_CYCLE_1)
	s_bitset1_b32 s0, 10
	s_mov_b32 m0, s0
	s_sendmsg sendmsg(MSG_INTERRUPT)
	s_mov_b32 m0, ttmp2
.LBB11_61:                              ; =>This Inner Loop Header: Depth=1
	s_sethalt 5
	s_branch .LBB11_61
.LBB11_62:
	s_cbranch_execnz .LBB11_66
; %bb.63:
	s_mov_b32 s2, exec_lo
	s_branch .LBB11_43
.LBB11_64:
	s_trap 2
	s_sendmsg_rtn_b32 s0, sendmsg(MSG_RTN_GET_DOORBELL)
	s_mov_b32 ttmp2, m0
	s_waitcnt lgkmcnt(0)
	s_and_b32 s0, s0, 0x3ff
	s_delay_alu instid0(SALU_CYCLE_1) | instskip(NEXT) | instid1(SALU_CYCLE_1)
	s_bitset1_b32 s0, 10
	s_mov_b32 m0, s0
	s_sendmsg sendmsg(MSG_INTERRUPT)
	s_mov_b32 m0, ttmp2
.LBB11_65:                              ; =>This Inner Loop Header: Depth=1
	s_sethalt 5
	s_branch .LBB11_65
.LBB11_66:
	s_trap 2
	s_sendmsg_rtn_b32 s0, sendmsg(MSG_RTN_GET_DOORBELL)
	s_mov_b32 ttmp2, m0
	s_waitcnt lgkmcnt(0)
	s_and_b32 s0, s0, 0x3ff
	s_delay_alu instid0(SALU_CYCLE_1) | instskip(NEXT) | instid1(SALU_CYCLE_1)
	s_bitset1_b32 s0, 10
	s_mov_b32 m0, s0
	s_sendmsg sendmsg(MSG_INTERRUPT)
	s_mov_b32 m0, ttmp2
.LBB11_67:                              ; =>This Inner Loop Header: Depth=1
	s_sethalt 5
	s_branch .LBB11_67
	.section	.rodata,"a",@progbits
	.p2align	6, 0x0
	.amdhsa_kernel _ZN2at4cuda12_GLOBAL__N_121kernelPointwiseApply2IZNS_6native9templates4cuda28bernoulli_tensor_cuda_kernelIhfEEvRKNS_10TensorBaseES9_NS_15PhiloxCudaStateEEUliRhSB_SB_SB_RKfSD_SD_SD_E_hSC_jLi1ELi1ELi4ELi512ELi2EEEvNS0_6detail10TensorInfoIT0_T2_EENSG_IT1_SI_EESI_T_
		.amdhsa_group_segment_fixed_size 0
		.amdhsa_private_segment_fixed_size 0
		.amdhsa_kernarg_size 728
		.amdhsa_user_sgpr_count 15
		.amdhsa_user_sgpr_dispatch_ptr 0
		.amdhsa_user_sgpr_queue_ptr 0
		.amdhsa_user_sgpr_kernarg_segment_ptr 1
		.amdhsa_user_sgpr_dispatch_id 0
		.amdhsa_user_sgpr_private_segment_size 0
		.amdhsa_wavefront_size32 1
		.amdhsa_uses_dynamic_stack 0
		.amdhsa_enable_private_segment 0
		.amdhsa_system_sgpr_workgroup_id_x 1
		.amdhsa_system_sgpr_workgroup_id_y 0
		.amdhsa_system_sgpr_workgroup_id_z 0
		.amdhsa_system_sgpr_workgroup_info 0
		.amdhsa_system_vgpr_workitem_id 0
		.amdhsa_next_free_vgpr 40
		.amdhsa_next_free_sgpr 37
		.amdhsa_reserve_vcc 1
		.amdhsa_float_round_mode_32 0
		.amdhsa_float_round_mode_16_64 0
		.amdhsa_float_denorm_mode_32 3
		.amdhsa_float_denorm_mode_16_64 3
		.amdhsa_dx10_clamp 1
		.amdhsa_ieee_mode 1
		.amdhsa_fp16_overflow 0
		.amdhsa_workgroup_processor_mode 1
		.amdhsa_memory_ordered 1
		.amdhsa_forward_progress 0
		.amdhsa_shared_vgpr_count 0
		.amdhsa_exception_fp_ieee_invalid_op 0
		.amdhsa_exception_fp_denorm_src 0
		.amdhsa_exception_fp_ieee_div_zero 0
		.amdhsa_exception_fp_ieee_overflow 0
		.amdhsa_exception_fp_ieee_underflow 0
		.amdhsa_exception_fp_ieee_inexact 0
		.amdhsa_exception_int_div_zero 0
	.end_amdhsa_kernel
	.section	.text._ZN2at4cuda12_GLOBAL__N_121kernelPointwiseApply2IZNS_6native9templates4cuda28bernoulli_tensor_cuda_kernelIhfEEvRKNS_10TensorBaseES9_NS_15PhiloxCudaStateEEUliRhSB_SB_SB_RKfSD_SD_SD_E_hSC_jLi1ELi1ELi4ELi512ELi2EEEvNS0_6detail10TensorInfoIT0_T2_EENSG_IT1_SI_EESI_T_,"axG",@progbits,_ZN2at4cuda12_GLOBAL__N_121kernelPointwiseApply2IZNS_6native9templates4cuda28bernoulli_tensor_cuda_kernelIhfEEvRKNS_10TensorBaseES9_NS_15PhiloxCudaStateEEUliRhSB_SB_SB_RKfSD_SD_SD_E_hSC_jLi1ELi1ELi4ELi512ELi2EEEvNS0_6detail10TensorInfoIT0_T2_EENSG_IT1_SI_EESI_T_,comdat
.Lfunc_end11:
	.size	_ZN2at4cuda12_GLOBAL__N_121kernelPointwiseApply2IZNS_6native9templates4cuda28bernoulli_tensor_cuda_kernelIhfEEvRKNS_10TensorBaseES9_NS_15PhiloxCudaStateEEUliRhSB_SB_SB_RKfSD_SD_SD_E_hSC_jLi1ELi1ELi4ELi512ELi2EEEvNS0_6detail10TensorInfoIT0_T2_EENSG_IT1_SI_EESI_T_, .Lfunc_end11-_ZN2at4cuda12_GLOBAL__N_121kernelPointwiseApply2IZNS_6native9templates4cuda28bernoulli_tensor_cuda_kernelIhfEEvRKNS_10TensorBaseES9_NS_15PhiloxCudaStateEEUliRhSB_SB_SB_RKfSD_SD_SD_E_hSC_jLi1ELi1ELi4ELi512ELi2EEEvNS0_6detail10TensorInfoIT0_T2_EENSG_IT1_SI_EESI_T_
                                        ; -- End function
	.section	.AMDGPU.csdata,"",@progbits
; Kernel info:
; codeLenInByte = 3148
; NumSgprs: 39
; NumVgprs: 40
; ScratchSize: 0
; MemoryBound: 0
; FloatMode: 240
; IeeeMode: 1
; LDSByteSize: 0 bytes/workgroup (compile time only)
; SGPRBlocks: 4
; VGPRBlocks: 4
; NumSGPRsForWavesPerEU: 39
; NumVGPRsForWavesPerEU: 40
; Occupancy: 16
; WaveLimiterHint : 1
; COMPUTE_PGM_RSRC2:SCRATCH_EN: 0
; COMPUTE_PGM_RSRC2:USER_SGPR: 15
; COMPUTE_PGM_RSRC2:TRAP_HANDLER: 0
; COMPUTE_PGM_RSRC2:TGID_X_EN: 1
; COMPUTE_PGM_RSRC2:TGID_Y_EN: 0
; COMPUTE_PGM_RSRC2:TGID_Z_EN: 0
; COMPUTE_PGM_RSRC2:TIDIG_COMP_CNT: 0
	.section	.text._ZN2at4cuda12_GLOBAL__N_121kernelPointwiseApply2IZNS_6native9templates4cuda28bernoulli_tensor_cuda_kernelIhfEEvRKNS_10TensorBaseES9_NS_15PhiloxCudaStateEEUliRhSB_SB_SB_RKfSD_SD_SD_E_hSC_jLi1ELi2ELi4ELi512ELi2EEEvNS0_6detail10TensorInfoIT0_T2_EENSG_IT1_SI_EESI_T_,"axG",@progbits,_ZN2at4cuda12_GLOBAL__N_121kernelPointwiseApply2IZNS_6native9templates4cuda28bernoulli_tensor_cuda_kernelIhfEEvRKNS_10TensorBaseES9_NS_15PhiloxCudaStateEEUliRhSB_SB_SB_RKfSD_SD_SD_E_hSC_jLi1ELi2ELi4ELi512ELi2EEEvNS0_6detail10TensorInfoIT0_T2_EENSG_IT1_SI_EESI_T_,comdat
	.globl	_ZN2at4cuda12_GLOBAL__N_121kernelPointwiseApply2IZNS_6native9templates4cuda28bernoulli_tensor_cuda_kernelIhfEEvRKNS_10TensorBaseES9_NS_15PhiloxCudaStateEEUliRhSB_SB_SB_RKfSD_SD_SD_E_hSC_jLi1ELi2ELi4ELi512ELi2EEEvNS0_6detail10TensorInfoIT0_T2_EENSG_IT1_SI_EESI_T_ ; -- Begin function _ZN2at4cuda12_GLOBAL__N_121kernelPointwiseApply2IZNS_6native9templates4cuda28bernoulli_tensor_cuda_kernelIhfEEvRKNS_10TensorBaseES9_NS_15PhiloxCudaStateEEUliRhSB_SB_SB_RKfSD_SD_SD_E_hSC_jLi1ELi2ELi4ELi512ELi2EEEvNS0_6detail10TensorInfoIT0_T2_EENSG_IT1_SI_EESI_T_
	.p2align	8
	.type	_ZN2at4cuda12_GLOBAL__N_121kernelPointwiseApply2IZNS_6native9templates4cuda28bernoulli_tensor_cuda_kernelIhfEEvRKNS_10TensorBaseES9_NS_15PhiloxCudaStateEEUliRhSB_SB_SB_RKfSD_SD_SD_E_hSC_jLi1ELi2ELi4ELi512ELi2EEEvNS0_6detail10TensorInfoIT0_T2_EENSG_IT1_SI_EESI_T_,@function
_ZN2at4cuda12_GLOBAL__N_121kernelPointwiseApply2IZNS_6native9templates4cuda28bernoulli_tensor_cuda_kernelIhfEEvRKNS_10TensorBaseES9_NS_15PhiloxCudaStateEEUliRhSB_SB_SB_RKfSD_SD_SD_E_hSC_jLi1ELi2ELi4ELi512ELi2EEEvNS0_6detail10TensorInfoIT0_T2_EENSG_IT1_SI_EESI_T_: ; @_ZN2at4cuda12_GLOBAL__N_121kernelPointwiseApply2IZNS_6native9templates4cuda28bernoulli_tensor_cuda_kernelIhfEEvRKNS_10TensorBaseES9_NS_15PhiloxCudaStateEEUliRhSB_SB_SB_RKfSD_SD_SD_E_hSC_jLi1ELi2ELi4ELi512ELi2EEEvNS0_6detail10TensorInfoIT0_T2_EENSG_IT1_SI_EESI_T_
; %bb.0:
	s_clause 0x1
	s_load_b32 s4, s[0:1], 0x1e4
	s_load_b32 s16, s[0:1], 0x1b0
	s_add_u32 s2, s0, 0x1d8
	s_addc_u32 s3, s1, 0
	s_waitcnt lgkmcnt(0)
	s_and_b32 s20, s4, 0xffff
	s_mov_b32 s4, exec_lo
	v_mad_u64_u32 v[1:2], null, s15, s20, v[0:1]
	s_delay_alu instid0(VALU_DEP_1) | instskip(NEXT) | instid1(VALU_DEP_1)
	v_lshlrev_b32_e32 v0, 2, v1
	v_cmpx_gt_u32_e64 s16, v0
	s_cbranch_execz .LBB12_59
; %bb.1:
	s_clause 0x3
	s_load_b32 s17, s[0:1], 0xe4
	s_load_b32 s4, s[0:1], 0x1d0
	;; [unrolled: 1-line block ×3, first 2 shown]
	s_load_b64 s[8:9], s[0:1], 0x0
	s_load_b32 s2, s[2:3], 0x0
	s_clause 0x1
	s_load_b64 s[10:11], s[0:1], 0xd8
	s_load_b64 s[12:13], s[0:1], 0x1c8
	v_add_nc_u32_e32 v8, 3, v0
	v_sub_nc_u32_e32 v31, s16, v0
	s_mov_b32 s22, 0
	s_mov_b32 s25, 0
                                        ; implicit-def: $sgpr24
                                        ; implicit-def: $sgpr27
                                        ; implicit-def: $sgpr26
                                        ; implicit-def: $sgpr28
                                        ; implicit-def: $sgpr30
                                        ; implicit-def: $sgpr29
                                        ; implicit-def: $sgpr31
	v_add_nc_u32_e32 v7, 2, v0
	s_waitcnt lgkmcnt(0)
	v_cvt_f32_u32_e32 v2, s17
	s_bitcmp1_b32 s4, 0
	s_clause 0x1
	s_load_b64 s[14:15], s[0:1], 0x144
	s_load_b128 s[4:7], s[0:1], 0x1b8
	s_cselect_b32 s18, -1, 0
	s_sub_i32 s19, 0, s17
	v_rcp_iflag_f32_e32 v2, v2
	v_mul_lo_u32 v30, v0, s23
	v_mul_lo_u32 v34, s23, v8
	s_mul_i32 s2, s2, s20
	v_mov_b32_e32 v4, 0
	s_lshl_b32 s21, s2, 2
                                        ; implicit-def: $sgpr20
	v_mul_lo_u32 v33, s23, v7
	s_delay_alu instid0(VALU_DEP_4) | instskip(SKIP_3) | instid1(VALU_DEP_1)
	v_add_nc_u32_e32 v35, s23, v30
	s_waitcnt_depctr 0xfff
	v_mul_f32_e32 v2, 0x4f7ffffe, v2
	s_mul_i32 s23, s21, s23
	v_cvt_u32_f32_e32 v5, v2
	v_mad_u64_u32 v[2:3], null, 0xcd9e8d57, v1, 0
	s_delay_alu instid0(VALU_DEP_2) | instskip(NEXT) | instid1(VALU_DEP_2)
	v_mul_lo_u32 v6, s19, v5
	v_mov_b32_e32 v32, v3
	s_delay_alu instid0(VALU_DEP_2) | instskip(NEXT) | instid1(VALU_DEP_1)
	v_mul_hi_u32 v6, v5, v6
	v_add_nc_u32_e32 v36, v5, v6
	s_branch .LBB12_3
.LBB12_2:                               ;   in Loop: Header=BB12_3 Depth=1
	s_or_b32 exec_lo, exec_lo, s1
	s_delay_alu instid0(SALU_CYCLE_1) | instskip(NEXT) | instid1(SALU_CYCLE_1)
	s_and_b32 s0, exec_lo, s0
	s_or_b32 s22, s0, s22
	s_and_not1_b32 s0, s20, exec_lo
	s_and_b32 s1, s31, exec_lo
	s_and_not1_b32 s2, s26, exec_lo
	s_and_b32 s3, s29, exec_lo
	s_or_b32 s20, s0, s1
	s_or_b32 s26, s2, s3
	s_and_not1_b32 s0, s27, exec_lo
	s_and_b32 s1, s30, exec_lo
	s_and_not1_b32 s2, s24, exec_lo
	s_and_b32 s3, s28, exec_lo
	s_or_b32 s27, s0, s1
	s_or_b32 s24, s2, s3
	s_and_not1_b32 exec_lo, exec_lo, s22
	s_cbranch_execz .LBB12_47
.LBB12_3:                               ; =>This Inner Loop Header: Depth=1
	v_mov_b32_e32 v7, 0
	v_mov_b32_e32 v8, 0
	v_cmp_lt_i32_e64 s0, 0, v31
	s_delay_alu instid0(VALU_DEP_2) | instskip(NEXT) | instid1(VALU_DEP_2)
	v_dual_mov_b32 v5, v7 :: v_dual_mov_b32 v6, v8
	s_and_saveexec_b32 s1, s0
	s_cbranch_execz .LBB12_5
; %bb.4:                                ;   in Loop: Header=BB12_3 Depth=1
	v_mul_hi_u32 v3, v36, v0
	s_delay_alu instid0(VALU_DEP_1) | instskip(SKIP_1) | instid1(VALU_DEP_2)
	v_not_b32_e32 v11, v3
	v_mad_u64_u32 v[5:6], null, s19, v3, v[0:1]
	v_mad_u64_u32 v[9:10], null, s17, v11, v[0:1]
	s_delay_alu instid0(VALU_DEP_2) | instskip(NEXT) | instid1(VALU_DEP_2)
	v_cmp_le_u32_e32 vcc_lo, s17, v5
	v_dual_cndmask_b32 v5, v5, v9 :: v_dual_add_nc_u32 v6, 1, v3
	s_delay_alu instid0(VALU_DEP_1) | instskip(NEXT) | instid1(VALU_DEP_2)
	v_cndmask_b32_e32 v3, v3, v6, vcc_lo
	v_cmp_le_u32_e32 vcc_lo, s17, v5
	s_delay_alu instid0(VALU_DEP_2) | instskip(NEXT) | instid1(VALU_DEP_1)
	v_add_nc_u32_e32 v6, 1, v3
	v_cndmask_b32_e32 v9, v3, v6, vcc_lo
	s_delay_alu instid0(VALU_DEP_1) | instskip(SKIP_1) | instid1(VALU_DEP_1)
	v_mad_u64_u32 v[5:6], null, s19, v9, v[0:1]
	s_waitcnt lgkmcnt(0)
	v_mul_lo_u32 v3, v5, s15
	s_delay_alu instid0(VALU_DEP_1)
	v_mad_u64_u32 v[5:6], null, v9, s14, v[3:4]
	v_mov_b32_e32 v6, v4
.LBB12_5:                               ;   in Loop: Header=BB12_3 Depth=1
	s_or_b32 exec_lo, exec_lo, s1
	v_cmp_lt_i32_e64 s1, 1, v31
	s_delay_alu instid0(VALU_DEP_1)
	s_and_saveexec_b32 s2, s1
	s_cbranch_execz .LBB12_7
; %bb.6:                                ;   in Loop: Header=BB12_3 Depth=1
	v_add_nc_u32_e32 v3, 1, v0
	s_delay_alu instid0(VALU_DEP_1) | instskip(NEXT) | instid1(VALU_DEP_1)
	v_mul_hi_u32 v7, v3, v36
	v_mul_lo_u32 v8, v7, s17
	v_add_nc_u32_e32 v9, 1, v7
	s_delay_alu instid0(VALU_DEP_2) | instskip(NEXT) | instid1(VALU_DEP_1)
	v_sub_nc_u32_e32 v8, v3, v8
	v_subrev_nc_u32_e32 v10, s17, v8
	v_cmp_le_u32_e32 vcc_lo, s17, v8
	s_delay_alu instid0(VALU_DEP_2) | instskip(NEXT) | instid1(VALU_DEP_1)
	v_dual_cndmask_b32 v7, v7, v9 :: v_dual_cndmask_b32 v8, v8, v10
	v_add_nc_u32_e32 v9, 1, v7
	s_delay_alu instid0(VALU_DEP_2) | instskip(NEXT) | instid1(VALU_DEP_2)
	v_cmp_le_u32_e32 vcc_lo, s17, v8
	v_cndmask_b32_e32 v9, v7, v9, vcc_lo
	s_delay_alu instid0(VALU_DEP_1) | instskip(NEXT) | instid1(VALU_DEP_1)
	v_mul_lo_u32 v7, v9, s17
	v_sub_nc_u32_e32 v3, v3, v7
	s_waitcnt lgkmcnt(0)
	s_delay_alu instid0(VALU_DEP_1) | instskip(NEXT) | instid1(VALU_DEP_1)
	v_mul_lo_u32 v3, v3, s15
	v_mad_u64_u32 v[7:8], null, v9, s14, v[3:4]
	v_mov_b32_e32 v8, v4
.LBB12_7:                               ;   in Loop: Header=BB12_3 Depth=1
	s_or_b32 exec_lo, exec_lo, s2
	v_mov_b32_e32 v13, 0
	v_mov_b32_e32 v14, 0
	v_cmp_lt_i32_e64 s2, 2, v31
	s_delay_alu instid0(VALU_DEP_2) | instskip(NEXT) | instid1(VALU_DEP_2)
	v_dual_mov_b32 v9, v13 :: v_dual_mov_b32 v10, v14
	s_and_saveexec_b32 s3, s2
	s_cbranch_execz .LBB12_9
; %bb.8:                                ;   in Loop: Header=BB12_3 Depth=1
	v_add_nc_u32_e32 v3, 2, v0
	s_delay_alu instid0(VALU_DEP_1) | instskip(NEXT) | instid1(VALU_DEP_1)
	v_mul_hi_u32 v9, v3, v36
	v_mul_lo_u32 v10, v9, s17
	s_delay_alu instid0(VALU_DEP_1) | instskip(NEXT) | instid1(VALU_DEP_1)
	v_sub_nc_u32_e32 v10, v3, v10
	v_subrev_nc_u32_e32 v12, s17, v10
	v_cmp_le_u32_e32 vcc_lo, s17, v10
	s_delay_alu instid0(VALU_DEP_2) | instskip(NEXT) | instid1(VALU_DEP_1)
	v_dual_cndmask_b32 v10, v10, v12 :: v_dual_add_nc_u32 v11, 1, v9
	v_cndmask_b32_e32 v9, v9, v11, vcc_lo
	s_delay_alu instid0(VALU_DEP_2) | instskip(NEXT) | instid1(VALU_DEP_2)
	v_cmp_le_u32_e32 vcc_lo, s17, v10
	v_add_nc_u32_e32 v11, 1, v9
	s_delay_alu instid0(VALU_DEP_1) | instskip(NEXT) | instid1(VALU_DEP_1)
	v_cndmask_b32_e32 v11, v9, v11, vcc_lo
	v_mul_lo_u32 v9, v11, s17
	s_delay_alu instid0(VALU_DEP_1) | instskip(SKIP_1) | instid1(VALU_DEP_1)
	v_sub_nc_u32_e32 v3, v3, v9
	s_waitcnt lgkmcnt(0)
	v_mul_lo_u32 v3, v3, s15
	s_delay_alu instid0(VALU_DEP_1)
	v_mad_u64_u32 v[9:10], null, v11, s14, v[3:4]
	v_mov_b32_e32 v10, v4
.LBB12_9:                               ;   in Loop: Header=BB12_3 Depth=1
	s_or_b32 exec_lo, exec_lo, s3
	v_dual_mov_b32 v11, v13 :: v_dual_mov_b32 v12, v14
	s_mov_b32 s3, exec_lo
	v_cmpx_lt_i32_e32 3, v31
	s_cbranch_execz .LBB12_11
; %bb.10:                               ;   in Loop: Header=BB12_3 Depth=1
	v_add_nc_u32_e32 v3, 3, v0
	s_delay_alu instid0(VALU_DEP_1) | instskip(NEXT) | instid1(VALU_DEP_1)
	v_mul_hi_u32 v11, v3, v36
	v_mul_lo_u32 v12, v11, s17
	v_add_nc_u32_e32 v13, 1, v11
	s_delay_alu instid0(VALU_DEP_2) | instskip(NEXT) | instid1(VALU_DEP_1)
	v_sub_nc_u32_e32 v12, v3, v12
	v_subrev_nc_u32_e32 v14, s17, v12
	v_cmp_le_u32_e32 vcc_lo, s17, v12
	s_delay_alu instid0(VALU_DEP_2) | instskip(NEXT) | instid1(VALU_DEP_1)
	v_dual_cndmask_b32 v11, v11, v13 :: v_dual_cndmask_b32 v12, v12, v14
	v_add_nc_u32_e32 v13, 1, v11
	s_delay_alu instid0(VALU_DEP_2) | instskip(NEXT) | instid1(VALU_DEP_2)
	v_cmp_le_u32_e32 vcc_lo, s17, v12
	v_cndmask_b32_e32 v14, v11, v13, vcc_lo
	s_delay_alu instid0(VALU_DEP_1) | instskip(NEXT) | instid1(VALU_DEP_1)
	v_mul_lo_u32 v11, v14, s17
	v_sub_nc_u32_e32 v3, v3, v11
	s_waitcnt lgkmcnt(0)
	s_delay_alu instid0(VALU_DEP_1) | instskip(SKIP_1) | instid1(VALU_DEP_2)
	v_mul_lo_u32 v13, v3, s15
	v_add_nc_u32_e32 v3, s25, v34
	v_mad_u64_u32 v[11:12], null, v14, s14, v[13:14]
	v_mov_b32_e32 v14, v4
	s_delay_alu instid0(VALU_DEP_3)
	v_dual_mov_b32 v12, v4 :: v_dual_mov_b32 v13, v3
.LBB12_11:                              ;   in Loop: Header=BB12_3 Depth=1
	s_or_b32 exec_lo, exec_lo, s3
	s_delay_alu instid0(VALU_DEP_1) | instskip(SKIP_3) | instid1(VALU_DEP_3)
	v_lshlrev_b64 v[11:12], 2, v[11:12]
	s_waitcnt lgkmcnt(0)
	v_dual_mov_b32 v18, s7 :: v_dual_mov_b32 v17, s6
	v_dual_mov_b32 v20, s5 :: v_dual_mov_b32 v19, s4
	v_add_co_u32 v11, vcc_lo, s10, v11
	s_delay_alu instid0(VALU_DEP_4)
	v_add_co_ci_u32_e32 v12, vcc_lo, s11, v12, vcc_lo
	s_and_not1_b32 vcc_lo, exec_lo, s18
	global_load_b32 v3, v[11:12], off
	s_cbranch_vccnz .LBB12_13
; %bb.12:                               ;   in Loop: Header=BB12_3 Depth=1
	v_dual_mov_b32 v12, s7 :: v_dual_mov_b32 v11, s6
	v_dual_mov_b32 v16, s5 :: v_dual_mov_b32 v15, s4
	flat_load_b64 v[11:12], v[11:12]
	flat_load_b64 v[19:20], v[15:16]
	s_waitcnt vmcnt(1) lgkmcnt(1)
	v_add_co_u32 v17, vcc_lo, v11, s12
	v_add_co_ci_u32_e32 v18, vcc_lo, s13, v12, vcc_lo
.LBB12_13:                              ;   in Loop: Header=BB12_3 Depth=1
	s_delay_alu instid0(VALU_DEP_1)
	v_alignbit_b32 v21, v18, v17, 2
	v_lshrrev_b32_e32 v15, 2, v18
	s_waitcnt vmcnt(0) lgkmcnt(0)
	v_add_nc_u32_e32 v37, 0x9e3779b9, v19
	v_add_nc_u32_e32 v38, 0xbb67ae85, v20
	;; [unrolled: 1-line block ×3, first 2 shown]
	v_add_co_u32 v16, vcc_lo, v21, 1
	s_delay_alu instid0(VALU_DEP_1) | instskip(SKIP_4) | instid1(VALU_DEP_4)
	v_cndmask_b32_e64 v11, 0, 1, vcc_lo
	v_add_co_ci_u32_e32 v18, vcc_lo, 0, v15, vcc_lo
	v_xor3_b32 v23, v32, v19, v15
	v_add_nc_u32_e32 v40, 0x76cf5d0a, v20
	v_add_nc_u32_e32 v42, 0xed9eba14, v20
	v_cmp_eq_u32_e32 vcc_lo, 0, v18
	v_add_nc_u32_e32 v43, 0x1fd5c5a3, v20
	s_mov_b32 s3, exec_lo
	v_dual_cndmask_b32 v22, 0, v11 :: v_dual_add_nc_u32 v41, 0x32370b8f, v20
	v_mad_u64_u32 v[11:12], null, 0xd2511f53, v16, 0
	v_mad_u64_u32 v[15:16], null, 0xd2511f53, v21, 0
	s_delay_alu instid0(VALU_DEP_3) | instskip(NEXT) | instid1(VALU_DEP_3)
	v_add_nc_u32_e32 v25, v22, v1
	v_xor_b32_e32 v12, v12, v20
	s_delay_alu instid0(VALU_DEP_2) | instskip(SKIP_1) | instid1(VALU_DEP_1)
	v_cmp_eq_u32_e32 vcc_lo, 0, v25
	v_cndmask_b32_e32 v22, 0, v22, vcc_lo
	v_xor_b32_e32 v12, v22, v12
	v_mad_u64_u32 v[21:22], null, 0xd2511f53, v23, 0
	v_mad_u64_u32 v[23:24], null, 0xcd9e8d57, v25, 0
	s_delay_alu instid0(VALU_DEP_3) | instskip(SKIP_1) | instid1(VALU_DEP_4)
	v_mad_u64_u32 v[25:26], null, 0xcd9e8d57, v12, 0
	v_xor_b32_e32 v12, v16, v20
	v_xor3_b32 v27, v38, v22, v15
	s_delay_alu instid0(VALU_DEP_2) | instskip(SKIP_2) | instid1(VALU_DEP_4)
	v_mad_u64_u32 v[15:16], null, 0xcd9e8d57, v12, 0
	v_xor3_b32 v12, v24, v19, v18
	v_xor3_b32 v18, v37, v26, v23
	v_mad_u64_u32 v[22:23], null, 0xcd9e8d57, v27, 0
	s_delay_alu instid0(VALU_DEP_3) | instskip(NEXT) | instid1(VALU_DEP_3)
	v_mad_u64_u32 v[26:27], null, 0xd2511f53, v12, 0
	v_mad_u64_u32 v[28:29], null, 0xd2511f53, v18, 0
	v_xor3_b32 v12, v2, v16, v37
	s_delay_alu instid0(VALU_DEP_4) | instskip(SKIP_2) | instid1(VALU_DEP_4)
	v_xor3_b32 v23, v39, v23, v15
	v_add_nc_u32_e32 v18, 0xdaa66d2b, v19
	v_xor3_b32 v27, v38, v27, v11
	v_mad_u64_u32 v[15:16], null, 0xd2511f53, v12, 0
	v_xor3_b32 v29, v40, v29, v26
	v_mad_u64_u32 v[11:12], null, 0xd2511f53, v23, 0
	s_delay_alu instid0(VALU_DEP_4) | instskip(NEXT) | instid1(VALU_DEP_3)
	v_mad_u64_u32 v[23:24], null, 0xcd9e8d57, v27, 0
	v_mad_u64_u32 v[26:27], null, 0xcd9e8d57, v29, 0
	v_xor3_b32 v21, v40, v16, v21
	v_add_nc_u32_e32 v29, 0x78dde6e4, v19
	v_xor3_b32 v12, v41, v12, v15
	s_delay_alu instid0(VALU_DEP_3) | instskip(SKIP_2) | instid1(VALU_DEP_4)
	v_mad_u64_u32 v[15:16], null, 0xcd9e8d57, v21, 0
	v_xor3_b32 v21, v39, v24, v25
	v_xor3_b32 v25, v18, v27, v23
	v_mad_u64_u32 v[23:24], null, 0xcd9e8d57, v12, 0
	s_delay_alu instid0(VALU_DEP_3) | instskip(NEXT) | instid1(VALU_DEP_3)
	v_mad_u64_u32 v[37:38], null, 0xd2511f53, v21, 0
	v_mad_u64_u32 v[39:40], null, 0xd2511f53, v25, 0
	v_xor3_b32 v12, v18, v16, v22
	s_delay_alu instid0(VALU_DEP_4) | instskip(SKIP_2) | instid1(VALU_DEP_4)
	v_xor3_b32 v21, v29, v24, v15
	v_add_nc_u32_e32 v18, 0x1715609d, v19
	v_add_nc_u32_e32 v25, 0xa9066899, v20
	v_mad_u64_u32 v[15:16], null, 0xd2511f53, v12, 0
	v_xor3_b32 v12, v41, v38, v28
	v_xor3_b32 v24, v42, v40, v37
	v_mad_u64_u32 v[27:28], null, 0xd2511f53, v21, 0
	v_add_nc_u32_e32 v38, 0xb54cda56, v19
	s_delay_alu instid0(VALU_DEP_4) | instskip(NEXT) | instid1(VALU_DEP_4)
	v_mad_u64_u32 v[21:22], null, 0xcd9e8d57, v12, 0
	v_mad_u64_u32 v[40:41], null, 0xcd9e8d57, v24, 0
	v_xor3_b32 v16, v42, v16, v11
	v_xor3_b32 v24, v25, v28, v15
	v_add_nc_u32_e32 v37, 0x646e171e, v20
	v_xor3_b32 v26, v29, v22, v26
	s_delay_alu instid0(VALU_DEP_4) | instskip(SKIP_2) | instid1(VALU_DEP_4)
	v_mad_u64_u32 v[11:12], null, 0xcd9e8d57, v16, 0
	v_xor3_b32 v28, v18, v41, v21
	v_mad_u64_u32 v[15:16], null, 0xcd9e8d57, v24, 0
	v_mad_u64_u32 v[21:22], null, 0xd2511f53, v26, 0
	s_delay_alu instid0(VALU_DEP_3) | instskip(SKIP_3) | instid1(VALU_DEP_3)
	v_mad_u64_u32 v[41:42], null, 0xd2511f53, v28, 0
	v_xor3_b32 v18, v18, v12, v23
	v_add_nc_u32_e32 v26, 0x5384540f, v19
	v_xor3_b32 v16, v38, v16, v11
	v_mad_u64_u32 v[11:12], null, 0xd2511f53, v18, 0
	v_xor3_b32 v18, v25, v22, v39
	v_xor3_b32 v23, v37, v42, v21
	s_delay_alu instid0(VALU_DEP_4) | instskip(NEXT) | instid1(VALU_DEP_3)
	v_mad_u64_u32 v[21:22], null, 0xd2511f53, v16, 0
	v_mad_u64_u32 v[28:29], null, 0xcd9e8d57, v18, 0
	s_delay_alu instid0(VALU_DEP_3) | instskip(SKIP_1) | instid1(VALU_DEP_4)
	v_mad_u64_u32 v[24:25], null, 0xcd9e8d57, v23, 0
	v_xor3_b32 v16, v37, v12, v27
	v_xor3_b32 v18, v43, v22, v11
	v_add_co_u32 v37, null, 0xf1bbcdc8, v19
	s_delay_alu instid0(VALU_DEP_3) | instskip(SKIP_4) | instid1(VALU_DEP_4)
	v_mad_u64_u32 v[11:12], null, 0xcd9e8d57, v16, 0
	v_xor3_b32 v16, v38, v29, v40
	v_xor3_b32 v25, v26, v25, v28
	v_mad_u64_u32 v[22:23], null, 0xcd9e8d57, v18, 0
	v_add_nc_u32_e32 v38, 0xdb3d7428, v20
	v_mad_u64_u32 v[39:40], null, 0xd2511f53, v16, 0
	s_delay_alu instid0(VALU_DEP_4) | instskip(SKIP_4) | instid1(VALU_DEP_4)
	v_mad_u64_u32 v[27:28], null, 0xd2511f53, v25, 0
	v_xor3_b32 v12, v26, v12, v15
	v_xor3_b32 v15, v37, v23, v11
	v_add_nc_u32_e32 v23, 0x8ff34781, v19
	v_xor3_b32 v16, v43, v40, v41
	v_mad_u64_u32 v[25:26], null, 0xd2511f53, v12, 0
	v_xor3_b32 v18, v38, v28, v39
	v_mad_u64_u32 v[11:12], null, 0xd2511f53, v15, 0
	s_delay_alu instid0(VALU_DEP_4) | instskip(NEXT) | instid1(VALU_DEP_3)
	v_mad_u64_u32 v[28:29], null, 0xcd9e8d57, v16, 0
	v_mad_u64_u32 v[15:16], null, 0xcd9e8d57, v18, 0
	v_add_nc_u32_e32 v39, 0x96a522ad, v20
	v_and_b32_e32 v20, 3, v17
                                        ; implicit-def: $vgpr18
	s_delay_alu instid0(VALU_DEP_2) | instskip(NEXT) | instid1(VALU_DEP_4)
	v_xor3_b32 v19, v12, v25, v39
	v_xor3_b32 v12, v16, v28, v23
	s_delay_alu instid0(VALU_DEP_3)
	v_cmpx_lt_i32_e32 1, v20
	s_xor_b32 s3, exec_lo, s3
	s_cbranch_execz .LBB12_19
; %bb.14:                               ;   in Loop: Header=BB12_3 Depth=1
	s_mov_b32 s33, exec_lo
                                        ; implicit-def: $vgpr18
	v_cmpx_lt_i32_e32 2, v20
	s_xor_b32 s33, exec_lo, s33
; %bb.15:                               ;   in Loop: Header=BB12_3 Depth=1
	v_xor3_b32 v16, v37, v29, v24
                                        ; implicit-def: $vgpr19
	s_delay_alu instid0(VALU_DEP_1) | instskip(NEXT) | instid1(VALU_DEP_1)
	v_mul_hi_u32 v16, 0xd2511f53, v16
	v_xor3_b32 v18, v16, v27, v39
; %bb.16:                               ;   in Loop: Header=BB12_3 Depth=1
	s_and_not1_saveexec_b32 s33, s33
; %bb.17:                               ;   in Loop: Header=BB12_3 Depth=1
	v_dual_mov_b32 v18, v15 :: v_dual_mov_b32 v15, v12
	v_mov_b32_e32 v12, v11
	v_mov_b32_e32 v11, v19
; %bb.18:                               ;   in Loop: Header=BB12_3 Depth=1
	s_or_b32 exec_lo, exec_lo, s33
                                        ; implicit-def: $vgpr21_vgpr22
                                        ; implicit-def: $vgpr20
                                        ; implicit-def: $vgpr19
                                        ; implicit-def: $vgpr38
                                        ; implicit-def: $vgpr25_vgpr26
                                        ; implicit-def: $vgpr22_vgpr23
                                        ; implicit-def: $vgpr23
.LBB12_19:                              ;   in Loop: Header=BB12_3 Depth=1
	s_and_not1_saveexec_b32 s3, s3
	s_cbranch_execz .LBB12_23
; %bb.20:                               ;   in Loop: Header=BB12_3 Depth=1
	v_xor3_b32 v15, v38, v26, v21
	v_cmp_eq_u32_e32 vcc_lo, 1, v20
	s_delay_alu instid0(VALU_DEP_2) | instskip(SKIP_2) | instid1(VALU_DEP_3)
	v_mad_u64_u32 v[16:17], null, 0xcd9e8d57, v15, 0
	v_mov_b32_e32 v18, v11
	v_mov_b32_e32 v15, v19
	v_xor3_b32 v20, v17, v22, v23
	s_delay_alu instid0(VALU_DEP_4)
	v_mov_b32_e32 v17, v16
	s_and_saveexec_b32 s33, vcc_lo
; %bb.21:                               ;   in Loop: Header=BB12_3 Depth=1
	v_dual_mov_b32 v18, v12 :: v_dual_mov_b32 v15, v11
	v_dual_mov_b32 v17, v19 :: v_dual_mov_b32 v20, v16
; %bb.22:                               ;   in Loop: Header=BB12_3 Depth=1
	s_or_b32 exec_lo, exec_lo, s33
	s_delay_alu instid0(VALU_DEP_1)
	v_dual_mov_b32 v11, v20 :: v_dual_mov_b32 v12, v17
.LBB12_23:                              ;   in Loop: Header=BB12_3 Depth=1
	s_or_b32 exec_lo, exec_lo, s3
	v_min_i32_e32 v16, 4, v31
	s_mov_b32 s33, 0
	s_mov_b32 s38, 0
	s_mov_b32 s36, exec_lo
                                        ; implicit-def: $sgpr3
                                        ; implicit-def: $sgpr34
                                        ; implicit-def: $sgpr35
	s_delay_alu instid0(VALU_DEP_1)
	v_cmpx_lt_i32_e32 2, v16
	s_xor_b32 s36, exec_lo, s36
	s_cbranch_execz .LBB12_33
; %bb.24:                               ;   in Loop: Header=BB12_3 Depth=1
	s_mov_b32 s3, -1
	s_mov_b32 s35, exec_lo
                                        ; implicit-def: $sgpr34
                                        ; implicit-def: $sgpr37
	v_cmpx_lt_i32_e32 3, v16
	s_cbranch_execz .LBB12_28
; %bb.25:                               ;   in Loop: Header=BB12_3 Depth=1
	v_cmp_le_f32_e32 vcc_lo, 0, v3
	v_cmp_ge_f32_e64 s3, 1.0, v3
	s_mov_b32 s34, 0
	s_delay_alu instid0(VALU_DEP_1)
	s_and_b32 s38, vcc_lo, s3
	s_mov_b32 s3, 0
	s_and_saveexec_b32 s37, s38
	s_cbranch_execz .LBB12_27
; %bb.26:                               ;   in Loop: Header=BB12_3 Depth=1
	v_cvt_f32_u32_e32 v17, v18
	v_add_co_u32 v13, vcc_lo, s8, v13
	v_add_co_ci_u32_e32 v14, vcc_lo, s9, v14, vcc_lo
	s_delay_alu instid0(VALU_DEP_3) | instskip(SKIP_1) | instid1(VALU_DEP_1)
	v_fmaak_f32 v17, 0x2f800000, v17, 0x2f800000
	s_mov_b32 s3, exec_lo
	v_cmp_le_f32_e32 vcc_lo, v17, v3
	v_cndmask_b32_e64 v3, 0, 1, vcc_lo
	global_store_b8 v[13:14], v3, off
.LBB12_27:                              ;   in Loop: Header=BB12_3 Depth=1
	s_or_b32 exec_lo, exec_lo, s37
	s_mov_b32 s37, -1
	s_or_not1_b32 s3, s3, exec_lo
.LBB12_28:                              ;   in Loop: Header=BB12_3 Depth=1
	s_or_b32 exec_lo, exec_lo, s35
	s_mov_b32 s38, 0
	s_mov_b32 s39, s34
	s_and_saveexec_b32 s35, s3
	s_cbranch_execz .LBB12_32
; %bb.29:                               ;   in Loop: Header=BB12_3 Depth=1
	v_lshlrev_b64 v[9:10], 2, v[9:10]
	s_delay_alu instid0(VALU_DEP_1) | instskip(NEXT) | instid1(VALU_DEP_2)
	v_add_co_u32 v9, vcc_lo, s10, v9
	v_add_co_ci_u32_e32 v10, vcc_lo, s11, v10, vcc_lo
	global_load_b32 v3, v[9:10], off
	s_waitcnt vmcnt(0)
	v_cmp_le_f32_e32 vcc_lo, 0, v3
	v_cmp_ge_f32_e64 s3, 1.0, v3
	s_delay_alu instid0(VALU_DEP_1) | instskip(SKIP_2) | instid1(SALU_CYCLE_1)
	s_and_b32 s38, vcc_lo, s3
	s_mov_b32 s3, 0
	s_and_saveexec_b32 s39, s38
	s_xor_b32 s38, exec_lo, s39
	s_cbranch_execz .LBB12_31
; %bb.30:                               ;   in Loop: Header=BB12_3 Depth=1
	v_cvt_f32_u32_e32 v9, v15
	v_add_nc_u32_e32 v10, s25, v33
	s_mov_b32 s3, exec_lo
	s_delay_alu instid0(VALU_DEP_2) | instskip(NEXT) | instid1(VALU_DEP_2)
	v_fmaak_f32 v9, 0x2f800000, v9, 0x2f800000
	v_cndmask_b32_e64 v10, 0, v10, s2
	s_delay_alu instid0(VALU_DEP_2)
	v_cmp_le_f32_e32 vcc_lo, v9, v3
	v_cndmask_b32_e64 v3, 0, 1, vcc_lo
	global_store_b8 v10, v3, s[8:9]
.LBB12_31:                              ;   in Loop: Header=BB12_3 Depth=1
	s_or_b32 exec_lo, exec_lo, s38
	s_delay_alu instid0(SALU_CYCLE_1)
	s_and_not1_b32 s39, s34, exec_lo
	s_or_b32 s34, s34, exec_lo
	s_and_not1_b32 s37, s37, exec_lo
	s_and_b32 s38, s3, exec_lo
.LBB12_32:                              ;   in Loop: Header=BB12_3 Depth=1
	s_or_b32 exec_lo, exec_lo, s35
	s_delay_alu instid0(SALU_CYCLE_1)
	s_and_b32 s35, s39, exec_lo
	s_and_b32 s34, s34, exec_lo
	;; [unrolled: 1-line block ×4, first 2 shown]
.LBB12_33:                              ;   in Loop: Header=BB12_3 Depth=1
	s_and_not1_saveexec_b32 s2, s36
; %bb.34:                               ;   in Loop: Header=BB12_3 Depth=1
	v_cmp_lt_i32_e32 vcc_lo, 1, v16
	s_and_not1_b32 s36, s38, exec_lo
	s_mov_b32 s33, exec_lo
	s_and_not1_b32 s35, s35, exec_lo
	s_and_not1_b32 s34, s34, exec_lo
	s_and_b32 s37, vcc_lo, exec_lo
	s_and_not1_b32 s3, s3, exec_lo
	s_or_b32 s38, s36, s37
; %bb.35:                               ;   in Loop: Header=BB12_3 Depth=1
	s_or_b32 exec_lo, exec_lo, s2
	s_mov_b32 s36, 0
	s_mov_b32 s37, 0
	;; [unrolled: 1-line block ×3, first 2 shown]
	s_and_saveexec_b32 s39, s38
	s_cbranch_execnz .LBB12_38
; %bb.36:                               ;   in Loop: Header=BB12_3 Depth=1
	s_or_b32 exec_lo, exec_lo, s39
	s_and_saveexec_b32 s1, s33
	s_cbranch_execnz .LBB12_41
.LBB12_37:                              ;   in Loop: Header=BB12_3 Depth=1
	s_or_b32 exec_lo, exec_lo, s1
	s_and_saveexec_b32 s33, s37
	s_cbranch_execnz .LBB12_42
	s_branch .LBB12_45
.LBB12_38:                              ;   in Loop: Header=BB12_3 Depth=1
	v_lshlrev_b64 v[7:8], 2, v[7:8]
	s_delay_alu instid0(VALU_DEP_1) | instskip(NEXT) | instid1(VALU_DEP_2)
	v_add_co_u32 v7, vcc_lo, s10, v7
	v_add_co_ci_u32_e32 v8, vcc_lo, s11, v8, vcc_lo
	global_load_b32 v3, v[7:8], off
	s_waitcnt vmcnt(0)
	v_cmp_le_f32_e32 vcc_lo, 0, v3
	v_cmp_ge_f32_e64 s2, 1.0, v3
	s_delay_alu instid0(VALU_DEP_1) | instskip(NEXT) | instid1(SALU_CYCLE_1)
	s_and_b32 s2, vcc_lo, s2
	s_and_saveexec_b32 s38, s2
	s_delay_alu instid0(SALU_CYCLE_1)
	s_xor_b32 s2, exec_lo, s38
	s_cbranch_execz .LBB12_40
; %bb.39:                               ;   in Loop: Header=BB12_3 Depth=1
	v_cvt_f32_u32_e32 v7, v12
	v_add_nc_u32_e32 v8, s25, v35
	s_mov_b32 s37, exec_lo
	s_delay_alu instid0(VALU_DEP_2) | instskip(NEXT) | instid1(VALU_DEP_2)
	v_fmaak_f32 v7, 0x2f800000, v7, 0x2f800000
	v_cndmask_b32_e64 v8, 0, v8, s1
	s_delay_alu instid0(VALU_DEP_2)
	v_cmp_le_f32_e32 vcc_lo, v7, v3
	v_cndmask_b32_e64 v3, 0, 1, vcc_lo
	global_store_b8 v8, v3, s[8:9]
.LBB12_40:                              ;   in Loop: Header=BB12_3 Depth=1
	s_or_b32 exec_lo, exec_lo, s2
	s_delay_alu instid0(SALU_CYCLE_1)
	s_and_not1_b32 s2, s35, exec_lo
	s_or_b32 s35, s35, exec_lo
	s_and_not1_b32 s34, s34, exec_lo
	s_and_not1_b32 s3, s3, exec_lo
	s_and_b32 s37, s37, exec_lo
	s_and_not1_b32 s33, s33, exec_lo
	s_or_b32 exec_lo, exec_lo, s39
	s_and_saveexec_b32 s1, s33
	s_cbranch_execz .LBB12_37
.LBB12_41:                              ;   in Loop: Header=BB12_3 Depth=1
	v_cmp_eq_u32_e32 vcc_lo, 1, v16
	s_and_not1_b32 s33, s37, exec_lo
	s_mov_b32 s36, exec_lo
	s_and_not1_b32 s2, s2, exec_lo
	s_and_not1_b32 s35, s35, exec_lo
	s_and_b32 s37, vcc_lo, exec_lo
	s_and_not1_b32 s34, s34, exec_lo
	s_and_not1_b32 s3, s3, exec_lo
	s_or_b32 s37, s33, s37
	s_or_b32 exec_lo, exec_lo, s1
	s_and_saveexec_b32 s33, s37
	s_cbranch_execz .LBB12_45
.LBB12_42:                              ;   in Loop: Header=BB12_3 Depth=1
	v_lshlrev_b64 v[5:6], 2, v[5:6]
	s_delay_alu instid0(VALU_DEP_1) | instskip(NEXT) | instid1(VALU_DEP_2)
	v_add_co_u32 v5, vcc_lo, s10, v5
	v_add_co_ci_u32_e32 v6, vcc_lo, s11, v6, vcc_lo
	global_load_b32 v3, v[5:6], off
	s_waitcnt vmcnt(0)
	v_cmp_le_f32_e32 vcc_lo, 0, v3
	v_cmp_ge_f32_e64 s1, 1.0, v3
	s_delay_alu instid0(VALU_DEP_1)
	s_and_b32 s38, vcc_lo, s1
	s_mov_b32 s1, 0
	s_and_saveexec_b32 s37, s38
	s_cbranch_execz .LBB12_44
; %bb.43:                               ;   in Loop: Header=BB12_3 Depth=1
	v_cvt_f32_u32_e32 v5, v11
	v_add_nc_u32_e32 v6, s25, v30
	s_mov_b32 s1, exec_lo
	s_delay_alu instid0(VALU_DEP_2) | instskip(NEXT) | instid1(VALU_DEP_2)
	v_fmaak_f32 v5, 0x2f800000, v5, 0x2f800000
	v_cndmask_b32_e64 v6, 0, v6, s0
	s_delay_alu instid0(VALU_DEP_2)
	v_cmp_le_f32_e32 vcc_lo, v5, v3
	v_cndmask_b32_e64 v3, 0, 1, vcc_lo
	global_store_b8 v6, v3, s[8:9]
.LBB12_44:                              ;   in Loop: Header=BB12_3 Depth=1
	s_or_b32 exec_lo, exec_lo, s37
	s_delay_alu instid0(SALU_CYCLE_1)
	s_and_not1_b32 s0, s36, exec_lo
	s_and_b32 s1, s1, exec_lo
	s_or_b32 s2, s2, exec_lo
	s_and_not1_b32 s35, s35, exec_lo
	s_and_not1_b32 s34, s34, exec_lo
	;; [unrolled: 1-line block ×3, first 2 shown]
	s_or_b32 s36, s0, s1
.LBB12_45:                              ;   in Loop: Header=BB12_3 Depth=1
	s_or_b32 exec_lo, exec_lo, s33
	s_delay_alu instid0(SALU_CYCLE_1)
	s_and_not1_b32 s1, s31, exec_lo
	s_and_b32 s2, s2, exec_lo
	s_and_not1_b32 s29, s29, exec_lo
	s_and_b32 s33, s35, exec_lo
	s_or_b32 s31, s1, s2
	s_and_not1_b32 s1, s30, exec_lo
	s_and_b32 s2, s34, exec_lo
	s_and_not1_b32 s28, s28, exec_lo
	s_and_b32 s3, s3, exec_lo
	s_mov_b32 s0, -1
	s_or_b32 s29, s29, s33
	s_or_b32 s30, s1, s2
	;; [unrolled: 1-line block ×3, first 2 shown]
	s_and_saveexec_b32 s1, s36
	s_cbranch_execz .LBB12_2
; %bb.46:                               ;   in Loop: Header=BB12_3 Depth=1
	v_add_nc_u32_e32 v0, s21, v0
	v_subrev_nc_u32_e32 v31, s21, v31
	s_add_i32 s25, s25, s23
	s_and_not1_b32 s31, s31, exec_lo
	s_and_not1_b32 s29, s29, exec_lo
	v_cmp_le_u32_e32 vcc_lo, s16, v0
	s_and_not1_b32 s30, s30, exec_lo
	s_and_not1_b32 s28, s28, exec_lo
	s_or_not1_b32 s0, vcc_lo, exec_lo
	s_branch .LBB12_2
.LBB12_47:
	s_or_b32 exec_lo, exec_lo, s22
	s_xor_b32 s3, s26, -1
	s_xor_b32 s4, s27, -1
	s_xor_b32 s0, s24, -1
	s_mov_b32 s1, 0
	s_and_saveexec_b32 s2, s0
	s_delay_alu instid0(SALU_CYCLE_1)
	s_xor_b32 s0, exec_lo, s2
	s_cbranch_execz .LBB12_56
; %bb.48:
	s_mov_b32 s2, 0
	s_and_saveexec_b32 s1, s4
	s_delay_alu instid0(SALU_CYCLE_1)
	s_xor_b32 s1, exec_lo, s1
	s_cbranch_execz .LBB12_54
; %bb.49:
	s_and_saveexec_b32 s4, s3
	s_delay_alu instid0(SALU_CYCLE_1)
	s_xor_b32 s3, exec_lo, s4
	s_cbranch_execz .LBB12_52
; %bb.50:
	s_and_saveexec_b32 s4, s20
	s_delay_alu instid0(SALU_CYCLE_1)
	s_xor_b32 s4, exec_lo, s4
	s_cbranch_execnz .LBB12_70
.LBB12_51:
	s_or_b32 exec_lo, exec_lo, s4
	s_delay_alu instid0(SALU_CYCLE_1)
	s_and_b32 s2, s2, exec_lo
.LBB12_52:
	s_and_not1_saveexec_b32 s3, s3
	s_cbranch_execnz .LBB12_66
.LBB12_53:
	s_or_b32 exec_lo, exec_lo, s3
	s_delay_alu instid0(SALU_CYCLE_1)
	s_and_b32 s2, s2, exec_lo
.LBB12_54:
	s_and_not1_saveexec_b32 s1, s1
	s_cbranch_execnz .LBB12_62
.LBB12_55:
	s_or_b32 exec_lo, exec_lo, s1
	s_delay_alu instid0(SALU_CYCLE_1)
	s_and_b32 s1, s2, exec_lo
.LBB12_56:
	s_and_not1_saveexec_b32 s0, s0
	s_cbranch_execnz .LBB12_60
; %bb.57:
	s_or_b32 exec_lo, exec_lo, s0
	s_delay_alu instid0(SALU_CYCLE_1)
	s_and_b32 exec_lo, exec_lo, s1
.LBB12_58:
	; divergent unreachable
.LBB12_59:
	s_nop 0
	s_sendmsg sendmsg(MSG_DEALLOC_VGPRS)
	s_endpgm
.LBB12_60:
	s_cbranch_execnz .LBB12_64
; %bb.61:
	s_or_b32 s1, s1, exec_lo
	s_or_b32 exec_lo, exec_lo, s0
	s_delay_alu instid0(SALU_CYCLE_1)
	s_and_b32 exec_lo, exec_lo, s1
	s_cbranch_execnz .LBB12_58
	s_branch .LBB12_59
.LBB12_62:
	s_cbranch_execnz .LBB12_68
; %bb.63:
	s_or_b32 s2, s2, exec_lo
	s_branch .LBB12_55
.LBB12_64:
	s_trap 2
	s_sendmsg_rtn_b32 s0, sendmsg(MSG_RTN_GET_DOORBELL)
	s_mov_b32 ttmp2, m0
	s_waitcnt lgkmcnt(0)
	s_and_b32 s0, s0, 0x3ff
	s_delay_alu instid0(SALU_CYCLE_1) | instskip(NEXT) | instid1(SALU_CYCLE_1)
	s_bitset1_b32 s0, 10
	s_mov_b32 m0, s0
	s_sendmsg sendmsg(MSG_INTERRUPT)
	s_mov_b32 m0, ttmp2
.LBB12_65:                              ; =>This Inner Loop Header: Depth=1
	s_sethalt 5
	s_branch .LBB12_65
.LBB12_66:
	s_cbranch_execnz .LBB12_72
; %bb.67:
	s_or_b32 s2, s2, exec_lo
	s_branch .LBB12_53
.LBB12_68:
	s_trap 2
	s_sendmsg_rtn_b32 s0, sendmsg(MSG_RTN_GET_DOORBELL)
	s_mov_b32 ttmp2, m0
	s_waitcnt lgkmcnt(0)
	s_and_b32 s0, s0, 0x3ff
	s_delay_alu instid0(SALU_CYCLE_1) | instskip(NEXT) | instid1(SALU_CYCLE_1)
	s_bitset1_b32 s0, 10
	s_mov_b32 m0, s0
	s_sendmsg sendmsg(MSG_INTERRUPT)
	s_mov_b32 m0, ttmp2
.LBB12_69:                              ; =>This Inner Loop Header: Depth=1
	s_sethalt 5
	s_branch .LBB12_69
.LBB12_70:
	s_cbranch_execnz .LBB12_74
; %bb.71:
	s_mov_b32 s2, exec_lo
	s_branch .LBB12_51
.LBB12_72:
	s_trap 2
	s_sendmsg_rtn_b32 s0, sendmsg(MSG_RTN_GET_DOORBELL)
	s_mov_b32 ttmp2, m0
	s_waitcnt lgkmcnt(0)
	s_and_b32 s0, s0, 0x3ff
	s_delay_alu instid0(SALU_CYCLE_1) | instskip(NEXT) | instid1(SALU_CYCLE_1)
	s_bitset1_b32 s0, 10
	s_mov_b32 m0, s0
	s_sendmsg sendmsg(MSG_INTERRUPT)
	s_mov_b32 m0, ttmp2
.LBB12_73:                              ; =>This Inner Loop Header: Depth=1
	s_sethalt 5
	s_branch .LBB12_73
.LBB12_74:
	s_trap 2
	s_sendmsg_rtn_b32 s0, sendmsg(MSG_RTN_GET_DOORBELL)
	s_mov_b32 ttmp2, m0
	s_waitcnt lgkmcnt(0)
	s_and_b32 s0, s0, 0x3ff
	s_delay_alu instid0(SALU_CYCLE_1) | instskip(NEXT) | instid1(SALU_CYCLE_1)
	s_bitset1_b32 s0, 10
	s_mov_b32 m0, s0
	s_sendmsg sendmsg(MSG_INTERRUPT)
	s_mov_b32 m0, ttmp2
.LBB12_75:                              ; =>This Inner Loop Header: Depth=1
	s_sethalt 5
	s_branch .LBB12_75
	.section	.rodata,"a",@progbits
	.p2align	6, 0x0
	.amdhsa_kernel _ZN2at4cuda12_GLOBAL__N_121kernelPointwiseApply2IZNS_6native9templates4cuda28bernoulli_tensor_cuda_kernelIhfEEvRKNS_10TensorBaseES9_NS_15PhiloxCudaStateEEUliRhSB_SB_SB_RKfSD_SD_SD_E_hSC_jLi1ELi2ELi4ELi512ELi2EEEvNS0_6detail10TensorInfoIT0_T2_EENSG_IT1_SI_EESI_T_
		.amdhsa_group_segment_fixed_size 0
		.amdhsa_private_segment_fixed_size 0
		.amdhsa_kernarg_size 728
		.amdhsa_user_sgpr_count 15
		.amdhsa_user_sgpr_dispatch_ptr 0
		.amdhsa_user_sgpr_queue_ptr 0
		.amdhsa_user_sgpr_kernarg_segment_ptr 1
		.amdhsa_user_sgpr_dispatch_id 0
		.amdhsa_user_sgpr_private_segment_size 0
		.amdhsa_wavefront_size32 1
		.amdhsa_uses_dynamic_stack 0
		.amdhsa_enable_private_segment 0
		.amdhsa_system_sgpr_workgroup_id_x 1
		.amdhsa_system_sgpr_workgroup_id_y 0
		.amdhsa_system_sgpr_workgroup_id_z 0
		.amdhsa_system_sgpr_workgroup_info 0
		.amdhsa_system_vgpr_workitem_id 0
		.amdhsa_next_free_vgpr 44
		.amdhsa_next_free_sgpr 40
		.amdhsa_reserve_vcc 1
		.amdhsa_float_round_mode_32 0
		.amdhsa_float_round_mode_16_64 0
		.amdhsa_float_denorm_mode_32 3
		.amdhsa_float_denorm_mode_16_64 3
		.amdhsa_dx10_clamp 1
		.amdhsa_ieee_mode 1
		.amdhsa_fp16_overflow 0
		.amdhsa_workgroup_processor_mode 1
		.amdhsa_memory_ordered 1
		.amdhsa_forward_progress 0
		.amdhsa_shared_vgpr_count 0
		.amdhsa_exception_fp_ieee_invalid_op 0
		.amdhsa_exception_fp_denorm_src 0
		.amdhsa_exception_fp_ieee_div_zero 0
		.amdhsa_exception_fp_ieee_overflow 0
		.amdhsa_exception_fp_ieee_underflow 0
		.amdhsa_exception_fp_ieee_inexact 0
		.amdhsa_exception_int_div_zero 0
	.end_amdhsa_kernel
	.section	.text._ZN2at4cuda12_GLOBAL__N_121kernelPointwiseApply2IZNS_6native9templates4cuda28bernoulli_tensor_cuda_kernelIhfEEvRKNS_10TensorBaseES9_NS_15PhiloxCudaStateEEUliRhSB_SB_SB_RKfSD_SD_SD_E_hSC_jLi1ELi2ELi4ELi512ELi2EEEvNS0_6detail10TensorInfoIT0_T2_EENSG_IT1_SI_EESI_T_,"axG",@progbits,_ZN2at4cuda12_GLOBAL__N_121kernelPointwiseApply2IZNS_6native9templates4cuda28bernoulli_tensor_cuda_kernelIhfEEvRKNS_10TensorBaseES9_NS_15PhiloxCudaStateEEUliRhSB_SB_SB_RKfSD_SD_SD_E_hSC_jLi1ELi2ELi4ELi512ELi2EEEvNS0_6detail10TensorInfoIT0_T2_EENSG_IT1_SI_EESI_T_,comdat
.Lfunc_end12:
	.size	_ZN2at4cuda12_GLOBAL__N_121kernelPointwiseApply2IZNS_6native9templates4cuda28bernoulli_tensor_cuda_kernelIhfEEvRKNS_10TensorBaseES9_NS_15PhiloxCudaStateEEUliRhSB_SB_SB_RKfSD_SD_SD_E_hSC_jLi1ELi2ELi4ELi512ELi2EEEvNS0_6detail10TensorInfoIT0_T2_EENSG_IT1_SI_EESI_T_, .Lfunc_end12-_ZN2at4cuda12_GLOBAL__N_121kernelPointwiseApply2IZNS_6native9templates4cuda28bernoulli_tensor_cuda_kernelIhfEEvRKNS_10TensorBaseES9_NS_15PhiloxCudaStateEEUliRhSB_SB_SB_RKfSD_SD_SD_E_hSC_jLi1ELi2ELi4ELi512ELi2EEEvNS0_6detail10TensorInfoIT0_T2_EENSG_IT1_SI_EESI_T_
                                        ; -- End function
	.section	.AMDGPU.csdata,"",@progbits
; Kernel info:
; codeLenInByte = 3680
; NumSgprs: 42
; NumVgprs: 44
; ScratchSize: 0
; MemoryBound: 0
; FloatMode: 240
; IeeeMode: 1
; LDSByteSize: 0 bytes/workgroup (compile time only)
; SGPRBlocks: 5
; VGPRBlocks: 5
; NumSGPRsForWavesPerEU: 42
; NumVGPRsForWavesPerEU: 44
; Occupancy: 16
; WaveLimiterHint : 1
; COMPUTE_PGM_RSRC2:SCRATCH_EN: 0
; COMPUTE_PGM_RSRC2:USER_SGPR: 15
; COMPUTE_PGM_RSRC2:TRAP_HANDLER: 0
; COMPUTE_PGM_RSRC2:TGID_X_EN: 1
; COMPUTE_PGM_RSRC2:TGID_Y_EN: 0
; COMPUTE_PGM_RSRC2:TGID_Z_EN: 0
; COMPUTE_PGM_RSRC2:TIDIG_COMP_CNT: 0
	.section	.text._ZN2at4cuda12_GLOBAL__N_121kernelPointwiseApply2IZNS_6native9templates4cuda28bernoulli_tensor_cuda_kernelIhfEEvRKNS_10TensorBaseES9_NS_15PhiloxCudaStateEEUliRhSB_SB_SB_RKfSD_SD_SD_E_hSC_jLi1ELin1ELi4ELi512ELi2EEEvNS0_6detail10TensorInfoIT0_T2_EENSG_IT1_SI_EESI_T_,"axG",@progbits,_ZN2at4cuda12_GLOBAL__N_121kernelPointwiseApply2IZNS_6native9templates4cuda28bernoulli_tensor_cuda_kernelIhfEEvRKNS_10TensorBaseES9_NS_15PhiloxCudaStateEEUliRhSB_SB_SB_RKfSD_SD_SD_E_hSC_jLi1ELin1ELi4ELi512ELi2EEEvNS0_6detail10TensorInfoIT0_T2_EENSG_IT1_SI_EESI_T_,comdat
	.globl	_ZN2at4cuda12_GLOBAL__N_121kernelPointwiseApply2IZNS_6native9templates4cuda28bernoulli_tensor_cuda_kernelIhfEEvRKNS_10TensorBaseES9_NS_15PhiloxCudaStateEEUliRhSB_SB_SB_RKfSD_SD_SD_E_hSC_jLi1ELin1ELi4ELi512ELi2EEEvNS0_6detail10TensorInfoIT0_T2_EENSG_IT1_SI_EESI_T_ ; -- Begin function _ZN2at4cuda12_GLOBAL__N_121kernelPointwiseApply2IZNS_6native9templates4cuda28bernoulli_tensor_cuda_kernelIhfEEvRKNS_10TensorBaseES9_NS_15PhiloxCudaStateEEUliRhSB_SB_SB_RKfSD_SD_SD_E_hSC_jLi1ELin1ELi4ELi512ELi2EEEvNS0_6detail10TensorInfoIT0_T2_EENSG_IT1_SI_EESI_T_
	.p2align	8
	.type	_ZN2at4cuda12_GLOBAL__N_121kernelPointwiseApply2IZNS_6native9templates4cuda28bernoulli_tensor_cuda_kernelIhfEEvRKNS_10TensorBaseES9_NS_15PhiloxCudaStateEEUliRhSB_SB_SB_RKfSD_SD_SD_E_hSC_jLi1ELin1ELi4ELi512ELi2EEEvNS0_6detail10TensorInfoIT0_T2_EENSG_IT1_SI_EESI_T_,@function
_ZN2at4cuda12_GLOBAL__N_121kernelPointwiseApply2IZNS_6native9templates4cuda28bernoulli_tensor_cuda_kernelIhfEEvRKNS_10TensorBaseES9_NS_15PhiloxCudaStateEEUliRhSB_SB_SB_RKfSD_SD_SD_E_hSC_jLi1ELin1ELi4ELi512ELi2EEEvNS0_6detail10TensorInfoIT0_T2_EENSG_IT1_SI_EESI_T_: ; @_ZN2at4cuda12_GLOBAL__N_121kernelPointwiseApply2IZNS_6native9templates4cuda28bernoulli_tensor_cuda_kernelIhfEEvRKNS_10TensorBaseES9_NS_15PhiloxCudaStateEEUliRhSB_SB_SB_RKfSD_SD_SD_E_hSC_jLi1ELin1ELi4ELi512ELi2EEEvNS0_6detail10TensorInfoIT0_T2_EENSG_IT1_SI_EESI_T_
; %bb.0:
	s_clause 0x1
	s_load_b32 s4, s[0:1], 0x1e4
	s_load_b32 s20, s[0:1], 0x1b0
	s_add_u32 s2, s0, 0x1d8
	s_addc_u32 s3, s1, 0
	s_waitcnt lgkmcnt(0)
	s_and_b32 s14, s4, 0xffff
	s_mov_b32 s4, exec_lo
	v_mad_u64_u32 v[1:2], null, s15, s14, v[0:1]
	s_delay_alu instid0(VALU_DEP_1) | instskip(NEXT) | instid1(VALU_DEP_1)
	v_lshlrev_b32_e32 v28, 2, v1
	v_cmpx_gt_u32_e64 s20, v28
	s_cbranch_execz .LBB13_73
; %bb.1:
	s_load_b32 s16, s[0:1], 0x1a8
	s_load_b32 s2, s[2:3], 0x0
	s_clause 0x6
	s_load_b32 s3, s[0:1], 0x1d0
	s_load_b128 s[4:7], s[0:1], 0x1b8
	s_load_b64 s[8:9], s[0:1], 0x1c8
	s_load_b64 s[10:11], s[0:1], 0x0
	s_load_b32 s21, s[0:1], 0x6c
	s_load_b32 s22, s[0:1], 0x144
	s_load_b64 s[12:13], s[0:1], 0xd8
	s_add_u32 s17, s0, 0xd8
	s_addc_u32 s18, s1, 0
	v_mad_u64_u32 v[2:3], null, 0xcd9e8d57, v1, 0
	s_mov_b32 s15, 0
	v_mov_b32_e32 v4, 0
                                        ; implicit-def: $sgpr27
                                        ; implicit-def: $sgpr29
                                        ; implicit-def: $sgpr28
                                        ; implicit-def: $sgpr30
                                        ; implicit-def: $sgpr33
                                        ; implicit-def: $sgpr31
                                        ; implicit-def: $sgpr34
	s_delay_alu instid0(VALU_DEP_2)
	v_mov_b32_e32 v29, v3
	s_waitcnt lgkmcnt(0)
	s_cmp_gt_i32 s16, 1
	s_mul_i32 s2, s2, s14
	s_cselect_b32 s23, -1, 0
	s_bitcmp1_b32 s3, 0
	s_cselect_b32 s24, -1, 0
	s_add_i32 s14, s16, -1
	s_lshl_b32 s25, s2, 2
	s_lshl_b64 s[0:1], s[14:15], 2
	s_add_i32 s26, s16, 1
	s_add_u32 s0, s0, s17
	s_addc_u32 s1, s1, s18
	s_add_u32 s16, s0, 8
	s_addc_u32 s17, s1, 0
                                        ; implicit-def: $sgpr14
	s_branch .LBB13_3
.LBB13_2:                               ;   in Loop: Header=BB13_3 Depth=1
	s_or_b32 exec_lo, exec_lo, s1
	s_delay_alu instid0(SALU_CYCLE_1) | instskip(NEXT) | instid1(SALU_CYCLE_1)
	s_and_b32 s0, exec_lo, s0
	s_or_b32 s15, s0, s15
	s_and_not1_b32 s0, s14, exec_lo
	s_and_b32 s1, s34, exec_lo
	s_and_not1_b32 s2, s28, exec_lo
	s_and_b32 s3, s31, exec_lo
	s_or_b32 s14, s0, s1
	s_or_b32 s28, s2, s3
	s_and_not1_b32 s0, s29, exec_lo
	s_and_b32 s1, s33, exec_lo
	s_and_not1_b32 s2, s27, exec_lo
	s_and_b32 s3, s30, exec_lo
	s_or_b32 s29, s0, s1
	s_or_b32 s27, s2, s3
	s_and_not1_b32 exec_lo, exec_lo, s15
	s_cbranch_execz .LBB13_61
.LBB13_3:                               ; =>This Loop Header: Depth=1
                                        ;     Child Loop BB13_6 Depth 2
                                        ;     Child Loop BB13_11 Depth 2
                                        ;     Child Loop BB13_16 Depth 2
                                        ;     Child Loop BB13_21 Depth 2
	v_sub_nc_u32_e32 v31, s20, v28
	v_mov_b32_e32 v3, 0
	s_delay_alu instid0(VALU_DEP_2) | instskip(NEXT) | instid1(VALU_DEP_1)
	v_cmp_lt_i32_e64 s0, 0, v31
	s_and_saveexec_b32 s1, s0
	s_cbranch_execz .LBB13_8
; %bb.4:                                ;   in Loop: Header=BB13_3 Depth=1
	v_dual_mov_b32 v0, 0 :: v_dual_mov_b32 v3, v28
	s_and_not1_b32 vcc_lo, exec_lo, s23
	s_cbranch_vccnz .LBB13_7
; %bb.5:                                ;   in Loop: Header=BB13_3 Depth=1
	v_dual_mov_b32 v0, 0 :: v_dual_mov_b32 v3, v28
	s_mov_b64 s[2:3], s[16:17]
	s_mov_b32 s18, s26
	s_set_inst_prefetch_distance 0x1
	.p2align	6
.LBB13_6:                               ;   Parent Loop BB13_3 Depth=1
                                        ; =>  This Inner Loop Header: Depth=2
	s_clause 0x1
	s_load_b32 s19, s[2:3], 0x0
	s_load_b32 s35, s[2:3], 0x64
	v_mov_b32_e32 v7, v3
	s_add_i32 s18, s18, -1
	s_waitcnt lgkmcnt(0)
	v_cvt_f32_u32_e32 v5, s19
	s_sub_i32 s36, 0, s19
	s_add_u32 s2, s2, -4
	s_addc_u32 s3, s3, -1
	s_cmp_gt_u32 s18, 2
	v_rcp_iflag_f32_e32 v5, v5
	s_waitcnt_depctr 0xfff
	v_mul_f32_e32 v5, 0x4f7ffffe, v5
	s_delay_alu instid0(VALU_DEP_1) | instskip(NEXT) | instid1(VALU_DEP_1)
	v_cvt_u32_f32_e32 v5, v5
	v_mul_lo_u32 v6, s36, v5
	s_delay_alu instid0(VALU_DEP_1) | instskip(NEXT) | instid1(VALU_DEP_1)
	v_mul_hi_u32 v6, v5, v6
	v_add_nc_u32_e32 v3, v5, v6
	s_delay_alu instid0(VALU_DEP_1) | instskip(NEXT) | instid1(VALU_DEP_1)
	v_mul_hi_u32 v3, v7, v3
	v_add_nc_u32_e32 v6, 1, v3
	v_mul_lo_u32 v5, v3, s19
	s_delay_alu instid0(VALU_DEP_1) | instskip(NEXT) | instid1(VALU_DEP_1)
	v_sub_nc_u32_e32 v5, v7, v5
	v_subrev_nc_u32_e32 v8, s19, v5
	v_cmp_le_u32_e32 vcc_lo, s19, v5
	v_cndmask_b32_e32 v3, v3, v6, vcc_lo
	s_delay_alu instid0(VALU_DEP_1) | instskip(NEXT) | instid1(VALU_DEP_1)
	v_dual_cndmask_b32 v5, v5, v8 :: v_dual_add_nc_u32 v6, 1, v3
	v_cmp_le_u32_e32 vcc_lo, s19, v5
	s_delay_alu instid0(VALU_DEP_2) | instskip(NEXT) | instid1(VALU_DEP_1)
	v_cndmask_b32_e32 v3, v3, v6, vcc_lo
	v_mul_lo_u32 v5, v3, s19
	s_delay_alu instid0(VALU_DEP_1) | instskip(NEXT) | instid1(VALU_DEP_1)
	v_sub_nc_u32_e32 v7, v7, v5
	v_mad_u64_u32 v[5:6], null, s35, v7, v[0:1]
	s_delay_alu instid0(VALU_DEP_1)
	v_mov_b32_e32 v0, v5
	s_cbranch_scc1 .LBB13_6
.LBB13_7:                               ;   in Loop: Header=BB13_3 Depth=1
	s_set_inst_prefetch_distance 0x2
	s_delay_alu instid0(VALU_DEP_1) | instskip(NEXT) | instid1(VALU_DEP_1)
	v_mad_u64_u32 v[5:6], null, s22, v3, v[0:1]
	v_mov_b32_e32 v3, v5
.LBB13_8:                               ;   in Loop: Header=BB13_3 Depth=1
	s_or_b32 exec_lo, exec_lo, s1
	v_mov_b32_e32 v5, 0
	v_mov_b32_e32 v6, 0
	v_cmp_lt_i32_e64 s1, 1, v31
	s_delay_alu instid0(VALU_DEP_1)
	s_and_saveexec_b32 s18, s1
	s_cbranch_execz .LBB13_13
; %bb.9:                                ;   in Loop: Header=BB13_3 Depth=1
	v_or_b32_e32 v7, 1, v28
	v_mov_b32_e32 v0, 0
	s_and_not1_b32 vcc_lo, exec_lo, s23
	s_cbranch_vccnz .LBB13_12
; %bb.10:                               ;   in Loop: Header=BB13_3 Depth=1
	v_mov_b32_e32 v0, 0
	s_mov_b64 s[2:3], s[16:17]
	s_mov_b32 s19, s26
	s_set_inst_prefetch_distance 0x1
	.p2align	6
.LBB13_11:                              ;   Parent Loop BB13_3 Depth=1
                                        ; =>  This Inner Loop Header: Depth=2
	s_clause 0x1
	s_load_b32 s35, s[2:3], 0x0
	s_load_b32 s36, s[2:3], 0x64
	s_add_i32 s19, s19, -1
	v_mov_b32_e32 v8, v7
	s_waitcnt lgkmcnt(0)
	v_cvt_f32_u32_e32 v5, s35
	s_sub_i32 s37, 0, s35
	s_add_u32 s2, s2, -4
	s_addc_u32 s3, s3, -1
	s_cmp_gt_u32 s19, 2
	v_rcp_iflag_f32_e32 v5, v5
	s_waitcnt_depctr 0xfff
	v_mul_f32_e32 v5, 0x4f7ffffe, v5
	s_delay_alu instid0(VALU_DEP_1) | instskip(NEXT) | instid1(VALU_DEP_1)
	v_cvt_u32_f32_e32 v5, v5
	v_mul_lo_u32 v6, s37, v5
	s_delay_alu instid0(VALU_DEP_1) | instskip(NEXT) | instid1(VALU_DEP_1)
	v_mul_hi_u32 v6, v5, v6
	v_add_nc_u32_e32 v5, v5, v6
	s_delay_alu instid0(VALU_DEP_1) | instskip(NEXT) | instid1(VALU_DEP_1)
	v_mul_hi_u32 v5, v8, v5
	v_mul_lo_u32 v6, v5, s35
	v_add_nc_u32_e32 v7, 1, v5
	s_delay_alu instid0(VALU_DEP_2) | instskip(NEXT) | instid1(VALU_DEP_1)
	v_sub_nc_u32_e32 v6, v8, v6
	v_subrev_nc_u32_e32 v9, s35, v6
	v_cmp_le_u32_e32 vcc_lo, s35, v6
	s_delay_alu instid0(VALU_DEP_2) | instskip(NEXT) | instid1(VALU_DEP_1)
	v_dual_cndmask_b32 v5, v5, v7 :: v_dual_cndmask_b32 v6, v6, v9
	v_add_nc_u32_e32 v7, 1, v5
	s_delay_alu instid0(VALU_DEP_2) | instskip(NEXT) | instid1(VALU_DEP_2)
	v_cmp_le_u32_e32 vcc_lo, s35, v6
	v_cndmask_b32_e32 v7, v5, v7, vcc_lo
	s_delay_alu instid0(VALU_DEP_1) | instskip(NEXT) | instid1(VALU_DEP_1)
	v_mul_lo_u32 v5, v7, s35
	v_sub_nc_u32_e32 v8, v8, v5
	s_delay_alu instid0(VALU_DEP_1) | instskip(NEXT) | instid1(VALU_DEP_1)
	v_mad_u64_u32 v[5:6], null, s36, v8, v[0:1]
	v_mov_b32_e32 v0, v5
	s_cbranch_scc1 .LBB13_11
.LBB13_12:                              ;   in Loop: Header=BB13_3 Depth=1
	s_set_inst_prefetch_distance 0x2
	s_delay_alu instid0(VALU_DEP_1)
	v_mad_u64_u32 v[5:6], null, s22, v7, v[0:1]
	v_mov_b32_e32 v6, v4
.LBB13_13:                              ;   in Loop: Header=BB13_3 Depth=1
	s_or_b32 exec_lo, exec_lo, s18
	v_mov_b32_e32 v7, 0
	v_mov_b32_e32 v8, 0
	v_cmp_lt_i32_e64 s2, 2, v31
	s_delay_alu instid0(VALU_DEP_1)
	s_and_saveexec_b32 s3, s2
	s_cbranch_execz .LBB13_18
; %bb.14:                               ;   in Loop: Header=BB13_3 Depth=1
	v_or_b32_e32 v9, 2, v28
	v_mov_b32_e32 v0, 0
	s_and_not1_b32 vcc_lo, exec_lo, s23
	s_cbranch_vccnz .LBB13_17
; %bb.15:                               ;   in Loop: Header=BB13_3 Depth=1
	v_mov_b32_e32 v0, 0
	s_mov_b64 s[18:19], s[16:17]
	s_mov_b32 s35, s26
	s_set_inst_prefetch_distance 0x1
	.p2align	6
.LBB13_16:                              ;   Parent Loop BB13_3 Depth=1
                                        ; =>  This Inner Loop Header: Depth=2
	s_clause 0x1
	s_load_b32 s36, s[18:19], 0x0
	s_load_b32 s37, s[18:19], 0x64
	s_add_i32 s35, s35, -1
	v_mov_b32_e32 v10, v9
	s_waitcnt lgkmcnt(0)
	v_cvt_f32_u32_e32 v7, s36
	s_sub_i32 s38, 0, s36
	s_add_u32 s18, s18, -4
	s_addc_u32 s19, s19, -1
	s_cmp_gt_u32 s35, 2
	v_rcp_iflag_f32_e32 v7, v7
	s_waitcnt_depctr 0xfff
	v_mul_f32_e32 v7, 0x4f7ffffe, v7
	s_delay_alu instid0(VALU_DEP_1) | instskip(NEXT) | instid1(VALU_DEP_1)
	v_cvt_u32_f32_e32 v7, v7
	v_mul_lo_u32 v8, s38, v7
	s_delay_alu instid0(VALU_DEP_1) | instskip(NEXT) | instid1(VALU_DEP_1)
	v_mul_hi_u32 v8, v7, v8
	v_add_nc_u32_e32 v7, v7, v8
	s_delay_alu instid0(VALU_DEP_1) | instskip(NEXT) | instid1(VALU_DEP_1)
	v_mul_hi_u32 v7, v10, v7
	v_mul_lo_u32 v8, v7, s36
	v_add_nc_u32_e32 v9, 1, v7
	s_delay_alu instid0(VALU_DEP_2) | instskip(NEXT) | instid1(VALU_DEP_1)
	v_sub_nc_u32_e32 v8, v10, v8
	v_subrev_nc_u32_e32 v11, s36, v8
	v_cmp_le_u32_e32 vcc_lo, s36, v8
	s_delay_alu instid0(VALU_DEP_2) | instskip(NEXT) | instid1(VALU_DEP_1)
	v_dual_cndmask_b32 v7, v7, v9 :: v_dual_cndmask_b32 v8, v8, v11
	v_add_nc_u32_e32 v9, 1, v7
	s_delay_alu instid0(VALU_DEP_2) | instskip(NEXT) | instid1(VALU_DEP_2)
	v_cmp_le_u32_e32 vcc_lo, s36, v8
	v_cndmask_b32_e32 v9, v7, v9, vcc_lo
	s_delay_alu instid0(VALU_DEP_1) | instskip(NEXT) | instid1(VALU_DEP_1)
	v_mul_lo_u32 v7, v9, s36
	v_sub_nc_u32_e32 v10, v10, v7
	s_delay_alu instid0(VALU_DEP_1) | instskip(NEXT) | instid1(VALU_DEP_1)
	v_mad_u64_u32 v[7:8], null, s37, v10, v[0:1]
	v_mov_b32_e32 v0, v7
	s_cbranch_scc1 .LBB13_16
.LBB13_17:                              ;   in Loop: Header=BB13_3 Depth=1
	s_set_inst_prefetch_distance 0x2
	s_delay_alu instid0(VALU_DEP_1)
	v_mad_u64_u32 v[7:8], null, s22, v9, v[0:1]
	v_mov_b32_e32 v8, v4
.LBB13_18:                              ;   in Loop: Header=BB13_3 Depth=1
	s_or_b32 exec_lo, exec_lo, s3
	v_mul_lo_u32 v30, v28, s21
	v_mov_b32_e32 v9, 0
	s_mov_b32 s3, exec_lo
	s_delay_alu instid0(VALU_DEP_2) | instskip(NEXT) | instid1(VALU_DEP_1)
	v_add_nc_u32_e32 v32, s21, v30
	v_dual_mov_b32 v10, 0 :: v_dual_add_nc_u32 v33, s21, v32
	s_delay_alu instid0(VALU_DEP_1)
	v_dual_mov_b32 v12, v10 :: v_dual_mov_b32 v11, v9
	v_cmpx_lt_i32_e32 3, v31
	s_cbranch_execz .LBB13_23
; %bb.19:                               ;   in Loop: Header=BB13_3 Depth=1
	v_or_b32_e32 v11, 3, v28
	v_mov_b32_e32 v0, 0
	s_and_not1_b32 vcc_lo, exec_lo, s23
	s_cbranch_vccnz .LBB13_22
; %bb.20:                               ;   in Loop: Header=BB13_3 Depth=1
	v_mov_b32_e32 v0, 0
	s_mov_b64 s[18:19], s[16:17]
	s_mov_b32 s35, s26
	s_set_inst_prefetch_distance 0x1
	.p2align	6
.LBB13_21:                              ;   Parent Loop BB13_3 Depth=1
                                        ; =>  This Inner Loop Header: Depth=2
	s_clause 0x1
	s_load_b32 s36, s[18:19], 0x0
	s_load_b32 s37, s[18:19], 0x64
	s_add_i32 s35, s35, -1
	v_mov_b32_e32 v12, v11
	s_waitcnt lgkmcnt(0)
	v_cvt_f32_u32_e32 v9, s36
	s_sub_i32 s38, 0, s36
	s_add_u32 s18, s18, -4
	s_addc_u32 s19, s19, -1
	s_cmp_gt_u32 s35, 2
	v_rcp_iflag_f32_e32 v9, v9
	s_waitcnt_depctr 0xfff
	v_mul_f32_e32 v9, 0x4f7ffffe, v9
	s_delay_alu instid0(VALU_DEP_1) | instskip(NEXT) | instid1(VALU_DEP_1)
	v_cvt_u32_f32_e32 v9, v9
	v_mul_lo_u32 v10, s38, v9
	s_delay_alu instid0(VALU_DEP_1) | instskip(NEXT) | instid1(VALU_DEP_1)
	v_mul_hi_u32 v10, v9, v10
	v_add_nc_u32_e32 v9, v9, v10
	s_delay_alu instid0(VALU_DEP_1) | instskip(NEXT) | instid1(VALU_DEP_1)
	v_mul_hi_u32 v9, v12, v9
	v_mul_lo_u32 v10, v9, s36
	v_add_nc_u32_e32 v11, 1, v9
	s_delay_alu instid0(VALU_DEP_2) | instskip(NEXT) | instid1(VALU_DEP_1)
	v_sub_nc_u32_e32 v10, v12, v10
	v_subrev_nc_u32_e32 v13, s36, v10
	v_cmp_le_u32_e32 vcc_lo, s36, v10
	s_delay_alu instid0(VALU_DEP_2) | instskip(NEXT) | instid1(VALU_DEP_1)
	v_dual_cndmask_b32 v9, v9, v11 :: v_dual_cndmask_b32 v10, v10, v13
	v_add_nc_u32_e32 v11, 1, v9
	s_delay_alu instid0(VALU_DEP_2) | instskip(NEXT) | instid1(VALU_DEP_2)
	v_cmp_le_u32_e32 vcc_lo, s36, v10
	v_cndmask_b32_e32 v11, v9, v11, vcc_lo
	s_delay_alu instid0(VALU_DEP_1) | instskip(NEXT) | instid1(VALU_DEP_1)
	v_mul_lo_u32 v9, v11, s36
	v_sub_nc_u32_e32 v12, v12, v9
	s_delay_alu instid0(VALU_DEP_1) | instskip(NEXT) | instid1(VALU_DEP_1)
	v_mad_u64_u32 v[9:10], null, s37, v12, v[0:1]
	v_mov_b32_e32 v0, v9
	s_cbranch_scc1 .LBB13_21
.LBB13_22:                              ;   in Loop: Header=BB13_3 Depth=1
	s_set_inst_prefetch_distance 0x2
	s_delay_alu instid0(VALU_DEP_1)
	v_mad_u64_u32 v[9:10], null, s22, v11, v[0:1]
	v_dual_mov_b32 v12, v4 :: v_dual_add_nc_u32 v11, s21, v33
	v_mov_b32_e32 v10, v4
.LBB13_23:                              ;   in Loop: Header=BB13_3 Depth=1
	s_or_b32 exec_lo, exec_lo, s3
	s_delay_alu instid0(VALU_DEP_1) | instskip(SKIP_2) | instid1(VALU_DEP_3)
	v_lshlrev_b64 v[9:10], 2, v[9:10]
	v_dual_mov_b32 v16, s7 :: v_dual_mov_b32 v15, s6
	v_dual_mov_b32 v18, s5 :: v_dual_mov_b32 v17, s4
	v_add_co_u32 v9, vcc_lo, s12, v9
	s_delay_alu instid0(VALU_DEP_4)
	v_add_co_ci_u32_e32 v10, vcc_lo, s13, v10, vcc_lo
	s_and_not1_b32 vcc_lo, exec_lo, s24
	global_load_b32 v0, v[9:10], off
	s_cbranch_vccnz .LBB13_25
; %bb.24:                               ;   in Loop: Header=BB13_3 Depth=1
	v_dual_mov_b32 v10, s7 :: v_dual_mov_b32 v9, s6
	v_dual_mov_b32 v14, s5 :: v_dual_mov_b32 v13, s4
	flat_load_b64 v[9:10], v[9:10]
	flat_load_b64 v[17:18], v[13:14]
	s_waitcnt vmcnt(1) lgkmcnt(1)
	v_add_co_u32 v15, vcc_lo, v9, s8
	v_add_co_ci_u32_e32 v16, vcc_lo, s9, v10, vcc_lo
.LBB13_25:                              ;   in Loop: Header=BB13_3 Depth=1
	s_delay_alu instid0(VALU_DEP_1)
	v_alignbit_b32 v19, v16, v15, 2
	v_lshrrev_b32_e32 v13, 2, v16
	s_waitcnt vmcnt(0) lgkmcnt(0)
	v_add_nc_u32_e32 v34, 0x9e3779b9, v17
	v_add_nc_u32_e32 v36, 0x3c6ef372, v17
	;; [unrolled: 1-line block ×3, first 2 shown]
	v_add_co_u32 v14, vcc_lo, v19, 1
	s_delay_alu instid0(VALU_DEP_1) | instskip(SKIP_4) | instid1(VALU_DEP_4)
	v_cndmask_b32_e64 v9, 0, 1, vcc_lo
	v_add_co_ci_u32_e32 v16, vcc_lo, 0, v13, vcc_lo
	v_xor3_b32 v21, v29, v17, v13
	v_add_nc_u32_e32 v38, 0x32370b8f, v18
	v_add_nc_u32_e32 v39, 0xed9eba14, v18
	v_cmp_eq_u32_e32 vcc_lo, 0, v16
	v_add_nc_u32_e32 v40, 0x1fd5c5a3, v18
	s_mov_b32 s3, exec_lo
	v_dual_cndmask_b32 v20, 0, v9 :: v_dual_add_nc_u32 v35, 0xbb67ae85, v18
	v_mad_u64_u32 v[9:10], null, 0xd2511f53, v14, 0
	v_mad_u64_u32 v[13:14], null, 0xd2511f53, v19, 0
	s_delay_alu instid0(VALU_DEP_3) | instskip(NEXT) | instid1(VALU_DEP_3)
	v_add_nc_u32_e32 v23, v20, v1
	v_xor_b32_e32 v10, v10, v18
	s_delay_alu instid0(VALU_DEP_2) | instskip(SKIP_1) | instid1(VALU_DEP_1)
	v_cmp_eq_u32_e32 vcc_lo, 0, v23
	v_cndmask_b32_e32 v20, 0, v20, vcc_lo
	v_xor_b32_e32 v10, v20, v10
	v_mad_u64_u32 v[19:20], null, 0xd2511f53, v21, 0
	v_mad_u64_u32 v[21:22], null, 0xcd9e8d57, v23, 0
	s_delay_alu instid0(VALU_DEP_3) | instskip(SKIP_1) | instid1(VALU_DEP_4)
	v_mad_u64_u32 v[23:24], null, 0xcd9e8d57, v10, 0
	v_xor_b32_e32 v10, v14, v18
	v_xor3_b32 v25, v35, v20, v13
	s_delay_alu instid0(VALU_DEP_2) | instskip(SKIP_2) | instid1(VALU_DEP_4)
	v_mad_u64_u32 v[13:14], null, 0xcd9e8d57, v10, 0
	v_xor3_b32 v10, v22, v17, v16
	v_xor3_b32 v16, v34, v24, v21
	v_mad_u64_u32 v[20:21], null, 0xcd9e8d57, v25, 0
	s_delay_alu instid0(VALU_DEP_3) | instskip(NEXT) | instid1(VALU_DEP_3)
	v_mad_u64_u32 v[24:25], null, 0xd2511f53, v10, 0
	v_mad_u64_u32 v[26:27], null, 0xd2511f53, v16, 0
	v_xor3_b32 v10, v2, v14, v34
	s_delay_alu instid0(VALU_DEP_4) | instskip(SKIP_2) | instid1(VALU_DEP_4)
	v_xor3_b32 v21, v36, v21, v13
	v_add_nc_u32_e32 v16, 0xdaa66d2b, v17
	v_xor3_b32 v25, v35, v25, v9
	v_mad_u64_u32 v[13:14], null, 0xd2511f53, v10, 0
	v_xor3_b32 v27, v37, v27, v24
	v_mad_u64_u32 v[9:10], null, 0xd2511f53, v21, 0
	s_delay_alu instid0(VALU_DEP_4) | instskip(NEXT) | instid1(VALU_DEP_3)
	v_mad_u64_u32 v[21:22], null, 0xcd9e8d57, v25, 0
	v_mad_u64_u32 v[24:25], null, 0xcd9e8d57, v27, 0
	v_xor3_b32 v19, v37, v14, v19
	v_add_nc_u32_e32 v27, 0x78dde6e4, v17
	v_xor3_b32 v10, v38, v10, v13
	s_delay_alu instid0(VALU_DEP_3) | instskip(SKIP_2) | instid1(VALU_DEP_4)
	v_mad_u64_u32 v[13:14], null, 0xcd9e8d57, v19, 0
	v_xor3_b32 v19, v36, v22, v23
	v_xor3_b32 v23, v16, v25, v21
	v_mad_u64_u32 v[21:22], null, 0xcd9e8d57, v10, 0
	s_delay_alu instid0(VALU_DEP_3) | instskip(NEXT) | instid1(VALU_DEP_3)
	v_mad_u64_u32 v[34:35], null, 0xd2511f53, v19, 0
	v_mad_u64_u32 v[36:37], null, 0xd2511f53, v23, 0
	v_xor3_b32 v10, v16, v14, v20
	s_delay_alu instid0(VALU_DEP_4) | instskip(SKIP_2) | instid1(VALU_DEP_4)
	v_xor3_b32 v19, v27, v22, v13
	v_add_nc_u32_e32 v16, 0x1715609d, v17
	v_add_nc_u32_e32 v23, 0xa9066899, v18
	v_mad_u64_u32 v[13:14], null, 0xd2511f53, v10, 0
	v_xor3_b32 v10, v38, v35, v26
	v_xor3_b32 v22, v39, v37, v34
	v_mad_u64_u32 v[25:26], null, 0xd2511f53, v19, 0
	v_add_nc_u32_e32 v35, 0xb54cda56, v17
	s_delay_alu instid0(VALU_DEP_4) | instskip(NEXT) | instid1(VALU_DEP_4)
	v_mad_u64_u32 v[19:20], null, 0xcd9e8d57, v10, 0
	v_mad_u64_u32 v[37:38], null, 0xcd9e8d57, v22, 0
	v_xor3_b32 v14, v39, v14, v9
	v_xor3_b32 v22, v23, v26, v13
	v_add_nc_u32_e32 v34, 0x646e171e, v18
	v_xor3_b32 v24, v27, v20, v24
	s_delay_alu instid0(VALU_DEP_4) | instskip(SKIP_2) | instid1(VALU_DEP_4)
	v_mad_u64_u32 v[9:10], null, 0xcd9e8d57, v14, 0
	v_xor3_b32 v26, v16, v38, v19
	v_mad_u64_u32 v[13:14], null, 0xcd9e8d57, v22, 0
	v_mad_u64_u32 v[19:20], null, 0xd2511f53, v24, 0
	s_delay_alu instid0(VALU_DEP_3) | instskip(SKIP_3) | instid1(VALU_DEP_3)
	v_mad_u64_u32 v[38:39], null, 0xd2511f53, v26, 0
	v_xor3_b32 v16, v16, v10, v21
	v_add_nc_u32_e32 v24, 0x5384540f, v17
	v_xor3_b32 v14, v35, v14, v9
	v_mad_u64_u32 v[9:10], null, 0xd2511f53, v16, 0
	v_xor3_b32 v16, v23, v20, v36
	v_xor3_b32 v21, v34, v39, v19
	s_delay_alu instid0(VALU_DEP_4) | instskip(NEXT) | instid1(VALU_DEP_3)
	v_mad_u64_u32 v[19:20], null, 0xd2511f53, v14, 0
	v_mad_u64_u32 v[26:27], null, 0xcd9e8d57, v16, 0
	s_delay_alu instid0(VALU_DEP_3) | instskip(SKIP_1) | instid1(VALU_DEP_4)
	v_mad_u64_u32 v[22:23], null, 0xcd9e8d57, v21, 0
	v_xor3_b32 v14, v34, v10, v25
	v_xor3_b32 v16, v40, v20, v9
	v_add_co_u32 v34, null, 0xf1bbcdc8, v17
	s_delay_alu instid0(VALU_DEP_3) | instskip(SKIP_4) | instid1(VALU_DEP_4)
	v_mad_u64_u32 v[9:10], null, 0xcd9e8d57, v14, 0
	v_xor3_b32 v14, v35, v27, v37
	v_xor3_b32 v23, v24, v23, v26
	v_mad_u64_u32 v[20:21], null, 0xcd9e8d57, v16, 0
	v_add_nc_u32_e32 v35, 0xdb3d7428, v18
	v_mad_u64_u32 v[36:37], null, 0xd2511f53, v14, 0
	s_delay_alu instid0(VALU_DEP_4) | instskip(SKIP_4) | instid1(VALU_DEP_4)
	v_mad_u64_u32 v[25:26], null, 0xd2511f53, v23, 0
	v_xor3_b32 v10, v24, v10, v13
	v_xor3_b32 v13, v34, v21, v9
	v_add_nc_u32_e32 v21, 0x8ff34781, v17
	v_xor3_b32 v14, v40, v37, v38
	v_mad_u64_u32 v[23:24], null, 0xd2511f53, v10, 0
	v_xor3_b32 v16, v35, v26, v36
	v_mad_u64_u32 v[9:10], null, 0xd2511f53, v13, 0
	s_delay_alu instid0(VALU_DEP_4) | instskip(NEXT) | instid1(VALU_DEP_3)
	v_mad_u64_u32 v[26:27], null, 0xcd9e8d57, v14, 0
	v_mad_u64_u32 v[13:14], null, 0xcd9e8d57, v16, 0
	v_add_nc_u32_e32 v36, 0x96a522ad, v18
	v_and_b32_e32 v18, 3, v15
                                        ; implicit-def: $vgpr16
	s_delay_alu instid0(VALU_DEP_2) | instskip(NEXT) | instid1(VALU_DEP_4)
	v_xor3_b32 v17, v10, v23, v36
	v_xor3_b32 v10, v14, v26, v21
	s_delay_alu instid0(VALU_DEP_3)
	v_cmpx_lt_i32_e32 1, v18
	s_xor_b32 s3, exec_lo, s3
	s_cbranch_execz .LBB13_31
; %bb.26:                               ;   in Loop: Header=BB13_3 Depth=1
	s_mov_b32 s18, exec_lo
                                        ; implicit-def: $vgpr16
	v_cmpx_lt_i32_e32 2, v18
	s_xor_b32 s18, exec_lo, s18
; %bb.27:                               ;   in Loop: Header=BB13_3 Depth=1
	v_xor3_b32 v14, v34, v27, v22
                                        ; implicit-def: $vgpr17
	s_delay_alu instid0(VALU_DEP_1) | instskip(NEXT) | instid1(VALU_DEP_1)
	v_mul_hi_u32 v14, 0xd2511f53, v14
	v_xor3_b32 v16, v14, v25, v36
; %bb.28:                               ;   in Loop: Header=BB13_3 Depth=1
	s_and_not1_saveexec_b32 s18, s18
; %bb.29:                               ;   in Loop: Header=BB13_3 Depth=1
	v_dual_mov_b32 v16, v13 :: v_dual_mov_b32 v13, v10
	v_mov_b32_e32 v10, v9
	v_mov_b32_e32 v9, v17
; %bb.30:                               ;   in Loop: Header=BB13_3 Depth=1
	s_or_b32 exec_lo, exec_lo, s18
                                        ; implicit-def: $vgpr19_vgpr20
                                        ; implicit-def: $vgpr18
                                        ; implicit-def: $vgpr17
                                        ; implicit-def: $vgpr35
                                        ; implicit-def: $vgpr23_vgpr24
                                        ; implicit-def: $vgpr20_vgpr21
                                        ; implicit-def: $vgpr21
.LBB13_31:                              ;   in Loop: Header=BB13_3 Depth=1
	s_and_not1_saveexec_b32 s3, s3
	s_cbranch_execz .LBB13_35
; %bb.32:                               ;   in Loop: Header=BB13_3 Depth=1
	v_xor3_b32 v13, v35, v24, v19
	v_cmp_eq_u32_e32 vcc_lo, 1, v18
	s_delay_alu instid0(VALU_DEP_2) | instskip(SKIP_2) | instid1(VALU_DEP_3)
	v_mad_u64_u32 v[14:15], null, 0xcd9e8d57, v13, 0
	v_mov_b32_e32 v16, v9
	v_mov_b32_e32 v13, v17
	v_xor3_b32 v18, v15, v20, v21
	s_delay_alu instid0(VALU_DEP_4)
	v_mov_b32_e32 v15, v14
	s_and_saveexec_b32 s18, vcc_lo
; %bb.33:                               ;   in Loop: Header=BB13_3 Depth=1
	v_dual_mov_b32 v16, v10 :: v_dual_mov_b32 v13, v9
	v_dual_mov_b32 v15, v17 :: v_dual_mov_b32 v18, v14
; %bb.34:                               ;   in Loop: Header=BB13_3 Depth=1
	s_or_b32 exec_lo, exec_lo, s18
	s_delay_alu instid0(VALU_DEP_1)
	v_dual_mov_b32 v9, v18 :: v_dual_mov_b32 v10, v15
.LBB13_35:                              ;   in Loop: Header=BB13_3 Depth=1
	s_or_b32 exec_lo, exec_lo, s3
	v_min_i32_e32 v14, 4, v31
	s_mov_b32 s18, 0
	s_mov_b32 s38, 0
	;; [unrolled: 1-line block ×3, first 2 shown]
	s_mov_b32 s37, exec_lo
                                        ; implicit-def: $sgpr19
                                        ; implicit-def: $sgpr35
                                        ; implicit-def: $sgpr36
	v_cmpx_lt_i32_e32 2, v14
	s_xor_b32 s37, exec_lo, s37
	s_cbranch_execz .LBB13_47
; %bb.36:                               ;   in Loop: Header=BB13_3 Depth=1
	s_mov_b32 s3, -1
	s_mov_b32 s40, 0
	s_mov_b32 s35, exec_lo
                                        ; implicit-def: $sgpr19
                                        ; implicit-def: $sgpr39
	v_cmpx_lt_i32_e32 3, v14
	s_cbranch_execz .LBB13_42
; %bb.37:                               ;   in Loop: Header=BB13_3 Depth=1
	s_mov_b32 s3, 0
	s_mov_b32 s40, -1
	s_mov_b32 s36, exec_lo
                                        ; implicit-def: $sgpr19
                                        ; implicit-def: $sgpr39
	v_cmpx_eq_u32_e32 4, v14
	s_cbranch_execz .LBB13_41
; %bb.38:                               ;   in Loop: Header=BB13_3 Depth=1
	v_cmp_le_f32_e32 vcc_lo, 0, v0
	v_cmp_ge_f32_e64 s3, 1.0, v0
	s_mov_b32 s19, 0
	s_delay_alu instid0(VALU_DEP_1)
	s_and_b32 s40, vcc_lo, s3
	s_mov_b32 s3, 0
	s_and_saveexec_b32 s39, s40
	s_cbranch_execz .LBB13_40
; %bb.39:                               ;   in Loop: Header=BB13_3 Depth=1
	v_cvt_f32_u32_e32 v15, v16
	v_add_co_u32 v11, vcc_lo, s10, v11
	v_add_co_ci_u32_e32 v12, vcc_lo, s11, v12, vcc_lo
	s_delay_alu instid0(VALU_DEP_3) | instskip(SKIP_1) | instid1(VALU_DEP_1)
	v_fmaak_f32 v15, 0x2f800000, v15, 0x2f800000
	s_mov_b32 s3, exec_lo
	v_cmp_le_f32_e32 vcc_lo, v15, v0
	v_cndmask_b32_e64 v0, 0, 1, vcc_lo
	global_store_b8 v[11:12], v0, off
.LBB13_40:                              ;   in Loop: Header=BB13_3 Depth=1
	s_or_b32 exec_lo, exec_lo, s39
	s_mov_b32 s39, -1
	s_xor_b32 s40, exec_lo, -1
	s_and_b32 s3, s3, exec_lo
.LBB13_41:                              ;   in Loop: Header=BB13_3 Depth=1
	s_or_b32 exec_lo, exec_lo, s36
	s_delay_alu instid0(SALU_CYCLE_1)
	s_and_b32 s40, s40, exec_lo
	s_or_not1_b32 s3, s3, exec_lo
.LBB13_42:                              ;   in Loop: Header=BB13_3 Depth=1
	s_or_b32 exec_lo, exec_lo, s35
	s_mov_b32 s36, s19
	s_and_saveexec_b32 s35, s3
	s_cbranch_execz .LBB13_46
; %bb.43:                               ;   in Loop: Header=BB13_3 Depth=1
	v_lshlrev_b64 v[7:8], 2, v[7:8]
	s_delay_alu instid0(VALU_DEP_1) | instskip(NEXT) | instid1(VALU_DEP_2)
	v_add_co_u32 v7, vcc_lo, s12, v7
	v_add_co_ci_u32_e32 v8, vcc_lo, s13, v8, vcc_lo
	global_load_b32 v0, v[7:8], off
	s_waitcnt vmcnt(0)
	v_cmp_le_f32_e32 vcc_lo, 0, v0
	v_cmp_ge_f32_e64 s3, 1.0, v0
	s_delay_alu instid0(VALU_DEP_1) | instskip(SKIP_2) | instid1(SALU_CYCLE_1)
	s_and_b32 s36, vcc_lo, s3
	s_mov_b32 s3, 0
	s_and_saveexec_b32 s38, s36
	s_xor_b32 s36, exec_lo, s38
	s_cbranch_execz .LBB13_45
; %bb.44:                               ;   in Loop: Header=BB13_3 Depth=1
	v_cvt_f32_u32_e32 v7, v13
	v_cndmask_b32_e64 v8, 0, v33, s2
	s_mov_b32 s3, exec_lo
	s_delay_alu instid0(VALU_DEP_2) | instskip(NEXT) | instid1(VALU_DEP_1)
	v_fmaak_f32 v7, 0x2f800000, v7, 0x2f800000
	v_cmp_le_f32_e32 vcc_lo, v7, v0
	v_cndmask_b32_e64 v0, 0, 1, vcc_lo
	global_store_b8 v8, v0, s[10:11]
.LBB13_45:                              ;   in Loop: Header=BB13_3 Depth=1
	s_or_b32 exec_lo, exec_lo, s36
	s_delay_alu instid0(SALU_CYCLE_1)
	s_and_not1_b32 s36, s19, exec_lo
	s_or_b32 s19, s19, exec_lo
	s_and_not1_b32 s39, s39, exec_lo
	s_and_b32 s38, s3, exec_lo
.LBB13_46:                              ;   in Loop: Header=BB13_3 Depth=1
	s_or_b32 exec_lo, exec_lo, s35
	s_delay_alu instid0(SALU_CYCLE_1)
	s_and_b32 s36, s36, exec_lo
	s_and_b32 s35, s19, exec_lo
	s_and_b32 s19, s39, exec_lo
	s_and_b32 s3, s40, exec_lo
	s_and_b32 s38, s38, exec_lo
.LBB13_47:                              ;   in Loop: Header=BB13_3 Depth=1
	s_and_not1_saveexec_b32 s2, s37
; %bb.48:                               ;   in Loop: Header=BB13_3 Depth=1
	v_cmp_lt_i32_e32 vcc_lo, 1, v14
	s_and_not1_b32 s37, s38, exec_lo
	s_mov_b32 s18, exec_lo
	s_and_not1_b32 s36, s36, exec_lo
	s_and_not1_b32 s35, s35, exec_lo
	s_and_b32 s38, vcc_lo, exec_lo
	s_and_not1_b32 s19, s19, exec_lo
	s_or_b32 s38, s37, s38
; %bb.49:                               ;   in Loop: Header=BB13_3 Depth=1
	s_or_b32 exec_lo, exec_lo, s2
	s_mov_b32 s37, 0
	s_mov_b32 s2, s36
	s_and_saveexec_b32 s39, s38
	s_cbranch_execnz .LBB13_52
; %bb.50:                               ;   in Loop: Header=BB13_3 Depth=1
	s_or_b32 exec_lo, exec_lo, s39
	s_and_saveexec_b32 s1, s18
	s_cbranch_execnz .LBB13_55
.LBB13_51:                              ;   in Loop: Header=BB13_3 Depth=1
	s_or_b32 exec_lo, exec_lo, s1
	s_and_saveexec_b32 s18, s37
	s_cbranch_execnz .LBB13_56
	s_branch .LBB13_59
.LBB13_52:                              ;   in Loop: Header=BB13_3 Depth=1
	v_lshlrev_b64 v[5:6], 2, v[5:6]
	s_delay_alu instid0(VALU_DEP_1) | instskip(NEXT) | instid1(VALU_DEP_2)
	v_add_co_u32 v5, vcc_lo, s12, v5
	v_add_co_ci_u32_e32 v6, vcc_lo, s13, v6, vcc_lo
	global_load_b32 v0, v[5:6], off
	s_waitcnt vmcnt(0)
	v_cmp_le_f32_e32 vcc_lo, 0, v0
	v_cmp_ge_f32_e64 s2, 1.0, v0
	s_delay_alu instid0(VALU_DEP_1) | instskip(NEXT) | instid1(SALU_CYCLE_1)
	s_and_b32 s2, vcc_lo, s2
	s_and_saveexec_b32 s38, s2
	s_delay_alu instid0(SALU_CYCLE_1)
	s_xor_b32 s2, exec_lo, s38
	s_cbranch_execz .LBB13_54
; %bb.53:                               ;   in Loop: Header=BB13_3 Depth=1
	v_cvt_f32_u32_e32 v5, v10
	v_cndmask_b32_e64 v6, 0, v32, s1
	s_mov_b32 s37, exec_lo
	s_delay_alu instid0(VALU_DEP_2) | instskip(NEXT) | instid1(VALU_DEP_1)
	v_fmaak_f32 v5, 0x2f800000, v5, 0x2f800000
	v_cmp_le_f32_e32 vcc_lo, v5, v0
	v_cndmask_b32_e64 v0, 0, 1, vcc_lo
	global_store_b8 v6, v0, s[10:11]
.LBB13_54:                              ;   in Loop: Header=BB13_3 Depth=1
	s_or_b32 exec_lo, exec_lo, s2
	s_delay_alu instid0(SALU_CYCLE_1)
	s_and_not1_b32 s2, s36, exec_lo
	s_or_b32 s36, s36, exec_lo
	s_and_not1_b32 s35, s35, exec_lo
	s_and_not1_b32 s19, s19, exec_lo
	s_and_b32 s37, s37, exec_lo
	s_and_not1_b32 s18, s18, exec_lo
	s_or_b32 exec_lo, exec_lo, s39
	s_and_saveexec_b32 s1, s18
	s_cbranch_execz .LBB13_51
.LBB13_55:                              ;   in Loop: Header=BB13_3 Depth=1
	v_cmp_eq_u32_e32 vcc_lo, 1, v14
	s_and_not1_b32 s18, s37, exec_lo
	s_and_not1_b32 s2, s2, exec_lo
	;; [unrolled: 1-line block ×4, first 2 shown]
	s_and_b32 s37, vcc_lo, exec_lo
	s_and_not1_b32 s19, s19, exec_lo
	s_or_b32 s3, s3, exec_lo
	s_or_b32 s37, s18, s37
	s_or_b32 exec_lo, exec_lo, s1
	s_and_saveexec_b32 s18, s37
	s_cbranch_execz .LBB13_59
.LBB13_56:                              ;   in Loop: Header=BB13_3 Depth=1
	v_lshlrev_b64 v[5:6], 2, v[3:4]
	s_mov_b32 s37, 0
	s_delay_alu instid0(VALU_DEP_1) | instskip(NEXT) | instid1(VALU_DEP_2)
	v_add_co_u32 v5, vcc_lo, s12, v5
	v_add_co_ci_u32_e32 v6, vcc_lo, s13, v6, vcc_lo
	global_load_b32 v0, v[5:6], off
	s_waitcnt vmcnt(0)
	v_cmp_le_f32_e32 vcc_lo, 0, v0
	v_cmp_ge_f32_e64 s1, 1.0, v0
	s_delay_alu instid0(VALU_DEP_1) | instskip(NEXT) | instid1(SALU_CYCLE_1)
	s_and_b32 s38, vcc_lo, s1
	s_and_saveexec_b32 s1, s38
	s_cbranch_execz .LBB13_58
; %bb.57:                               ;   in Loop: Header=BB13_3 Depth=1
	v_cvt_f32_u32_e32 v3, v9
	v_cndmask_b32_e64 v5, 0, v30, s0
	s_mov_b32 s37, exec_lo
	s_delay_alu instid0(VALU_DEP_2) | instskip(NEXT) | instid1(VALU_DEP_1)
	v_fmaak_f32 v3, 0x2f800000, v3, 0x2f800000
	v_cmp_le_f32_e32 vcc_lo, v3, v0
	v_cndmask_b32_e64 v0, 0, 1, vcc_lo
	global_store_b8 v5, v0, s[10:11]
.LBB13_58:                              ;   in Loop: Header=BB13_3 Depth=1
	s_or_b32 exec_lo, exec_lo, s1
	s_delay_alu instid0(SALU_CYCLE_1)
	s_and_not1_b32 s0, s3, exec_lo
	s_and_b32 s1, s37, exec_lo
	s_or_b32 s2, s2, exec_lo
	s_and_not1_b32 s36, s36, exec_lo
	s_and_not1_b32 s35, s35, exec_lo
	;; [unrolled: 1-line block ×3, first 2 shown]
	s_or_b32 s3, s0, s1
.LBB13_59:                              ;   in Loop: Header=BB13_3 Depth=1
	s_or_b32 exec_lo, exec_lo, s18
	s_delay_alu instid0(SALU_CYCLE_1)
	s_and_not1_b32 s1, s34, exec_lo
	s_and_b32 s2, s2, exec_lo
	s_and_not1_b32 s18, s31, exec_lo
	s_and_b32 s31, s36, exec_lo
	s_or_b32 s34, s1, s2
	s_or_b32 s31, s18, s31
	s_and_not1_b32 s1, s33, exec_lo
	s_and_b32 s2, s35, exec_lo
	s_and_not1_b32 s18, s30, exec_lo
	s_and_b32 s19, s19, exec_lo
	s_mov_b32 s0, -1
	s_or_b32 s33, s1, s2
	s_or_b32 s30, s18, s19
	s_and_saveexec_b32 s1, s3
	s_cbranch_execz .LBB13_2
; %bb.60:                               ;   in Loop: Header=BB13_3 Depth=1
	v_add_nc_u32_e32 v28, s25, v28
	s_and_not1_b32 s34, s34, exec_lo
	s_and_not1_b32 s31, s31, exec_lo
	;; [unrolled: 1-line block ×4, first 2 shown]
	v_cmp_le_u32_e32 vcc_lo, s20, v28
	s_or_not1_b32 s0, vcc_lo, exec_lo
	s_branch .LBB13_2
.LBB13_61:
	s_or_b32 exec_lo, exec_lo, s15
	s_xor_b32 s3, s28, -1
	s_xor_b32 s4, s29, -1
	s_xor_b32 s0, s27, -1
	s_mov_b32 s1, 0
	s_and_saveexec_b32 s2, s0
	s_delay_alu instid0(SALU_CYCLE_1)
	s_xor_b32 s0, exec_lo, s2
	s_cbranch_execz .LBB13_70
; %bb.62:
	s_mov_b32 s2, 0
	s_and_saveexec_b32 s1, s4
	s_delay_alu instid0(SALU_CYCLE_1)
	s_xor_b32 s1, exec_lo, s1
	s_cbranch_execz .LBB13_68
; %bb.63:
	s_and_saveexec_b32 s4, s3
	s_delay_alu instid0(SALU_CYCLE_1)
	s_xor_b32 s3, exec_lo, s4
	s_cbranch_execz .LBB13_66
; %bb.64:
	s_and_saveexec_b32 s4, s14
	s_delay_alu instid0(SALU_CYCLE_1)
	s_xor_b32 s4, exec_lo, s4
	s_cbranch_execnz .LBB13_84
.LBB13_65:
	s_or_b32 exec_lo, exec_lo, s4
	s_delay_alu instid0(SALU_CYCLE_1)
	s_and_b32 s2, s2, exec_lo
.LBB13_66:
	s_and_not1_saveexec_b32 s3, s3
	s_cbranch_execnz .LBB13_80
.LBB13_67:
	s_or_b32 exec_lo, exec_lo, s3
	s_delay_alu instid0(SALU_CYCLE_1)
	s_and_b32 s2, s2, exec_lo
.LBB13_68:
	s_and_not1_saveexec_b32 s1, s1
	s_cbranch_execnz .LBB13_76
.LBB13_69:
	s_or_b32 exec_lo, exec_lo, s1
	s_delay_alu instid0(SALU_CYCLE_1)
	s_and_b32 s1, s2, exec_lo
.LBB13_70:
	s_and_not1_saveexec_b32 s0, s0
	s_cbranch_execnz .LBB13_74
; %bb.71:
	s_or_b32 exec_lo, exec_lo, s0
	s_delay_alu instid0(SALU_CYCLE_1)
	s_and_b32 exec_lo, exec_lo, s1
.LBB13_72:
	; divergent unreachable
.LBB13_73:
	s_nop 0
	s_sendmsg sendmsg(MSG_DEALLOC_VGPRS)
	s_endpgm
.LBB13_74:
	s_cbranch_execnz .LBB13_78
; %bb.75:
	s_or_b32 s1, s1, exec_lo
	s_or_b32 exec_lo, exec_lo, s0
	s_delay_alu instid0(SALU_CYCLE_1)
	s_and_b32 exec_lo, exec_lo, s1
	s_cbranch_execnz .LBB13_72
	s_branch .LBB13_73
.LBB13_76:
	s_cbranch_execnz .LBB13_82
; %bb.77:
	s_or_b32 s2, s2, exec_lo
	s_branch .LBB13_69
.LBB13_78:
	s_trap 2
	s_sendmsg_rtn_b32 s0, sendmsg(MSG_RTN_GET_DOORBELL)
	s_mov_b32 ttmp2, m0
	s_waitcnt lgkmcnt(0)
	s_and_b32 s0, s0, 0x3ff
	s_delay_alu instid0(SALU_CYCLE_1) | instskip(NEXT) | instid1(SALU_CYCLE_1)
	s_bitset1_b32 s0, 10
	s_mov_b32 m0, s0
	s_sendmsg sendmsg(MSG_INTERRUPT)
	s_mov_b32 m0, ttmp2
.LBB13_79:                              ; =>This Inner Loop Header: Depth=1
	s_sethalt 5
	s_branch .LBB13_79
.LBB13_80:
	s_cbranch_execnz .LBB13_86
; %bb.81:
	s_or_b32 s2, s2, exec_lo
	s_branch .LBB13_67
.LBB13_82:
	s_trap 2
	s_sendmsg_rtn_b32 s0, sendmsg(MSG_RTN_GET_DOORBELL)
	s_mov_b32 ttmp2, m0
	s_waitcnt lgkmcnt(0)
	s_and_b32 s0, s0, 0x3ff
	s_delay_alu instid0(SALU_CYCLE_1) | instskip(NEXT) | instid1(SALU_CYCLE_1)
	s_bitset1_b32 s0, 10
	s_mov_b32 m0, s0
	s_sendmsg sendmsg(MSG_INTERRUPT)
	s_mov_b32 m0, ttmp2
.LBB13_83:                              ; =>This Inner Loop Header: Depth=1
	s_sethalt 5
	s_branch .LBB13_83
.LBB13_84:
	s_cbranch_execnz .LBB13_88
; %bb.85:
	s_mov_b32 s2, exec_lo
	s_branch .LBB13_65
.LBB13_86:
	s_trap 2
	s_sendmsg_rtn_b32 s0, sendmsg(MSG_RTN_GET_DOORBELL)
	s_mov_b32 ttmp2, m0
	s_waitcnt lgkmcnt(0)
	s_and_b32 s0, s0, 0x3ff
	s_delay_alu instid0(SALU_CYCLE_1) | instskip(NEXT) | instid1(SALU_CYCLE_1)
	s_bitset1_b32 s0, 10
	s_mov_b32 m0, s0
	s_sendmsg sendmsg(MSG_INTERRUPT)
	s_mov_b32 m0, ttmp2
.LBB13_87:                              ; =>This Inner Loop Header: Depth=1
	s_sethalt 5
	s_branch .LBB13_87
.LBB13_88:
	s_trap 2
	s_sendmsg_rtn_b32 s0, sendmsg(MSG_RTN_GET_DOORBELL)
	s_mov_b32 ttmp2, m0
	s_waitcnt lgkmcnt(0)
	s_and_b32 s0, s0, 0x3ff
	s_delay_alu instid0(SALU_CYCLE_1) | instskip(NEXT) | instid1(SALU_CYCLE_1)
	s_bitset1_b32 s0, 10
	s_mov_b32 m0, s0
	s_sendmsg sendmsg(MSG_INTERRUPT)
	s_mov_b32 m0, ttmp2
.LBB13_89:                              ; =>This Inner Loop Header: Depth=1
	s_sethalt 5
	s_branch .LBB13_89
	.section	.rodata,"a",@progbits
	.p2align	6, 0x0
	.amdhsa_kernel _ZN2at4cuda12_GLOBAL__N_121kernelPointwiseApply2IZNS_6native9templates4cuda28bernoulli_tensor_cuda_kernelIhfEEvRKNS_10TensorBaseES9_NS_15PhiloxCudaStateEEUliRhSB_SB_SB_RKfSD_SD_SD_E_hSC_jLi1ELin1ELi4ELi512ELi2EEEvNS0_6detail10TensorInfoIT0_T2_EENSG_IT1_SI_EESI_T_
		.amdhsa_group_segment_fixed_size 0
		.amdhsa_private_segment_fixed_size 0
		.amdhsa_kernarg_size 728
		.amdhsa_user_sgpr_count 15
		.amdhsa_user_sgpr_dispatch_ptr 0
		.amdhsa_user_sgpr_queue_ptr 0
		.amdhsa_user_sgpr_kernarg_segment_ptr 1
		.amdhsa_user_sgpr_dispatch_id 0
		.amdhsa_user_sgpr_private_segment_size 0
		.amdhsa_wavefront_size32 1
		.amdhsa_uses_dynamic_stack 0
		.amdhsa_enable_private_segment 0
		.amdhsa_system_sgpr_workgroup_id_x 1
		.amdhsa_system_sgpr_workgroup_id_y 0
		.amdhsa_system_sgpr_workgroup_id_z 0
		.amdhsa_system_sgpr_workgroup_info 0
		.amdhsa_system_vgpr_workitem_id 0
		.amdhsa_next_free_vgpr 41
		.amdhsa_next_free_sgpr 41
		.amdhsa_reserve_vcc 1
		.amdhsa_float_round_mode_32 0
		.amdhsa_float_round_mode_16_64 0
		.amdhsa_float_denorm_mode_32 3
		.amdhsa_float_denorm_mode_16_64 3
		.amdhsa_dx10_clamp 1
		.amdhsa_ieee_mode 1
		.amdhsa_fp16_overflow 0
		.amdhsa_workgroup_processor_mode 1
		.amdhsa_memory_ordered 1
		.amdhsa_forward_progress 0
		.amdhsa_shared_vgpr_count 0
		.amdhsa_exception_fp_ieee_invalid_op 0
		.amdhsa_exception_fp_denorm_src 0
		.amdhsa_exception_fp_ieee_div_zero 0
		.amdhsa_exception_fp_ieee_overflow 0
		.amdhsa_exception_fp_ieee_underflow 0
		.amdhsa_exception_fp_ieee_inexact 0
		.amdhsa_exception_int_div_zero 0
	.end_amdhsa_kernel
	.section	.text._ZN2at4cuda12_GLOBAL__N_121kernelPointwiseApply2IZNS_6native9templates4cuda28bernoulli_tensor_cuda_kernelIhfEEvRKNS_10TensorBaseES9_NS_15PhiloxCudaStateEEUliRhSB_SB_SB_RKfSD_SD_SD_E_hSC_jLi1ELin1ELi4ELi512ELi2EEEvNS0_6detail10TensorInfoIT0_T2_EENSG_IT1_SI_EESI_T_,"axG",@progbits,_ZN2at4cuda12_GLOBAL__N_121kernelPointwiseApply2IZNS_6native9templates4cuda28bernoulli_tensor_cuda_kernelIhfEEvRKNS_10TensorBaseES9_NS_15PhiloxCudaStateEEUliRhSB_SB_SB_RKfSD_SD_SD_E_hSC_jLi1ELin1ELi4ELi512ELi2EEEvNS0_6detail10TensorInfoIT0_T2_EENSG_IT1_SI_EESI_T_,comdat
.Lfunc_end13:
	.size	_ZN2at4cuda12_GLOBAL__N_121kernelPointwiseApply2IZNS_6native9templates4cuda28bernoulli_tensor_cuda_kernelIhfEEvRKNS_10TensorBaseES9_NS_15PhiloxCudaStateEEUliRhSB_SB_SB_RKfSD_SD_SD_E_hSC_jLi1ELin1ELi4ELi512ELi2EEEvNS0_6detail10TensorInfoIT0_T2_EENSG_IT1_SI_EESI_T_, .Lfunc_end13-_ZN2at4cuda12_GLOBAL__N_121kernelPointwiseApply2IZNS_6native9templates4cuda28bernoulli_tensor_cuda_kernelIhfEEvRKNS_10TensorBaseES9_NS_15PhiloxCudaStateEEUliRhSB_SB_SB_RKfSD_SD_SD_E_hSC_jLi1ELin1ELi4ELi512ELi2EEEvNS0_6detail10TensorInfoIT0_T2_EENSG_IT1_SI_EESI_T_
                                        ; -- End function
	.section	.AMDGPU.csdata,"",@progbits
; Kernel info:
; codeLenInByte = 4200
; NumSgprs: 43
; NumVgprs: 41
; ScratchSize: 0
; MemoryBound: 0
; FloatMode: 240
; IeeeMode: 1
; LDSByteSize: 0 bytes/workgroup (compile time only)
; SGPRBlocks: 5
; VGPRBlocks: 5
; NumSGPRsForWavesPerEU: 43
; NumVGPRsForWavesPerEU: 41
; Occupancy: 16
; WaveLimiterHint : 1
; COMPUTE_PGM_RSRC2:SCRATCH_EN: 0
; COMPUTE_PGM_RSRC2:USER_SGPR: 15
; COMPUTE_PGM_RSRC2:TRAP_HANDLER: 0
; COMPUTE_PGM_RSRC2:TGID_X_EN: 1
; COMPUTE_PGM_RSRC2:TGID_Y_EN: 0
; COMPUTE_PGM_RSRC2:TGID_Z_EN: 0
; COMPUTE_PGM_RSRC2:TIDIG_COMP_CNT: 0
	.section	.text._ZN2at4cuda12_GLOBAL__N_121kernelPointwiseApply2IZNS_6native9templates4cuda28bernoulli_tensor_cuda_kernelIhfEEvRKNS_10TensorBaseES9_NS_15PhiloxCudaStateEEUliRhSB_SB_SB_RKfSD_SD_SD_E_hSC_jLi2ELi1ELi4ELi512ELi2EEEvNS0_6detail10TensorInfoIT0_T2_EENSG_IT1_SI_EESI_T_,"axG",@progbits,_ZN2at4cuda12_GLOBAL__N_121kernelPointwiseApply2IZNS_6native9templates4cuda28bernoulli_tensor_cuda_kernelIhfEEvRKNS_10TensorBaseES9_NS_15PhiloxCudaStateEEUliRhSB_SB_SB_RKfSD_SD_SD_E_hSC_jLi2ELi1ELi4ELi512ELi2EEEvNS0_6detail10TensorInfoIT0_T2_EENSG_IT1_SI_EESI_T_,comdat
	.globl	_ZN2at4cuda12_GLOBAL__N_121kernelPointwiseApply2IZNS_6native9templates4cuda28bernoulli_tensor_cuda_kernelIhfEEvRKNS_10TensorBaseES9_NS_15PhiloxCudaStateEEUliRhSB_SB_SB_RKfSD_SD_SD_E_hSC_jLi2ELi1ELi4ELi512ELi2EEEvNS0_6detail10TensorInfoIT0_T2_EENSG_IT1_SI_EESI_T_ ; -- Begin function _ZN2at4cuda12_GLOBAL__N_121kernelPointwiseApply2IZNS_6native9templates4cuda28bernoulli_tensor_cuda_kernelIhfEEvRKNS_10TensorBaseES9_NS_15PhiloxCudaStateEEUliRhSB_SB_SB_RKfSD_SD_SD_E_hSC_jLi2ELi1ELi4ELi512ELi2EEEvNS0_6detail10TensorInfoIT0_T2_EENSG_IT1_SI_EESI_T_
	.p2align	8
	.type	_ZN2at4cuda12_GLOBAL__N_121kernelPointwiseApply2IZNS_6native9templates4cuda28bernoulli_tensor_cuda_kernelIhfEEvRKNS_10TensorBaseES9_NS_15PhiloxCudaStateEEUliRhSB_SB_SB_RKfSD_SD_SD_E_hSC_jLi2ELi1ELi4ELi512ELi2EEEvNS0_6detail10TensorInfoIT0_T2_EENSG_IT1_SI_EESI_T_,@function
_ZN2at4cuda12_GLOBAL__N_121kernelPointwiseApply2IZNS_6native9templates4cuda28bernoulli_tensor_cuda_kernelIhfEEvRKNS_10TensorBaseES9_NS_15PhiloxCudaStateEEUliRhSB_SB_SB_RKfSD_SD_SD_E_hSC_jLi2ELi1ELi4ELi512ELi2EEEvNS0_6detail10TensorInfoIT0_T2_EENSG_IT1_SI_EESI_T_: ; @_ZN2at4cuda12_GLOBAL__N_121kernelPointwiseApply2IZNS_6native9templates4cuda28bernoulli_tensor_cuda_kernelIhfEEvRKNS_10TensorBaseES9_NS_15PhiloxCudaStateEEUliRhSB_SB_SB_RKfSD_SD_SD_E_hSC_jLi2ELi1ELi4ELi512ELi2EEEvNS0_6detail10TensorInfoIT0_T2_EENSG_IT1_SI_EESI_T_
; %bb.0:
	s_clause 0x1
	s_load_b32 s4, s[0:1], 0x1e4
	s_load_b32 s16, s[0:1], 0x1b0
	s_add_u32 s2, s0, 0x1d8
	s_addc_u32 s3, s1, 0
	s_waitcnt lgkmcnt(0)
	s_and_b32 s20, s4, 0xffff
	s_mov_b32 s4, exec_lo
	v_mad_u64_u32 v[1:2], null, s15, s20, v[0:1]
	s_delay_alu instid0(VALU_DEP_1) | instskip(NEXT) | instid1(VALU_DEP_1)
	v_lshlrev_b32_e32 v0, 2, v1
	v_cmpx_gt_u32_e64 s16, v0
	s_cbranch_execz .LBB14_59
; %bb.1:
	s_clause 0x4
	s_load_b32 s17, s[0:1], 0xc
	s_load_b64 s[8:9], s[0:1], 0x6c
	s_load_b64 s[10:11], s[0:1], 0xd8
	s_load_b32 s4, s[0:1], 0x1d0
	s_load_b32 s23, s[0:1], 0x144
	;; [unrolled: 1-line block ×3, first 2 shown]
	s_clause 0x1
	s_load_b64 s[12:13], s[0:1], 0x0
	s_load_b64 s[14:15], s[0:1], 0x1c8
	v_add_nc_u32_e32 v8, 3, v0
	v_sub_nc_u32_e32 v31, s16, v0
	s_mov_b32 s22, 0
	s_mov_b32 s25, 0
                                        ; implicit-def: $sgpr24
                                        ; implicit-def: $sgpr27
                                        ; implicit-def: $sgpr26
                                        ; implicit-def: $sgpr28
                                        ; implicit-def: $sgpr30
                                        ; implicit-def: $sgpr29
                                        ; implicit-def: $sgpr31
	v_add_nc_u32_e32 v7, 2, v0
	s_waitcnt lgkmcnt(0)
	v_cvt_f32_u32_e32 v2, s17
	s_bitcmp1_b32 s4, 0
	s_load_b128 s[4:7], s[0:1], 0x1b8
	s_delay_alu instid0(VALU_DEP_1)
	v_rcp_iflag_f32_e32 v2, v2
	s_cselect_b32 s18, -1, 0
	s_sub_i32 s19, 0, s17
	v_mul_lo_u32 v30, v0, s23
	v_mul_lo_u32 v34, s23, v8
	s_mul_i32 s2, s2, s20
	v_mov_b32_e32 v4, 0
	s_lshl_b32 s21, s2, 2
                                        ; implicit-def: $sgpr20
	v_mul_lo_u32 v33, s23, v7
	s_waitcnt_depctr 0xfff
	v_mul_f32_e32 v2, 0x4f7ffffe, v2
	v_add_nc_u32_e32 v35, s23, v30
	s_mul_i32 s23, s21, s23
	s_delay_alu instid0(VALU_DEP_2) | instskip(SKIP_1) | instid1(VALU_DEP_2)
	v_cvt_u32_f32_e32 v5, v2
	v_mad_u64_u32 v[2:3], null, 0xcd9e8d57, v1, 0
	v_mul_lo_u32 v6, s19, v5
	s_delay_alu instid0(VALU_DEP_2) | instskip(NEXT) | instid1(VALU_DEP_2)
	v_mov_b32_e32 v32, v3
	v_mul_hi_u32 v6, v5, v6
	s_delay_alu instid0(VALU_DEP_1)
	v_add_nc_u32_e32 v36, v5, v6
	s_branch .LBB14_3
.LBB14_2:                               ;   in Loop: Header=BB14_3 Depth=1
	s_or_b32 exec_lo, exec_lo, s1
	s_delay_alu instid0(SALU_CYCLE_1) | instskip(NEXT) | instid1(SALU_CYCLE_1)
	s_and_b32 s0, exec_lo, s0
	s_or_b32 s22, s0, s22
	s_and_not1_b32 s0, s20, exec_lo
	s_and_b32 s1, s31, exec_lo
	s_and_not1_b32 s2, s26, exec_lo
	s_and_b32 s3, s29, exec_lo
	s_or_b32 s20, s0, s1
	s_or_b32 s26, s2, s3
	s_and_not1_b32 s0, s27, exec_lo
	s_and_b32 s1, s30, exec_lo
	s_and_not1_b32 s2, s24, exec_lo
	s_and_b32 s3, s28, exec_lo
	s_or_b32 s27, s0, s1
	s_or_b32 s24, s2, s3
	s_and_not1_b32 exec_lo, exec_lo, s22
	s_cbranch_execz .LBB14_47
.LBB14_3:                               ; =>This Inner Loop Header: Depth=1
	v_mov_b32_e32 v7, 0
	v_mov_b32_e32 v8, 0
	v_cmp_lt_i32_e64 s0, 0, v31
	s_delay_alu instid0(VALU_DEP_2) | instskip(NEXT) | instid1(VALU_DEP_2)
	v_dual_mov_b32 v5, v7 :: v_dual_mov_b32 v6, v8
	s_and_saveexec_b32 s1, s0
	s_cbranch_execz .LBB14_5
; %bb.4:                                ;   in Loop: Header=BB14_3 Depth=1
	v_mul_hi_u32 v3, v36, v0
	s_delay_alu instid0(VALU_DEP_1) | instskip(SKIP_1) | instid1(VALU_DEP_2)
	v_not_b32_e32 v11, v3
	v_mad_u64_u32 v[5:6], null, s19, v3, v[0:1]
	v_mad_u64_u32 v[9:10], null, s17, v11, v[0:1]
	s_delay_alu instid0(VALU_DEP_2) | instskip(NEXT) | instid1(VALU_DEP_2)
	v_cmp_le_u32_e32 vcc_lo, s17, v5
	v_dual_cndmask_b32 v5, v5, v9 :: v_dual_add_nc_u32 v6, 1, v3
	s_delay_alu instid0(VALU_DEP_1) | instskip(NEXT) | instid1(VALU_DEP_2)
	v_cndmask_b32_e32 v3, v3, v6, vcc_lo
	v_cmp_le_u32_e32 vcc_lo, s17, v5
	s_delay_alu instid0(VALU_DEP_2) | instskip(NEXT) | instid1(VALU_DEP_1)
	v_add_nc_u32_e32 v6, 1, v3
	v_cndmask_b32_e32 v9, v3, v6, vcc_lo
	s_delay_alu instid0(VALU_DEP_1) | instskip(NEXT) | instid1(VALU_DEP_1)
	v_mad_u64_u32 v[5:6], null, s19, v9, v[0:1]
	v_mul_lo_u32 v3, v5, s9
	s_delay_alu instid0(VALU_DEP_1)
	v_mad_u64_u32 v[5:6], null, v9, s8, v[3:4]
	v_mov_b32_e32 v6, v4
.LBB14_5:                               ;   in Loop: Header=BB14_3 Depth=1
	s_or_b32 exec_lo, exec_lo, s1
	v_cmp_lt_i32_e64 s1, 1, v31
	s_delay_alu instid0(VALU_DEP_1)
	s_and_saveexec_b32 s2, s1
	s_cbranch_execz .LBB14_7
; %bb.6:                                ;   in Loop: Header=BB14_3 Depth=1
	v_add_nc_u32_e32 v3, 1, v0
	s_delay_alu instid0(VALU_DEP_1) | instskip(NEXT) | instid1(VALU_DEP_1)
	v_mul_hi_u32 v7, v3, v36
	v_mul_lo_u32 v8, v7, s17
	v_add_nc_u32_e32 v9, 1, v7
	s_delay_alu instid0(VALU_DEP_2) | instskip(NEXT) | instid1(VALU_DEP_1)
	v_sub_nc_u32_e32 v8, v3, v8
	v_subrev_nc_u32_e32 v10, s17, v8
	v_cmp_le_u32_e32 vcc_lo, s17, v8
	s_delay_alu instid0(VALU_DEP_2) | instskip(NEXT) | instid1(VALU_DEP_1)
	v_dual_cndmask_b32 v7, v7, v9 :: v_dual_cndmask_b32 v8, v8, v10
	v_add_nc_u32_e32 v9, 1, v7
	s_delay_alu instid0(VALU_DEP_2) | instskip(NEXT) | instid1(VALU_DEP_2)
	v_cmp_le_u32_e32 vcc_lo, s17, v8
	v_cndmask_b32_e32 v9, v7, v9, vcc_lo
	s_delay_alu instid0(VALU_DEP_1) | instskip(NEXT) | instid1(VALU_DEP_1)
	v_mul_lo_u32 v7, v9, s17
	v_sub_nc_u32_e32 v3, v3, v7
	s_delay_alu instid0(VALU_DEP_1) | instskip(NEXT) | instid1(VALU_DEP_1)
	v_mul_lo_u32 v3, v3, s9
	v_mad_u64_u32 v[7:8], null, v9, s8, v[3:4]
	v_mov_b32_e32 v8, v4
.LBB14_7:                               ;   in Loop: Header=BB14_3 Depth=1
	s_or_b32 exec_lo, exec_lo, s2
	v_mov_b32_e32 v13, 0
	v_mov_b32_e32 v14, 0
	v_cmp_lt_i32_e64 s2, 2, v31
	s_delay_alu instid0(VALU_DEP_2) | instskip(NEXT) | instid1(VALU_DEP_2)
	v_dual_mov_b32 v9, v13 :: v_dual_mov_b32 v10, v14
	s_and_saveexec_b32 s3, s2
	s_cbranch_execz .LBB14_9
; %bb.8:                                ;   in Loop: Header=BB14_3 Depth=1
	v_add_nc_u32_e32 v3, 2, v0
	s_delay_alu instid0(VALU_DEP_1) | instskip(NEXT) | instid1(VALU_DEP_1)
	v_mul_hi_u32 v9, v3, v36
	v_mul_lo_u32 v10, v9, s17
	s_delay_alu instid0(VALU_DEP_1) | instskip(NEXT) | instid1(VALU_DEP_1)
	v_sub_nc_u32_e32 v10, v3, v10
	v_subrev_nc_u32_e32 v12, s17, v10
	v_cmp_le_u32_e32 vcc_lo, s17, v10
	s_delay_alu instid0(VALU_DEP_2) | instskip(NEXT) | instid1(VALU_DEP_1)
	v_dual_cndmask_b32 v10, v10, v12 :: v_dual_add_nc_u32 v11, 1, v9
	v_cndmask_b32_e32 v9, v9, v11, vcc_lo
	s_delay_alu instid0(VALU_DEP_2) | instskip(NEXT) | instid1(VALU_DEP_2)
	v_cmp_le_u32_e32 vcc_lo, s17, v10
	v_add_nc_u32_e32 v11, 1, v9
	s_delay_alu instid0(VALU_DEP_1) | instskip(NEXT) | instid1(VALU_DEP_1)
	v_cndmask_b32_e32 v11, v9, v11, vcc_lo
	v_mul_lo_u32 v9, v11, s17
	s_delay_alu instid0(VALU_DEP_1) | instskip(NEXT) | instid1(VALU_DEP_1)
	v_sub_nc_u32_e32 v3, v3, v9
	v_mul_lo_u32 v3, v3, s9
	s_delay_alu instid0(VALU_DEP_1)
	v_mad_u64_u32 v[9:10], null, v11, s8, v[3:4]
	v_mov_b32_e32 v10, v4
.LBB14_9:                               ;   in Loop: Header=BB14_3 Depth=1
	s_or_b32 exec_lo, exec_lo, s3
	v_cmp_lt_i32_e32 vcc_lo, 3, v31
	s_and_saveexec_b32 s33, vcc_lo
	s_cbranch_execz .LBB14_11
; %bb.10:                               ;   in Loop: Header=BB14_3 Depth=1
	v_add_nc_u32_e32 v3, 3, v0
	s_delay_alu instid0(VALU_DEP_1) | instskip(NEXT) | instid1(VALU_DEP_1)
	v_mul_hi_u32 v11, v3, v36
	v_mul_lo_u32 v12, v11, s17
	v_add_nc_u32_e32 v13, 1, v11
	s_delay_alu instid0(VALU_DEP_2) | instskip(NEXT) | instid1(VALU_DEP_1)
	v_sub_nc_u32_e32 v12, v3, v12
	v_subrev_nc_u32_e32 v14, s17, v12
	v_cmp_le_u32_e64 s3, s17, v12
	s_delay_alu instid0(VALU_DEP_1) | instskip(NEXT) | instid1(VALU_DEP_3)
	v_cndmask_b32_e64 v11, v11, v13, s3
	v_cndmask_b32_e64 v12, v12, v14, s3
	s_delay_alu instid0(VALU_DEP_2) | instskip(NEXT) | instid1(VALU_DEP_2)
	v_add_nc_u32_e32 v13, 1, v11
	v_cmp_le_u32_e64 s3, s17, v12
	s_delay_alu instid0(VALU_DEP_1) | instskip(NEXT) | instid1(VALU_DEP_1)
	v_cndmask_b32_e64 v11, v11, v13, s3
	v_mul_lo_u32 v12, v11, s17
	s_delay_alu instid0(VALU_DEP_1) | instskip(NEXT) | instid1(VALU_DEP_1)
	v_sub_nc_u32_e32 v3, v3, v12
	v_mul_lo_u32 v3, v3, s9
	s_delay_alu instid0(VALU_DEP_1)
	v_mad_u64_u32 v[13:14], null, v11, s8, v[3:4]
	v_mov_b32_e32 v14, v4
.LBB14_11:                              ;   in Loop: Header=BB14_3 Depth=1
	s_or_b32 exec_lo, exec_lo, s33
	s_waitcnt lgkmcnt(0)
	v_dual_mov_b32 v18, s7 :: v_dual_add_nc_u32 v3, s25, v34
	v_dual_mov_b32 v17, s6 :: v_dual_mov_b32 v20, s5
	v_mov_b32_e32 v19, s4
	s_delay_alu instid0(VALU_DEP_3) | instskip(NEXT) | instid1(VALU_DEP_1)
	v_cndmask_b32_e32 v3, 0, v3, vcc_lo
	v_lshlrev_b64 v[11:12], 2, v[3:4]
	s_delay_alu instid0(VALU_DEP_1) | instskip(NEXT) | instid1(VALU_DEP_2)
	v_add_co_u32 v11, vcc_lo, s10, v11
	v_add_co_ci_u32_e32 v12, vcc_lo, s11, v12, vcc_lo
	s_and_not1_b32 vcc_lo, exec_lo, s18
	global_load_b32 v3, v[11:12], off
	s_cbranch_vccnz .LBB14_13
; %bb.12:                               ;   in Loop: Header=BB14_3 Depth=1
	v_dual_mov_b32 v12, s7 :: v_dual_mov_b32 v11, s6
	v_dual_mov_b32 v16, s5 :: v_dual_mov_b32 v15, s4
	flat_load_b64 v[11:12], v[11:12]
	flat_load_b64 v[19:20], v[15:16]
	s_waitcnt vmcnt(1) lgkmcnt(1)
	v_add_co_u32 v17, vcc_lo, v11, s14
	v_add_co_ci_u32_e32 v18, vcc_lo, s15, v12, vcc_lo
.LBB14_13:                              ;   in Loop: Header=BB14_3 Depth=1
	s_delay_alu instid0(VALU_DEP_1)
	v_alignbit_b32 v21, v18, v17, 2
	v_lshrrev_b32_e32 v15, 2, v18
	s_waitcnt vmcnt(0) lgkmcnt(0)
	v_add_nc_u32_e32 v37, 0x9e3779b9, v19
	v_add_nc_u32_e32 v38, 0xbb67ae85, v20
	;; [unrolled: 1-line block ×3, first 2 shown]
	v_add_co_u32 v16, vcc_lo, v21, 1
	s_delay_alu instid0(VALU_DEP_1) | instskip(SKIP_4) | instid1(VALU_DEP_4)
	v_cndmask_b32_e64 v11, 0, 1, vcc_lo
	v_add_co_ci_u32_e32 v18, vcc_lo, 0, v15, vcc_lo
	v_xor3_b32 v23, v32, v19, v15
	v_add_nc_u32_e32 v40, 0x76cf5d0a, v20
	v_add_nc_u32_e32 v42, 0xed9eba14, v20
	v_cmp_eq_u32_e32 vcc_lo, 0, v18
	v_add_nc_u32_e32 v43, 0x1fd5c5a3, v20
	s_mov_b32 s3, exec_lo
	v_dual_cndmask_b32 v22, 0, v11 :: v_dual_add_nc_u32 v41, 0x32370b8f, v20
	v_mad_u64_u32 v[11:12], null, 0xd2511f53, v16, 0
	v_mad_u64_u32 v[15:16], null, 0xd2511f53, v21, 0
	s_delay_alu instid0(VALU_DEP_3) | instskip(NEXT) | instid1(VALU_DEP_3)
	v_add_nc_u32_e32 v25, v22, v1
	v_xor_b32_e32 v12, v12, v20
	s_delay_alu instid0(VALU_DEP_2) | instskip(SKIP_1) | instid1(VALU_DEP_1)
	v_cmp_eq_u32_e32 vcc_lo, 0, v25
	v_cndmask_b32_e32 v22, 0, v22, vcc_lo
	v_xor_b32_e32 v12, v22, v12
	v_mad_u64_u32 v[21:22], null, 0xd2511f53, v23, 0
	v_mad_u64_u32 v[23:24], null, 0xcd9e8d57, v25, 0
	s_delay_alu instid0(VALU_DEP_3) | instskip(SKIP_1) | instid1(VALU_DEP_4)
	v_mad_u64_u32 v[25:26], null, 0xcd9e8d57, v12, 0
	v_xor_b32_e32 v12, v16, v20
	v_xor3_b32 v27, v38, v22, v15
	s_delay_alu instid0(VALU_DEP_2) | instskip(SKIP_2) | instid1(VALU_DEP_4)
	v_mad_u64_u32 v[15:16], null, 0xcd9e8d57, v12, 0
	v_xor3_b32 v12, v24, v19, v18
	v_xor3_b32 v18, v37, v26, v23
	v_mad_u64_u32 v[22:23], null, 0xcd9e8d57, v27, 0
	s_delay_alu instid0(VALU_DEP_3) | instskip(NEXT) | instid1(VALU_DEP_3)
	v_mad_u64_u32 v[26:27], null, 0xd2511f53, v12, 0
	v_mad_u64_u32 v[28:29], null, 0xd2511f53, v18, 0
	v_xor3_b32 v12, v2, v16, v37
	s_delay_alu instid0(VALU_DEP_4) | instskip(SKIP_2) | instid1(VALU_DEP_4)
	v_xor3_b32 v23, v39, v23, v15
	v_add_nc_u32_e32 v18, 0xdaa66d2b, v19
	v_xor3_b32 v27, v38, v27, v11
	v_mad_u64_u32 v[15:16], null, 0xd2511f53, v12, 0
	v_xor3_b32 v29, v40, v29, v26
	v_mad_u64_u32 v[11:12], null, 0xd2511f53, v23, 0
	s_delay_alu instid0(VALU_DEP_4) | instskip(NEXT) | instid1(VALU_DEP_3)
	v_mad_u64_u32 v[23:24], null, 0xcd9e8d57, v27, 0
	v_mad_u64_u32 v[26:27], null, 0xcd9e8d57, v29, 0
	v_xor3_b32 v21, v40, v16, v21
	v_add_nc_u32_e32 v29, 0x78dde6e4, v19
	v_xor3_b32 v12, v41, v12, v15
	s_delay_alu instid0(VALU_DEP_3) | instskip(SKIP_2) | instid1(VALU_DEP_4)
	v_mad_u64_u32 v[15:16], null, 0xcd9e8d57, v21, 0
	v_xor3_b32 v21, v39, v24, v25
	v_xor3_b32 v25, v18, v27, v23
	v_mad_u64_u32 v[23:24], null, 0xcd9e8d57, v12, 0
	s_delay_alu instid0(VALU_DEP_3) | instskip(NEXT) | instid1(VALU_DEP_3)
	v_mad_u64_u32 v[37:38], null, 0xd2511f53, v21, 0
	v_mad_u64_u32 v[39:40], null, 0xd2511f53, v25, 0
	v_xor3_b32 v12, v18, v16, v22
	s_delay_alu instid0(VALU_DEP_4) | instskip(SKIP_2) | instid1(VALU_DEP_4)
	v_xor3_b32 v21, v29, v24, v15
	v_add_nc_u32_e32 v18, 0x1715609d, v19
	v_add_nc_u32_e32 v25, 0xa9066899, v20
	v_mad_u64_u32 v[15:16], null, 0xd2511f53, v12, 0
	v_xor3_b32 v12, v41, v38, v28
	v_xor3_b32 v24, v42, v40, v37
	v_mad_u64_u32 v[27:28], null, 0xd2511f53, v21, 0
	v_add_nc_u32_e32 v38, 0xb54cda56, v19
	s_delay_alu instid0(VALU_DEP_4) | instskip(NEXT) | instid1(VALU_DEP_4)
	v_mad_u64_u32 v[21:22], null, 0xcd9e8d57, v12, 0
	v_mad_u64_u32 v[40:41], null, 0xcd9e8d57, v24, 0
	v_xor3_b32 v16, v42, v16, v11
	v_xor3_b32 v24, v25, v28, v15
	v_add_nc_u32_e32 v37, 0x646e171e, v20
	v_xor3_b32 v26, v29, v22, v26
	s_delay_alu instid0(VALU_DEP_4) | instskip(SKIP_2) | instid1(VALU_DEP_4)
	v_mad_u64_u32 v[11:12], null, 0xcd9e8d57, v16, 0
	v_xor3_b32 v28, v18, v41, v21
	v_mad_u64_u32 v[15:16], null, 0xcd9e8d57, v24, 0
	v_mad_u64_u32 v[21:22], null, 0xd2511f53, v26, 0
	s_delay_alu instid0(VALU_DEP_3) | instskip(SKIP_3) | instid1(VALU_DEP_3)
	v_mad_u64_u32 v[41:42], null, 0xd2511f53, v28, 0
	v_xor3_b32 v18, v18, v12, v23
	v_add_nc_u32_e32 v26, 0x5384540f, v19
	v_xor3_b32 v16, v38, v16, v11
	v_mad_u64_u32 v[11:12], null, 0xd2511f53, v18, 0
	v_xor3_b32 v18, v25, v22, v39
	v_xor3_b32 v23, v37, v42, v21
	s_delay_alu instid0(VALU_DEP_4) | instskip(NEXT) | instid1(VALU_DEP_3)
	v_mad_u64_u32 v[21:22], null, 0xd2511f53, v16, 0
	v_mad_u64_u32 v[28:29], null, 0xcd9e8d57, v18, 0
	s_delay_alu instid0(VALU_DEP_3) | instskip(SKIP_1) | instid1(VALU_DEP_4)
	v_mad_u64_u32 v[24:25], null, 0xcd9e8d57, v23, 0
	v_xor3_b32 v16, v37, v12, v27
	v_xor3_b32 v18, v43, v22, v11
	v_add_co_u32 v37, null, 0xf1bbcdc8, v19
	s_delay_alu instid0(VALU_DEP_3) | instskip(SKIP_4) | instid1(VALU_DEP_4)
	v_mad_u64_u32 v[11:12], null, 0xcd9e8d57, v16, 0
	v_xor3_b32 v16, v38, v29, v40
	v_xor3_b32 v25, v26, v25, v28
	v_mad_u64_u32 v[22:23], null, 0xcd9e8d57, v18, 0
	v_add_nc_u32_e32 v38, 0xdb3d7428, v20
	v_mad_u64_u32 v[39:40], null, 0xd2511f53, v16, 0
	s_delay_alu instid0(VALU_DEP_4) | instskip(SKIP_4) | instid1(VALU_DEP_4)
	v_mad_u64_u32 v[27:28], null, 0xd2511f53, v25, 0
	v_xor3_b32 v12, v26, v12, v15
	v_xor3_b32 v15, v37, v23, v11
	v_add_nc_u32_e32 v23, 0x8ff34781, v19
	v_xor3_b32 v16, v43, v40, v41
	v_mad_u64_u32 v[25:26], null, 0xd2511f53, v12, 0
	v_xor3_b32 v18, v38, v28, v39
	v_mad_u64_u32 v[11:12], null, 0xd2511f53, v15, 0
	s_delay_alu instid0(VALU_DEP_4) | instskip(NEXT) | instid1(VALU_DEP_3)
	v_mad_u64_u32 v[28:29], null, 0xcd9e8d57, v16, 0
	v_mad_u64_u32 v[15:16], null, 0xcd9e8d57, v18, 0
	v_add_nc_u32_e32 v39, 0x96a522ad, v20
	v_and_b32_e32 v20, 3, v17
                                        ; implicit-def: $vgpr18
	s_delay_alu instid0(VALU_DEP_2) | instskip(NEXT) | instid1(VALU_DEP_4)
	v_xor3_b32 v19, v12, v25, v39
	v_xor3_b32 v12, v16, v28, v23
	s_delay_alu instid0(VALU_DEP_3)
	v_cmpx_lt_i32_e32 1, v20
	s_xor_b32 s3, exec_lo, s3
	s_cbranch_execz .LBB14_19
; %bb.14:                               ;   in Loop: Header=BB14_3 Depth=1
	s_mov_b32 s33, exec_lo
                                        ; implicit-def: $vgpr18
	v_cmpx_lt_i32_e32 2, v20
	s_xor_b32 s33, exec_lo, s33
; %bb.15:                               ;   in Loop: Header=BB14_3 Depth=1
	v_xor3_b32 v16, v37, v29, v24
                                        ; implicit-def: $vgpr19
	s_delay_alu instid0(VALU_DEP_1) | instskip(NEXT) | instid1(VALU_DEP_1)
	v_mul_hi_u32 v16, 0xd2511f53, v16
	v_xor3_b32 v18, v16, v27, v39
; %bb.16:                               ;   in Loop: Header=BB14_3 Depth=1
	s_and_not1_saveexec_b32 s33, s33
; %bb.17:                               ;   in Loop: Header=BB14_3 Depth=1
	v_dual_mov_b32 v18, v15 :: v_dual_mov_b32 v15, v12
	v_mov_b32_e32 v12, v11
	v_mov_b32_e32 v11, v19
; %bb.18:                               ;   in Loop: Header=BB14_3 Depth=1
	s_or_b32 exec_lo, exec_lo, s33
                                        ; implicit-def: $vgpr21_vgpr22
                                        ; implicit-def: $vgpr20
                                        ; implicit-def: $vgpr19
                                        ; implicit-def: $vgpr38
                                        ; implicit-def: $vgpr25_vgpr26
                                        ; implicit-def: $vgpr22_vgpr23
                                        ; implicit-def: $vgpr23
.LBB14_19:                              ;   in Loop: Header=BB14_3 Depth=1
	s_and_not1_saveexec_b32 s3, s3
	s_cbranch_execz .LBB14_23
; %bb.20:                               ;   in Loop: Header=BB14_3 Depth=1
	v_xor3_b32 v15, v38, v26, v21
	v_cmp_eq_u32_e32 vcc_lo, 1, v20
	s_delay_alu instid0(VALU_DEP_2) | instskip(SKIP_2) | instid1(VALU_DEP_3)
	v_mad_u64_u32 v[16:17], null, 0xcd9e8d57, v15, 0
	v_mov_b32_e32 v18, v11
	v_mov_b32_e32 v15, v19
	v_xor3_b32 v20, v17, v22, v23
	s_delay_alu instid0(VALU_DEP_4)
	v_mov_b32_e32 v17, v16
	s_and_saveexec_b32 s33, vcc_lo
; %bb.21:                               ;   in Loop: Header=BB14_3 Depth=1
	v_dual_mov_b32 v18, v12 :: v_dual_mov_b32 v15, v11
	v_dual_mov_b32 v17, v19 :: v_dual_mov_b32 v20, v16
; %bb.22:                               ;   in Loop: Header=BB14_3 Depth=1
	s_or_b32 exec_lo, exec_lo, s33
	s_delay_alu instid0(VALU_DEP_1)
	v_dual_mov_b32 v11, v20 :: v_dual_mov_b32 v12, v17
.LBB14_23:                              ;   in Loop: Header=BB14_3 Depth=1
	s_or_b32 exec_lo, exec_lo, s3
	v_min_i32_e32 v16, 4, v31
	s_mov_b32 s33, 0
	s_mov_b32 s39, 0
	s_mov_b32 s36, exec_lo
                                        ; implicit-def: $sgpr3
                                        ; implicit-def: $sgpr34
                                        ; implicit-def: $sgpr35
	s_delay_alu instid0(VALU_DEP_1)
	v_cmpx_lt_i32_e32 2, v16
	s_xor_b32 s36, exec_lo, s36
	s_cbranch_execz .LBB14_33
; %bb.24:                               ;   in Loop: Header=BB14_3 Depth=1
	s_mov_b32 s38, -1
	s_mov_b32 s35, exec_lo
                                        ; implicit-def: $sgpr34
                                        ; implicit-def: $sgpr3
	v_cmpx_lt_i32_e32 3, v16
	s_cbranch_execz .LBB14_28
; %bb.25:                               ;   in Loop: Header=BB14_3 Depth=1
	v_cmp_le_f32_e32 vcc_lo, 0, v3
	v_cmp_ge_f32_e64 s3, 1.0, v3
	s_mov_b32 s34, 0
	s_mov_b32 s37, 0
	s_delay_alu instid0(VALU_DEP_1) | instskip(NEXT) | instid1(SALU_CYCLE_1)
	s_and_b32 s38, vcc_lo, s3
	s_and_saveexec_b32 s3, s38
	s_cbranch_execz .LBB14_27
; %bb.26:                               ;   in Loop: Header=BB14_3 Depth=1
	v_cvt_f32_u32_e32 v17, v18
	v_add_co_u32 v13, vcc_lo, s12, v13
	v_add_co_ci_u32_e32 v14, vcc_lo, s13, v14, vcc_lo
	s_delay_alu instid0(VALU_DEP_3) | instskip(SKIP_1) | instid1(VALU_DEP_1)
	v_fmaak_f32 v17, 0x2f800000, v17, 0x2f800000
	s_mov_b32 s37, exec_lo
	v_cmp_le_f32_e32 vcc_lo, v17, v3
	v_cndmask_b32_e64 v3, 0, 1, vcc_lo
	global_store_b8 v[13:14], v3, off
.LBB14_27:                              ;   in Loop: Header=BB14_3 Depth=1
	s_or_b32 exec_lo, exec_lo, s3
	s_mov_b32 s3, -1
	s_or_not1_b32 s38, s37, exec_lo
.LBB14_28:                              ;   in Loop: Header=BB14_3 Depth=1
	s_or_b32 exec_lo, exec_lo, s35
	s_mov_b32 s37, 0
	s_mov_b32 s39, s34
	s_and_saveexec_b32 s35, s38
	s_cbranch_execz .LBB14_32
; %bb.29:                               ;   in Loop: Header=BB14_3 Depth=1
	v_add_nc_u32_e32 v3, s25, v33
	s_delay_alu instid0(VALU_DEP_1) | instskip(NEXT) | instid1(VALU_DEP_1)
	v_cndmask_b32_e64 v3, 0, v3, s2
	v_lshlrev_b64 v[13:14], 2, v[3:4]
	s_delay_alu instid0(VALU_DEP_1) | instskip(NEXT) | instid1(VALU_DEP_2)
	v_add_co_u32 v13, vcc_lo, s10, v13
	v_add_co_ci_u32_e32 v14, vcc_lo, s11, v14, vcc_lo
	global_load_b32 v3, v[13:14], off
	s_waitcnt vmcnt(0)
	v_cmp_le_f32_e32 vcc_lo, 0, v3
	v_cmp_ge_f32_e64 s2, 1.0, v3
	s_delay_alu instid0(VALU_DEP_1) | instskip(NEXT) | instid1(SALU_CYCLE_1)
	s_and_b32 s2, vcc_lo, s2
	s_and_saveexec_b32 s38, s2
	s_delay_alu instid0(SALU_CYCLE_1)
	s_xor_b32 s2, exec_lo, s38
	s_cbranch_execz .LBB14_31
; %bb.30:                               ;   in Loop: Header=BB14_3 Depth=1
	v_cvt_f32_u32_e32 v13, v15
	v_add_co_u32 v9, vcc_lo, s12, v9
	v_add_co_ci_u32_e32 v10, vcc_lo, s13, v10, vcc_lo
	s_delay_alu instid0(VALU_DEP_3) | instskip(SKIP_1) | instid1(VALU_DEP_1)
	v_fmaak_f32 v13, 0x2f800000, v13, 0x2f800000
	s_mov_b32 s37, exec_lo
	v_cmp_le_f32_e32 vcc_lo, v13, v3
	v_cndmask_b32_e64 v3, 0, 1, vcc_lo
	global_store_b8 v[9:10], v3, off
.LBB14_31:                              ;   in Loop: Header=BB14_3 Depth=1
	s_or_b32 exec_lo, exec_lo, s2
	s_delay_alu instid0(SALU_CYCLE_1)
	s_and_not1_b32 s39, s34, exec_lo
	s_or_b32 s34, s34, exec_lo
	s_and_not1_b32 s3, s3, exec_lo
	s_and_b32 s37, s37, exec_lo
.LBB14_32:                              ;   in Loop: Header=BB14_3 Depth=1
	s_or_b32 exec_lo, exec_lo, s35
	s_delay_alu instid0(SALU_CYCLE_1)
	s_and_b32 s35, s39, exec_lo
	s_and_b32 s34, s34, exec_lo
	;; [unrolled: 1-line block ×4, first 2 shown]
.LBB14_33:                              ;   in Loop: Header=BB14_3 Depth=1
	s_and_not1_saveexec_b32 s2, s36
; %bb.34:                               ;   in Loop: Header=BB14_3 Depth=1
	v_cmp_lt_i32_e32 vcc_lo, 1, v16
	s_and_not1_b32 s36, s39, exec_lo
	s_mov_b32 s33, exec_lo
	s_and_not1_b32 s35, s35, exec_lo
	s_and_not1_b32 s34, s34, exec_lo
	s_and_b32 s37, vcc_lo, exec_lo
	s_and_not1_b32 s3, s3, exec_lo
	s_or_b32 s39, s36, s37
; %bb.35:                               ;   in Loop: Header=BB14_3 Depth=1
	s_or_b32 exec_lo, exec_lo, s2
	s_mov_b32 s2, 0
	s_mov_b32 s37, 0
	;; [unrolled: 1-line block ×3, first 2 shown]
	s_and_saveexec_b32 s38, s39
	s_cbranch_execnz .LBB14_38
; %bb.36:                               ;   in Loop: Header=BB14_3 Depth=1
	s_or_b32 exec_lo, exec_lo, s38
	s_and_saveexec_b32 s1, s33
	s_cbranch_execnz .LBB14_41
.LBB14_37:                              ;   in Loop: Header=BB14_3 Depth=1
	s_or_b32 exec_lo, exec_lo, s1
	s_and_saveexec_b32 s1, s37
	s_cbranch_execnz .LBB14_42
	s_branch .LBB14_45
.LBB14_38:                              ;   in Loop: Header=BB14_3 Depth=1
	v_add_nc_u32_e32 v3, s25, v35
	s_delay_alu instid0(VALU_DEP_1) | instskip(NEXT) | instid1(VALU_DEP_1)
	v_cndmask_b32_e64 v3, 0, v3, s1
	v_lshlrev_b64 v[9:10], 2, v[3:4]
	s_delay_alu instid0(VALU_DEP_1) | instskip(NEXT) | instid1(VALU_DEP_2)
	v_add_co_u32 v9, vcc_lo, s10, v9
	v_add_co_ci_u32_e32 v10, vcc_lo, s11, v10, vcc_lo
	global_load_b32 v3, v[9:10], off
	s_waitcnt vmcnt(0)
	v_cmp_le_f32_e32 vcc_lo, 0, v3
	v_cmp_ge_f32_e64 s1, 1.0, v3
	s_delay_alu instid0(VALU_DEP_1) | instskip(NEXT) | instid1(SALU_CYCLE_1)
	s_and_b32 s1, vcc_lo, s1
	s_and_saveexec_b32 s36, s1
	s_delay_alu instid0(SALU_CYCLE_1)
	s_xor_b32 s1, exec_lo, s36
	s_cbranch_execz .LBB14_40
; %bb.39:                               ;   in Loop: Header=BB14_3 Depth=1
	v_cvt_f32_u32_e32 v9, v12
	v_add_co_u32 v7, vcc_lo, s12, v7
	v_add_co_ci_u32_e32 v8, vcc_lo, s13, v8, vcc_lo
	s_delay_alu instid0(VALU_DEP_3) | instskip(SKIP_1) | instid1(VALU_DEP_1)
	v_fmaak_f32 v9, 0x2f800000, v9, 0x2f800000
	s_mov_b32 s37, exec_lo
	v_cmp_le_f32_e32 vcc_lo, v9, v3
	v_cndmask_b32_e64 v3, 0, 1, vcc_lo
	global_store_b8 v[7:8], v3, off
.LBB14_40:                              ;   in Loop: Header=BB14_3 Depth=1
	s_or_b32 exec_lo, exec_lo, s1
	s_delay_alu instid0(SALU_CYCLE_1)
	s_and_not1_b32 s36, s35, exec_lo
	s_or_b32 s35, s35, exec_lo
	s_and_not1_b32 s34, s34, exec_lo
	s_and_not1_b32 s3, s3, exec_lo
	s_and_b32 s37, s37, exec_lo
	s_and_not1_b32 s33, s33, exec_lo
	s_or_b32 exec_lo, exec_lo, s38
	s_and_saveexec_b32 s1, s33
	s_cbranch_execz .LBB14_37
.LBB14_41:                              ;   in Loop: Header=BB14_3 Depth=1
	v_cmp_eq_u32_e32 vcc_lo, 1, v16
	s_and_not1_b32 s33, s37, exec_lo
	s_mov_b32 s2, exec_lo
	s_and_not1_b32 s36, s36, exec_lo
	s_and_not1_b32 s35, s35, exec_lo
	s_and_b32 s37, vcc_lo, exec_lo
	s_and_not1_b32 s34, s34, exec_lo
	s_and_not1_b32 s3, s3, exec_lo
	s_or_b32 s37, s33, s37
	s_or_b32 exec_lo, exec_lo, s1
	s_and_saveexec_b32 s1, s37
	s_cbranch_execz .LBB14_45
.LBB14_42:                              ;   in Loop: Header=BB14_3 Depth=1
	v_add_nc_u32_e32 v3, s25, v30
	s_mov_b32 s33, 0
	s_delay_alu instid0(VALU_DEP_1) | instskip(NEXT) | instid1(VALU_DEP_1)
	v_cndmask_b32_e64 v3, 0, v3, s0
	v_lshlrev_b64 v[7:8], 2, v[3:4]
	s_delay_alu instid0(VALU_DEP_1) | instskip(NEXT) | instid1(VALU_DEP_2)
	v_add_co_u32 v7, vcc_lo, s10, v7
	v_add_co_ci_u32_e32 v8, vcc_lo, s11, v8, vcc_lo
	global_load_b32 v3, v[7:8], off
	s_waitcnt vmcnt(0)
	v_cmp_le_f32_e32 vcc_lo, 0, v3
	v_cmp_ge_f32_e64 s0, 1.0, v3
	s_delay_alu instid0(VALU_DEP_1) | instskip(NEXT) | instid1(SALU_CYCLE_1)
	s_and_b32 s37, vcc_lo, s0
	s_and_saveexec_b32 s0, s37
	s_cbranch_execz .LBB14_44
; %bb.43:                               ;   in Loop: Header=BB14_3 Depth=1
	v_cvt_f32_u32_e32 v7, v11
	v_add_co_u32 v5, vcc_lo, s12, v5
	v_add_co_ci_u32_e32 v6, vcc_lo, s13, v6, vcc_lo
	s_delay_alu instid0(VALU_DEP_3) | instskip(SKIP_1) | instid1(VALU_DEP_1)
	v_fmaak_f32 v7, 0x2f800000, v7, 0x2f800000
	s_mov_b32 s33, exec_lo
	v_cmp_le_f32_e32 vcc_lo, v7, v3
	v_cndmask_b32_e64 v3, 0, 1, vcc_lo
	global_store_b8 v[5:6], v3, off
.LBB14_44:                              ;   in Loop: Header=BB14_3 Depth=1
	s_or_b32 exec_lo, exec_lo, s0
	s_delay_alu instid0(SALU_CYCLE_1)
	s_and_not1_b32 s0, s2, exec_lo
	s_and_b32 s2, s33, exec_lo
	s_or_b32 s36, s36, exec_lo
	s_and_not1_b32 s35, s35, exec_lo
	s_and_not1_b32 s34, s34, exec_lo
	;; [unrolled: 1-line block ×3, first 2 shown]
	s_or_b32 s2, s0, s2
.LBB14_45:                              ;   in Loop: Header=BB14_3 Depth=1
	s_or_b32 exec_lo, exec_lo, s1
	s_delay_alu instid0(SALU_CYCLE_1)
	s_and_not1_b32 s1, s31, exec_lo
	s_and_b32 s31, s36, exec_lo
	s_and_not1_b32 s29, s29, exec_lo
	s_and_b32 s33, s35, exec_lo
	s_or_b32 s31, s1, s31
	s_and_not1_b32 s1, s30, exec_lo
	s_and_b32 s30, s34, exec_lo
	s_and_not1_b32 s28, s28, exec_lo
	s_and_b32 s3, s3, exec_lo
	s_mov_b32 s0, -1
	s_or_b32 s29, s29, s33
	s_or_b32 s30, s1, s30
	;; [unrolled: 1-line block ×3, first 2 shown]
	s_and_saveexec_b32 s1, s2
	s_cbranch_execz .LBB14_2
; %bb.46:                               ;   in Loop: Header=BB14_3 Depth=1
	v_add_nc_u32_e32 v0, s21, v0
	v_subrev_nc_u32_e32 v31, s21, v31
	s_add_i32 s25, s25, s23
	s_and_not1_b32 s31, s31, exec_lo
	s_and_not1_b32 s29, s29, exec_lo
	v_cmp_le_u32_e32 vcc_lo, s16, v0
	s_and_not1_b32 s30, s30, exec_lo
	s_and_not1_b32 s28, s28, exec_lo
	s_or_not1_b32 s0, vcc_lo, exec_lo
	s_branch .LBB14_2
.LBB14_47:
	s_or_b32 exec_lo, exec_lo, s22
	s_xor_b32 s3, s26, -1
	s_xor_b32 s4, s27, -1
	;; [unrolled: 1-line block ×3, first 2 shown]
	s_mov_b32 s1, 0
	s_and_saveexec_b32 s2, s0
	s_delay_alu instid0(SALU_CYCLE_1)
	s_xor_b32 s0, exec_lo, s2
	s_cbranch_execz .LBB14_56
; %bb.48:
	s_mov_b32 s2, 0
	s_and_saveexec_b32 s1, s4
	s_delay_alu instid0(SALU_CYCLE_1)
	s_xor_b32 s1, exec_lo, s1
	s_cbranch_execz .LBB14_54
; %bb.49:
	s_and_saveexec_b32 s4, s3
	s_delay_alu instid0(SALU_CYCLE_1)
	s_xor_b32 s3, exec_lo, s4
	s_cbranch_execz .LBB14_52
; %bb.50:
	s_and_saveexec_b32 s4, s20
	s_delay_alu instid0(SALU_CYCLE_1)
	s_xor_b32 s4, exec_lo, s4
	s_cbranch_execnz .LBB14_70
.LBB14_51:
	s_or_b32 exec_lo, exec_lo, s4
	s_delay_alu instid0(SALU_CYCLE_1)
	s_and_b32 s2, s2, exec_lo
.LBB14_52:
	s_and_not1_saveexec_b32 s3, s3
	s_cbranch_execnz .LBB14_66
.LBB14_53:
	s_or_b32 exec_lo, exec_lo, s3
	s_delay_alu instid0(SALU_CYCLE_1)
	s_and_b32 s2, s2, exec_lo
.LBB14_54:
	s_and_not1_saveexec_b32 s1, s1
	s_cbranch_execnz .LBB14_62
.LBB14_55:
	s_or_b32 exec_lo, exec_lo, s1
	s_delay_alu instid0(SALU_CYCLE_1)
	s_and_b32 s1, s2, exec_lo
.LBB14_56:
	s_and_not1_saveexec_b32 s0, s0
	s_cbranch_execnz .LBB14_60
; %bb.57:
	s_or_b32 exec_lo, exec_lo, s0
	s_delay_alu instid0(SALU_CYCLE_1)
	s_and_b32 exec_lo, exec_lo, s1
.LBB14_58:
	; divergent unreachable
.LBB14_59:
	s_nop 0
	s_sendmsg sendmsg(MSG_DEALLOC_VGPRS)
	s_endpgm
.LBB14_60:
	s_cbranch_execnz .LBB14_64
; %bb.61:
	s_or_b32 s1, s1, exec_lo
	s_or_b32 exec_lo, exec_lo, s0
	s_delay_alu instid0(SALU_CYCLE_1)
	s_and_b32 exec_lo, exec_lo, s1
	s_cbranch_execnz .LBB14_58
	s_branch .LBB14_59
.LBB14_62:
	s_cbranch_execnz .LBB14_68
; %bb.63:
	s_or_b32 s2, s2, exec_lo
	s_branch .LBB14_55
.LBB14_64:
	s_trap 2
	s_sendmsg_rtn_b32 s0, sendmsg(MSG_RTN_GET_DOORBELL)
	s_mov_b32 ttmp2, m0
	s_waitcnt lgkmcnt(0)
	s_and_b32 s0, s0, 0x3ff
	s_delay_alu instid0(SALU_CYCLE_1) | instskip(NEXT) | instid1(SALU_CYCLE_1)
	s_bitset1_b32 s0, 10
	s_mov_b32 m0, s0
	s_sendmsg sendmsg(MSG_INTERRUPT)
	s_mov_b32 m0, ttmp2
.LBB14_65:                              ; =>This Inner Loop Header: Depth=1
	s_sethalt 5
	s_branch .LBB14_65
.LBB14_66:
	s_cbranch_execnz .LBB14_72
; %bb.67:
	s_or_b32 s2, s2, exec_lo
	s_branch .LBB14_53
.LBB14_68:
	s_trap 2
	s_sendmsg_rtn_b32 s0, sendmsg(MSG_RTN_GET_DOORBELL)
	s_mov_b32 ttmp2, m0
	s_waitcnt lgkmcnt(0)
	s_and_b32 s0, s0, 0x3ff
	s_delay_alu instid0(SALU_CYCLE_1) | instskip(NEXT) | instid1(SALU_CYCLE_1)
	s_bitset1_b32 s0, 10
	s_mov_b32 m0, s0
	s_sendmsg sendmsg(MSG_INTERRUPT)
	s_mov_b32 m0, ttmp2
.LBB14_69:                              ; =>This Inner Loop Header: Depth=1
	s_sethalt 5
	s_branch .LBB14_69
.LBB14_70:
	s_cbranch_execnz .LBB14_74
; %bb.71:
	s_mov_b32 s2, exec_lo
	s_branch .LBB14_51
.LBB14_72:
	s_trap 2
	s_sendmsg_rtn_b32 s0, sendmsg(MSG_RTN_GET_DOORBELL)
	s_mov_b32 ttmp2, m0
	s_waitcnt lgkmcnt(0)
	s_and_b32 s0, s0, 0x3ff
	s_delay_alu instid0(SALU_CYCLE_1) | instskip(NEXT) | instid1(SALU_CYCLE_1)
	s_bitset1_b32 s0, 10
	s_mov_b32 m0, s0
	s_sendmsg sendmsg(MSG_INTERRUPT)
	s_mov_b32 m0, ttmp2
.LBB14_73:                              ; =>This Inner Loop Header: Depth=1
	s_sethalt 5
	s_branch .LBB14_73
.LBB14_74:
	s_trap 2
	s_sendmsg_rtn_b32 s0, sendmsg(MSG_RTN_GET_DOORBELL)
	s_mov_b32 ttmp2, m0
	s_waitcnt lgkmcnt(0)
	s_and_b32 s0, s0, 0x3ff
	s_delay_alu instid0(SALU_CYCLE_1) | instskip(NEXT) | instid1(SALU_CYCLE_1)
	s_bitset1_b32 s0, 10
	s_mov_b32 m0, s0
	s_sendmsg sendmsg(MSG_INTERRUPT)
	s_mov_b32 m0, ttmp2
.LBB14_75:                              ; =>This Inner Loop Header: Depth=1
	s_sethalt 5
	s_branch .LBB14_75
	.section	.rodata,"a",@progbits
	.p2align	6, 0x0
	.amdhsa_kernel _ZN2at4cuda12_GLOBAL__N_121kernelPointwiseApply2IZNS_6native9templates4cuda28bernoulli_tensor_cuda_kernelIhfEEvRKNS_10TensorBaseES9_NS_15PhiloxCudaStateEEUliRhSB_SB_SB_RKfSD_SD_SD_E_hSC_jLi2ELi1ELi4ELi512ELi2EEEvNS0_6detail10TensorInfoIT0_T2_EENSG_IT1_SI_EESI_T_
		.amdhsa_group_segment_fixed_size 0
		.amdhsa_private_segment_fixed_size 0
		.amdhsa_kernarg_size 728
		.amdhsa_user_sgpr_count 15
		.amdhsa_user_sgpr_dispatch_ptr 0
		.amdhsa_user_sgpr_queue_ptr 0
		.amdhsa_user_sgpr_kernarg_segment_ptr 1
		.amdhsa_user_sgpr_dispatch_id 0
		.amdhsa_user_sgpr_private_segment_size 0
		.amdhsa_wavefront_size32 1
		.amdhsa_uses_dynamic_stack 0
		.amdhsa_enable_private_segment 0
		.amdhsa_system_sgpr_workgroup_id_x 1
		.amdhsa_system_sgpr_workgroup_id_y 0
		.amdhsa_system_sgpr_workgroup_id_z 0
		.amdhsa_system_sgpr_workgroup_info 0
		.amdhsa_system_vgpr_workitem_id 0
		.amdhsa_next_free_vgpr 44
		.amdhsa_next_free_sgpr 40
		.amdhsa_reserve_vcc 1
		.amdhsa_float_round_mode_32 0
		.amdhsa_float_round_mode_16_64 0
		.amdhsa_float_denorm_mode_32 3
		.amdhsa_float_denorm_mode_16_64 3
		.amdhsa_dx10_clamp 1
		.amdhsa_ieee_mode 1
		.amdhsa_fp16_overflow 0
		.amdhsa_workgroup_processor_mode 1
		.amdhsa_memory_ordered 1
		.amdhsa_forward_progress 0
		.amdhsa_shared_vgpr_count 0
		.amdhsa_exception_fp_ieee_invalid_op 0
		.amdhsa_exception_fp_denorm_src 0
		.amdhsa_exception_fp_ieee_div_zero 0
		.amdhsa_exception_fp_ieee_overflow 0
		.amdhsa_exception_fp_ieee_underflow 0
		.amdhsa_exception_fp_ieee_inexact 0
		.amdhsa_exception_int_div_zero 0
	.end_amdhsa_kernel
	.section	.text._ZN2at4cuda12_GLOBAL__N_121kernelPointwiseApply2IZNS_6native9templates4cuda28bernoulli_tensor_cuda_kernelIhfEEvRKNS_10TensorBaseES9_NS_15PhiloxCudaStateEEUliRhSB_SB_SB_RKfSD_SD_SD_E_hSC_jLi2ELi1ELi4ELi512ELi2EEEvNS0_6detail10TensorInfoIT0_T2_EENSG_IT1_SI_EESI_T_,"axG",@progbits,_ZN2at4cuda12_GLOBAL__N_121kernelPointwiseApply2IZNS_6native9templates4cuda28bernoulli_tensor_cuda_kernelIhfEEvRKNS_10TensorBaseES9_NS_15PhiloxCudaStateEEUliRhSB_SB_SB_RKfSD_SD_SD_E_hSC_jLi2ELi1ELi4ELi512ELi2EEEvNS0_6detail10TensorInfoIT0_T2_EENSG_IT1_SI_EESI_T_,comdat
.Lfunc_end14:
	.size	_ZN2at4cuda12_GLOBAL__N_121kernelPointwiseApply2IZNS_6native9templates4cuda28bernoulli_tensor_cuda_kernelIhfEEvRKNS_10TensorBaseES9_NS_15PhiloxCudaStateEEUliRhSB_SB_SB_RKfSD_SD_SD_E_hSC_jLi2ELi1ELi4ELi512ELi2EEEvNS0_6detail10TensorInfoIT0_T2_EENSG_IT1_SI_EESI_T_, .Lfunc_end14-_ZN2at4cuda12_GLOBAL__N_121kernelPointwiseApply2IZNS_6native9templates4cuda28bernoulli_tensor_cuda_kernelIhfEEvRKNS_10TensorBaseES9_NS_15PhiloxCudaStateEEUliRhSB_SB_SB_RKfSD_SD_SD_E_hSC_jLi2ELi1ELi4ELi512ELi2EEEvNS0_6detail10TensorInfoIT0_T2_EENSG_IT1_SI_EESI_T_
                                        ; -- End function
	.section	.AMDGPU.csdata,"",@progbits
; Kernel info:
; codeLenInByte = 3708
; NumSgprs: 42
; NumVgprs: 44
; ScratchSize: 0
; MemoryBound: 0
; FloatMode: 240
; IeeeMode: 1
; LDSByteSize: 0 bytes/workgroup (compile time only)
; SGPRBlocks: 5
; VGPRBlocks: 5
; NumSGPRsForWavesPerEU: 42
; NumVGPRsForWavesPerEU: 44
; Occupancy: 16
; WaveLimiterHint : 1
; COMPUTE_PGM_RSRC2:SCRATCH_EN: 0
; COMPUTE_PGM_RSRC2:USER_SGPR: 15
; COMPUTE_PGM_RSRC2:TRAP_HANDLER: 0
; COMPUTE_PGM_RSRC2:TGID_X_EN: 1
; COMPUTE_PGM_RSRC2:TGID_Y_EN: 0
; COMPUTE_PGM_RSRC2:TGID_Z_EN: 0
; COMPUTE_PGM_RSRC2:TIDIG_COMP_CNT: 0
	.section	.text._ZN2at4cuda12_GLOBAL__N_121kernelPointwiseApply2IZNS_6native9templates4cuda28bernoulli_tensor_cuda_kernelIhfEEvRKNS_10TensorBaseES9_NS_15PhiloxCudaStateEEUliRhSB_SB_SB_RKfSD_SD_SD_E_hSC_jLi2ELi2ELi4ELi512ELi2EEEvNS0_6detail10TensorInfoIT0_T2_EENSG_IT1_SI_EESI_T_,"axG",@progbits,_ZN2at4cuda12_GLOBAL__N_121kernelPointwiseApply2IZNS_6native9templates4cuda28bernoulli_tensor_cuda_kernelIhfEEvRKNS_10TensorBaseES9_NS_15PhiloxCudaStateEEUliRhSB_SB_SB_RKfSD_SD_SD_E_hSC_jLi2ELi2ELi4ELi512ELi2EEEvNS0_6detail10TensorInfoIT0_T2_EENSG_IT1_SI_EESI_T_,comdat
	.globl	_ZN2at4cuda12_GLOBAL__N_121kernelPointwiseApply2IZNS_6native9templates4cuda28bernoulli_tensor_cuda_kernelIhfEEvRKNS_10TensorBaseES9_NS_15PhiloxCudaStateEEUliRhSB_SB_SB_RKfSD_SD_SD_E_hSC_jLi2ELi2ELi4ELi512ELi2EEEvNS0_6detail10TensorInfoIT0_T2_EENSG_IT1_SI_EESI_T_ ; -- Begin function _ZN2at4cuda12_GLOBAL__N_121kernelPointwiseApply2IZNS_6native9templates4cuda28bernoulli_tensor_cuda_kernelIhfEEvRKNS_10TensorBaseES9_NS_15PhiloxCudaStateEEUliRhSB_SB_SB_RKfSD_SD_SD_E_hSC_jLi2ELi2ELi4ELi512ELi2EEEvNS0_6detail10TensorInfoIT0_T2_EENSG_IT1_SI_EESI_T_
	.p2align	8
	.type	_ZN2at4cuda12_GLOBAL__N_121kernelPointwiseApply2IZNS_6native9templates4cuda28bernoulli_tensor_cuda_kernelIhfEEvRKNS_10TensorBaseES9_NS_15PhiloxCudaStateEEUliRhSB_SB_SB_RKfSD_SD_SD_E_hSC_jLi2ELi2ELi4ELi512ELi2EEEvNS0_6detail10TensorInfoIT0_T2_EENSG_IT1_SI_EESI_T_,@function
_ZN2at4cuda12_GLOBAL__N_121kernelPointwiseApply2IZNS_6native9templates4cuda28bernoulli_tensor_cuda_kernelIhfEEvRKNS_10TensorBaseES9_NS_15PhiloxCudaStateEEUliRhSB_SB_SB_RKfSD_SD_SD_E_hSC_jLi2ELi2ELi4ELi512ELi2EEEvNS0_6detail10TensorInfoIT0_T2_EENSG_IT1_SI_EESI_T_: ; @_ZN2at4cuda12_GLOBAL__N_121kernelPointwiseApply2IZNS_6native9templates4cuda28bernoulli_tensor_cuda_kernelIhfEEvRKNS_10TensorBaseES9_NS_15PhiloxCudaStateEEUliRhSB_SB_SB_RKfSD_SD_SD_E_hSC_jLi2ELi2ELi4ELi512ELi2EEEvNS0_6detail10TensorInfoIT0_T2_EENSG_IT1_SI_EESI_T_
; %bb.0:
	s_clause 0x1
	s_load_b32 s2, s[0:1], 0x1e4
	s_load_b32 s16, s[0:1], 0x1b0
	s_add_u32 s4, s0, 0x1d8
	s_addc_u32 s5, s1, 0
	s_waitcnt lgkmcnt(0)
	s_and_b32 s22, s2, 0xffff
	s_mov_b32 s2, exec_lo
	v_mad_u64_u32 v[1:2], null, s15, s22, v[0:1]
	s_delay_alu instid0(VALU_DEP_1) | instskip(NEXT) | instid1(VALU_DEP_1)
	v_lshlrev_b32_e32 v0, 2, v1
	v_cmpx_gt_u32_e64 s16, v0
	s_cbranch_execz .LBB15_67
; %bb.1:
	s_clause 0x6
	s_load_b32 s17, s[0:1], 0xc
	s_load_b32 s18, s[0:1], 0xe4
	s_load_b64 s[2:3], s[0:1], 0x6c
	s_load_b64 s[8:9], s[0:1], 0xd8
	;; [unrolled: 1-line block ×3, first 2 shown]
	s_load_b32 s6, s[0:1], 0x1d0
	s_load_b64 s[12:13], s[0:1], 0x0
	s_load_b32 s23, s[4:5], 0x0
	v_sub_nc_u32_e32 v36, s16, v0
                                        ; implicit-def: $sgpr26
                                        ; implicit-def: $sgpr25
                                        ; implicit-def: $sgpr27
                                        ; implicit-def: $sgpr29
                                        ; implicit-def: $sgpr28
                                        ; implicit-def: $sgpr30
	s_waitcnt lgkmcnt(0)
	v_cvt_f32_u32_e32 v2, s17
	v_cvt_f32_u32_e32 v3, s18
	s_delay_alu instid0(VALU_DEP_2) | instskip(NEXT) | instid1(VALU_DEP_1)
	v_rcp_iflag_f32_e32 v2, v2
	v_rcp_iflag_f32_e32 v3, v3
	s_bitcmp1_b32 s6, 0
	s_clause 0x1
	s_load_b64 s[14:15], s[0:1], 0x1c8
	s_load_b128 s[4:7], s[0:1], 0x1b8
	s_cselect_b32 s19, -1, 0
	s_sub_i32 s20, 0, s17
	s_sub_i32 s21, 0, s18
	s_mul_i32 s23, s23, s22
	s_mov_b32 s22, 0
	s_lshl_b32 s24, s23, 2
	s_waitcnt_depctr 0xfff
	v_dual_mul_f32 v2, 0x4f7ffffe, v2 :: v_dual_mul_f32 v3, 0x4f7ffffe, v3
                                        ; implicit-def: $sgpr23
                                        ; implicit-def: $sgpr1
	s_delay_alu instid0(VALU_DEP_1) | instskip(NEXT) | instid1(VALU_DEP_2)
	v_cvt_u32_f32_e32 v5, v2
	v_cvt_u32_f32_e32 v6, v3
	v_mad_u64_u32 v[2:3], null, 0xcd9e8d57, v1, 0
	s_delay_alu instid0(VALU_DEP_3) | instskip(NEXT) | instid1(VALU_DEP_3)
	v_mul_lo_u32 v4, s20, v5
	v_mul_lo_u32 v7, s21, v6
	s_delay_alu instid0(VALU_DEP_3) | instskip(NEXT) | instid1(VALU_DEP_3)
	v_mov_b32_e32 v33, v3
	v_mul_hi_u32 v8, v5, v4
	s_delay_alu instid0(VALU_DEP_3) | instskip(SKIP_1) | instid1(VALU_DEP_3)
	v_mul_hi_u32 v7, v6, v7
	v_mov_b32_e32 v4, 0
	v_add_nc_u32_e32 v34, v5, v8
	s_delay_alu instid0(VALU_DEP_3)
	v_add_nc_u32_e32 v35, v6, v7
	s_branch .LBB15_3
.LBB15_2:                               ;   in Loop: Header=BB15_3 Depth=1
	s_or_b32 exec_lo, exec_lo, s31
	s_delay_alu instid0(SALU_CYCLE_1) | instskip(NEXT) | instid1(SALU_CYCLE_1)
	s_and_b32 s0, exec_lo, s0
	s_or_b32 s22, s0, s22
	s_and_not1_b32 s0, s1, exec_lo
	s_and_b32 s1, s30, exec_lo
	s_and_not1_b32 s25, s25, exec_lo
	s_and_b32 s31, s28, exec_lo
	s_or_b32 s1, s0, s1
	s_or_b32 s25, s25, s31
	s_and_not1_b32 s0, s26, exec_lo
	s_and_b32 s26, s29, exec_lo
	s_and_not1_b32 s23, s23, exec_lo
	s_and_b32 s31, s27, exec_lo
	s_or_b32 s26, s0, s26
	s_or_b32 s23, s23, s31
	s_and_not1_b32 exec_lo, exec_lo, s22
	s_cbranch_execz .LBB15_55
.LBB15_3:                               ; =>This Inner Loop Header: Depth=1
	v_cmp_lt_i32_e32 vcc_lo, 0, v36
	v_mov_b32_e32 v5, 0
	s_and_saveexec_b32 s31, vcc_lo
	s_cbranch_execz .LBB15_5
; %bb.4:                                ;   in Loop: Header=BB15_3 Depth=1
	v_mul_hi_u32 v3, v34, v0
	s_delay_alu instid0(VALU_DEP_1) | instskip(SKIP_2) | instid1(VALU_DEP_3)
	v_not_b32_e32 v8, v3
	v_mad_u64_u32 v[5:6], null, s20, v3, v[0:1]
	v_add_nc_u32_e32 v9, 1, v3
	v_mad_u64_u32 v[6:7], null, s17, v8, v[0:1]
	s_delay_alu instid0(VALU_DEP_3) | instskip(NEXT) | instid1(VALU_DEP_1)
	v_cmp_le_u32_e64 s0, s17, v5
	v_cndmask_b32_e64 v3, v3, v9, s0
	s_delay_alu instid0(VALU_DEP_3) | instskip(NEXT) | instid1(VALU_DEP_2)
	v_cndmask_b32_e64 v5, v5, v6, s0
	v_add_nc_u32_e32 v6, 1, v3
	s_delay_alu instid0(VALU_DEP_2) | instskip(NEXT) | instid1(VALU_DEP_1)
	v_cmp_le_u32_e64 s0, s17, v5
	v_cndmask_b32_e64 v7, v3, v6, s0
	s_delay_alu instid0(VALU_DEP_1) | instskip(NEXT) | instid1(VALU_DEP_1)
	v_mad_u64_u32 v[5:6], null, s20, v7, v[0:1]
	v_mul_lo_u32 v3, v5, s3
	s_delay_alu instid0(VALU_DEP_1)
	v_mad_u64_u32 v[5:6], null, v7, s2, v[3:4]
.LBB15_5:                               ;   in Loop: Header=BB15_3 Depth=1
	s_or_b32 exec_lo, exec_lo, s31
	v_mov_b32_e32 v3, 0
	s_and_saveexec_b32 s0, vcc_lo
	s_cbranch_execz .LBB15_7
; %bb.6:                                ;   in Loop: Header=BB15_3 Depth=1
	v_mul_hi_u32 v3, v35, v0
	s_delay_alu instid0(VALU_DEP_1) | instskip(SKIP_2) | instid1(VALU_DEP_3)
	v_not_b32_e32 v9, v3
	v_mad_u64_u32 v[6:7], null, s21, v3, v[0:1]
	v_add_nc_u32_e32 v10, 1, v3
	v_mad_u64_u32 v[7:8], null, s18, v9, v[0:1]
	s_delay_alu instid0(VALU_DEP_3) | instskip(NEXT) | instid1(VALU_DEP_2)
	v_cmp_le_u32_e32 vcc_lo, s18, v6
	v_dual_cndmask_b32 v3, v3, v10 :: v_dual_cndmask_b32 v6, v6, v7
	s_delay_alu instid0(VALU_DEP_1) | instskip(NEXT) | instid1(VALU_DEP_2)
	v_add_nc_u32_e32 v7, 1, v3
	v_cmp_le_u32_e32 vcc_lo, s18, v6
	s_delay_alu instid0(VALU_DEP_2) | instskip(NEXT) | instid1(VALU_DEP_1)
	v_cndmask_b32_e32 v8, v3, v7, vcc_lo
	v_mad_u64_u32 v[6:7], null, s21, v8, v[0:1]
	s_delay_alu instid0(VALU_DEP_1) | instskip(NEXT) | instid1(VALU_DEP_1)
	v_mul_lo_u32 v3, v6, s11
	v_mad_u64_u32 v[6:7], null, v8, s10, v[3:4]
	s_delay_alu instid0(VALU_DEP_1)
	v_mov_b32_e32 v3, v6
.LBB15_7:                               ;   in Loop: Header=BB15_3 Depth=1
	s_or_b32 exec_lo, exec_lo, s0
	v_mov_b32_e32 v8, 0
	v_dual_mov_b32 v9, 0 :: v_dual_add_nc_u32 v10, 1, v0
	v_cmp_lt_i32_e32 vcc_lo, 1, v36
	s_delay_alu instid0(VALU_DEP_2)
	v_dual_mov_b32 v6, v8 :: v_dual_mov_b32 v7, v9
	s_and_saveexec_b32 s31, vcc_lo
	s_cbranch_execz .LBB15_9
; %bb.8:                                ;   in Loop: Header=BB15_3 Depth=1
	v_mul_hi_u32 v6, v10, v34
	s_delay_alu instid0(VALU_DEP_1) | instskip(SKIP_1) | instid1(VALU_DEP_2)
	v_mul_lo_u32 v7, v6, s17
	v_add_nc_u32_e32 v11, 1, v6
	v_sub_nc_u32_e32 v7, v10, v7
	s_delay_alu instid0(VALU_DEP_1) | instskip(SKIP_1) | instid1(VALU_DEP_1)
	v_subrev_nc_u32_e32 v12, s17, v7
	v_cmp_le_u32_e64 s0, s17, v7
	v_cndmask_b32_e64 v6, v6, v11, s0
	s_delay_alu instid0(VALU_DEP_3) | instskip(NEXT) | instid1(VALU_DEP_2)
	v_cndmask_b32_e64 v7, v7, v12, s0
	v_add_nc_u32_e32 v11, 1, v6
	s_delay_alu instid0(VALU_DEP_2) | instskip(NEXT) | instid1(VALU_DEP_1)
	v_cmp_le_u32_e64 s0, s17, v7
	v_cndmask_b32_e64 v12, v6, v11, s0
	s_delay_alu instid0(VALU_DEP_1) | instskip(NEXT) | instid1(VALU_DEP_1)
	v_mul_lo_u32 v6, v12, s17
	v_sub_nc_u32_e32 v6, v10, v6
	s_delay_alu instid0(VALU_DEP_1) | instskip(NEXT) | instid1(VALU_DEP_1)
	v_mul_lo_u32 v11, v6, s3
	v_mad_u64_u32 v[6:7], null, v12, s2, v[11:12]
	v_mov_b32_e32 v7, v4
.LBB15_9:                               ;   in Loop: Header=BB15_3 Depth=1
	s_or_b32 exec_lo, exec_lo, s31
	s_and_saveexec_b32 s0, vcc_lo
	s_cbranch_execz .LBB15_11
; %bb.10:                               ;   in Loop: Header=BB15_3 Depth=1
	v_mul_hi_u32 v8, v10, v35
	s_delay_alu instid0(VALU_DEP_1) | instskip(SKIP_1) | instid1(VALU_DEP_2)
	v_mul_lo_u32 v9, v8, s18
	v_add_nc_u32_e32 v11, 1, v8
	v_sub_nc_u32_e32 v9, v10, v9
	s_delay_alu instid0(VALU_DEP_1) | instskip(SKIP_1) | instid1(VALU_DEP_2)
	v_subrev_nc_u32_e32 v12, s18, v9
	v_cmp_le_u32_e32 vcc_lo, s18, v9
	v_dual_cndmask_b32 v8, v8, v11 :: v_dual_cndmask_b32 v9, v9, v12
	s_delay_alu instid0(VALU_DEP_1) | instskip(NEXT) | instid1(VALU_DEP_2)
	v_add_nc_u32_e32 v11, 1, v8
	v_cmp_le_u32_e32 vcc_lo, s18, v9
	s_delay_alu instid0(VALU_DEP_2) | instskip(NEXT) | instid1(VALU_DEP_1)
	v_cndmask_b32_e32 v11, v8, v11, vcc_lo
	v_mul_lo_u32 v8, v11, s18
	s_delay_alu instid0(VALU_DEP_1) | instskip(NEXT) | instid1(VALU_DEP_1)
	v_sub_nc_u32_e32 v8, v10, v8
	v_mul_lo_u32 v10, v8, s11
	s_delay_alu instid0(VALU_DEP_1)
	v_mad_u64_u32 v[8:9], null, v11, s10, v[10:11]
	v_mov_b32_e32 v9, v4
.LBB15_11:                              ;   in Loop: Header=BB15_3 Depth=1
	s_or_b32 exec_lo, exec_lo, s0
	v_mov_b32_e32 v12, 0
	v_dual_mov_b32 v13, 0 :: v_dual_add_nc_u32 v14, 2, v0
	v_cmp_lt_i32_e32 vcc_lo, 2, v36
	s_delay_alu instid0(VALU_DEP_2)
	v_dual_mov_b32 v10, v12 :: v_dual_mov_b32 v11, v13
	s_and_saveexec_b32 s31, vcc_lo
	s_cbranch_execz .LBB15_13
; %bb.12:                               ;   in Loop: Header=BB15_3 Depth=1
	v_mul_hi_u32 v10, v14, v34
	s_delay_alu instid0(VALU_DEP_1) | instskip(SKIP_1) | instid1(VALU_DEP_2)
	v_mul_lo_u32 v11, v10, s17
	v_add_nc_u32_e32 v15, 1, v10
	v_sub_nc_u32_e32 v11, v14, v11
	s_delay_alu instid0(VALU_DEP_1) | instskip(SKIP_1) | instid1(VALU_DEP_1)
	v_subrev_nc_u32_e32 v16, s17, v11
	v_cmp_le_u32_e64 s0, s17, v11
	v_cndmask_b32_e64 v10, v10, v15, s0
	s_delay_alu instid0(VALU_DEP_3) | instskip(NEXT) | instid1(VALU_DEP_2)
	v_cndmask_b32_e64 v11, v11, v16, s0
	v_add_nc_u32_e32 v15, 1, v10
	s_delay_alu instid0(VALU_DEP_2) | instskip(NEXT) | instid1(VALU_DEP_1)
	v_cmp_le_u32_e64 s0, s17, v11
	v_cndmask_b32_e64 v16, v10, v15, s0
	s_delay_alu instid0(VALU_DEP_1) | instskip(NEXT) | instid1(VALU_DEP_1)
	v_mul_lo_u32 v10, v16, s17
	v_sub_nc_u32_e32 v10, v14, v10
	s_delay_alu instid0(VALU_DEP_1) | instskip(NEXT) | instid1(VALU_DEP_1)
	v_mul_lo_u32 v15, v10, s3
	v_mad_u64_u32 v[10:11], null, v16, s2, v[15:16]
	v_mov_b32_e32 v11, v4
.LBB15_13:                              ;   in Loop: Header=BB15_3 Depth=1
	s_or_b32 exec_lo, exec_lo, s31
	s_and_saveexec_b32 s0, vcc_lo
	s_cbranch_execz .LBB15_15
; %bb.14:                               ;   in Loop: Header=BB15_3 Depth=1
	v_mul_hi_u32 v12, v14, v35
	s_delay_alu instid0(VALU_DEP_1) | instskip(SKIP_1) | instid1(VALU_DEP_2)
	v_mul_lo_u32 v13, v12, s18
	v_add_nc_u32_e32 v15, 1, v12
	v_sub_nc_u32_e32 v13, v14, v13
	s_delay_alu instid0(VALU_DEP_1) | instskip(SKIP_1) | instid1(VALU_DEP_2)
	v_subrev_nc_u32_e32 v16, s18, v13
	v_cmp_le_u32_e32 vcc_lo, s18, v13
	v_dual_cndmask_b32 v12, v12, v15 :: v_dual_cndmask_b32 v13, v13, v16
	s_delay_alu instid0(VALU_DEP_1) | instskip(NEXT) | instid1(VALU_DEP_2)
	v_add_nc_u32_e32 v15, 1, v12
	v_cmp_le_u32_e32 vcc_lo, s18, v13
	s_delay_alu instid0(VALU_DEP_2) | instskip(NEXT) | instid1(VALU_DEP_1)
	v_cndmask_b32_e32 v15, v12, v15, vcc_lo
	v_mul_lo_u32 v12, v15, s18
	s_delay_alu instid0(VALU_DEP_1) | instskip(NEXT) | instid1(VALU_DEP_1)
	v_sub_nc_u32_e32 v12, v14, v12
	v_mul_lo_u32 v14, v12, s11
	s_delay_alu instid0(VALU_DEP_1)
	v_mad_u64_u32 v[12:13], null, v15, s10, v[14:15]
	v_mov_b32_e32 v13, v4
.LBB15_15:                              ;   in Loop: Header=BB15_3 Depth=1
	s_or_b32 exec_lo, exec_lo, s0
	v_mov_b32_e32 v14, 0
	v_dual_mov_b32 v15, 0 :: v_dual_add_nc_u32 v18, 3, v0
	v_cmp_lt_i32_e32 vcc_lo, 3, v36
	s_delay_alu instid0(VALU_DEP_2)
	v_dual_mov_b32 v17, v15 :: v_dual_mov_b32 v16, v14
	s_and_saveexec_b32 s31, vcc_lo
	s_cbranch_execz .LBB15_17
; %bb.16:                               ;   in Loop: Header=BB15_3 Depth=1
	v_mul_hi_u32 v16, v18, v34
	s_delay_alu instid0(VALU_DEP_1) | instskip(SKIP_1) | instid1(VALU_DEP_2)
	v_mul_lo_u32 v17, v16, s17
	v_add_nc_u32_e32 v19, 1, v16
	v_sub_nc_u32_e32 v17, v18, v17
	s_delay_alu instid0(VALU_DEP_1) | instskip(SKIP_1) | instid1(VALU_DEP_1)
	v_subrev_nc_u32_e32 v20, s17, v17
	v_cmp_le_u32_e64 s0, s17, v17
	v_cndmask_b32_e64 v16, v16, v19, s0
	s_delay_alu instid0(VALU_DEP_3) | instskip(NEXT) | instid1(VALU_DEP_2)
	v_cndmask_b32_e64 v17, v17, v20, s0
	v_add_nc_u32_e32 v19, 1, v16
	s_delay_alu instid0(VALU_DEP_2) | instskip(NEXT) | instid1(VALU_DEP_1)
	v_cmp_le_u32_e64 s0, s17, v17
	v_cndmask_b32_e64 v20, v16, v19, s0
	s_delay_alu instid0(VALU_DEP_1) | instskip(NEXT) | instid1(VALU_DEP_1)
	v_mul_lo_u32 v16, v20, s17
	v_sub_nc_u32_e32 v16, v18, v16
	s_delay_alu instid0(VALU_DEP_1) | instskip(NEXT) | instid1(VALU_DEP_1)
	v_mul_lo_u32 v19, v16, s3
	v_mad_u64_u32 v[16:17], null, v20, s2, v[19:20]
	v_mov_b32_e32 v17, v4
.LBB15_17:                              ;   in Loop: Header=BB15_3 Depth=1
	s_or_b32 exec_lo, exec_lo, s31
	s_and_saveexec_b32 s0, vcc_lo
	s_cbranch_execz .LBB15_19
; %bb.18:                               ;   in Loop: Header=BB15_3 Depth=1
	v_mul_hi_u32 v14, v18, v35
	s_delay_alu instid0(VALU_DEP_1) | instskip(SKIP_1) | instid1(VALU_DEP_2)
	v_mul_lo_u32 v15, v14, s18
	v_add_nc_u32_e32 v19, 1, v14
	v_sub_nc_u32_e32 v15, v18, v15
	s_delay_alu instid0(VALU_DEP_1) | instskip(SKIP_1) | instid1(VALU_DEP_2)
	v_subrev_nc_u32_e32 v20, s18, v15
	v_cmp_le_u32_e32 vcc_lo, s18, v15
	v_dual_cndmask_b32 v14, v14, v19 :: v_dual_cndmask_b32 v15, v15, v20
	s_delay_alu instid0(VALU_DEP_1) | instskip(NEXT) | instid1(VALU_DEP_2)
	v_add_nc_u32_e32 v19, 1, v14
	v_cmp_le_u32_e32 vcc_lo, s18, v15
	s_delay_alu instid0(VALU_DEP_2) | instskip(NEXT) | instid1(VALU_DEP_1)
	v_cndmask_b32_e32 v19, v14, v19, vcc_lo
	v_mul_lo_u32 v14, v19, s18
	s_delay_alu instid0(VALU_DEP_1) | instskip(NEXT) | instid1(VALU_DEP_1)
	v_sub_nc_u32_e32 v14, v18, v14
	v_mul_lo_u32 v18, v14, s11
	s_delay_alu instid0(VALU_DEP_1)
	v_mad_u64_u32 v[14:15], null, v19, s10, v[18:19]
	v_mov_b32_e32 v15, v4
.LBB15_19:                              ;   in Loop: Header=BB15_3 Depth=1
	s_or_b32 exec_lo, exec_lo, s0
	s_delay_alu instid0(VALU_DEP_1) | instskip(SKIP_3) | instid1(VALU_DEP_3)
	v_lshlrev_b64 v[14:15], 2, v[14:15]
	s_waitcnt lgkmcnt(0)
	v_dual_mov_b32 v21, s7 :: v_dual_mov_b32 v20, s6
	v_dual_mov_b32 v23, s5 :: v_dual_mov_b32 v22, s4
	v_add_co_u32 v14, vcc_lo, s8, v14
	s_delay_alu instid0(VALU_DEP_4)
	v_add_co_ci_u32_e32 v15, vcc_lo, s9, v15, vcc_lo
	s_and_not1_b32 vcc_lo, exec_lo, s19
	global_load_b32 v37, v[14:15], off
	s_cbranch_vccnz .LBB15_21
; %bb.20:                               ;   in Loop: Header=BB15_3 Depth=1
	v_dual_mov_b32 v15, s7 :: v_dual_mov_b32 v14, s6
	v_dual_mov_b32 v19, s5 :: v_dual_mov_b32 v18, s4
	flat_load_b64 v[14:15], v[14:15]
	flat_load_b64 v[22:23], v[18:19]
	s_waitcnt vmcnt(1) lgkmcnt(1)
	v_add_co_u32 v20, vcc_lo, v14, s14
	v_add_co_ci_u32_e32 v21, vcc_lo, s15, v15, vcc_lo
.LBB15_21:                              ;   in Loop: Header=BB15_3 Depth=1
	s_delay_alu instid0(VALU_DEP_1)
	v_alignbit_b32 v24, v21, v20, 2
	v_lshrrev_b32_e32 v18, 2, v21
	s_waitcnt vmcnt(0) lgkmcnt(0)
	v_add_nc_u32_e32 v39, 0xbb67ae85, v23
	v_add_nc_u32_e32 v40, 0x3c6ef372, v22
	;; [unrolled: 1-line block ×3, first 2 shown]
	v_add_co_u32 v19, vcc_lo, v24, 1
	s_delay_alu instid0(VALU_DEP_1) | instskip(SKIP_4) | instid1(VALU_DEP_4)
	v_cndmask_b32_e64 v14, 0, 1, vcc_lo
	v_add_co_ci_u32_e32 v21, vcc_lo, 0, v18, vcc_lo
	v_xor3_b32 v26, v33, v22, v18
	v_add_nc_u32_e32 v43, 0xed9eba14, v23
	v_add_nc_u32_e32 v44, 0x1fd5c5a3, v23
	v_cmp_eq_u32_e32 vcc_lo, 0, v21
	s_mov_b32 s0, exec_lo
	v_dual_cndmask_b32 v25, 0, v14 :: v_dual_add_nc_u32 v42, 0x32370b8f, v23
	v_mad_u64_u32 v[14:15], null, 0xd2511f53, v19, 0
	v_mad_u64_u32 v[18:19], null, 0xd2511f53, v24, 0
	s_delay_alu instid0(VALU_DEP_3) | instskip(NEXT) | instid1(VALU_DEP_3)
	v_add_nc_u32_e32 v28, v25, v1
	v_xor_b32_e32 v15, v15, v23
	s_delay_alu instid0(VALU_DEP_2) | instskip(SKIP_1) | instid1(VALU_DEP_1)
	v_cmp_eq_u32_e32 vcc_lo, 0, v28
	v_dual_cndmask_b32 v25, 0, v25 :: v_dual_add_nc_u32 v38, 0x9e3779b9, v22
	v_xor_b32_e32 v15, v25, v15
	v_mad_u64_u32 v[24:25], null, 0xd2511f53, v26, 0
	v_mad_u64_u32 v[26:27], null, 0xcd9e8d57, v28, 0
	s_delay_alu instid0(VALU_DEP_3) | instskip(SKIP_1) | instid1(VALU_DEP_4)
	v_mad_u64_u32 v[28:29], null, 0xcd9e8d57, v15, 0
	v_xor_b32_e32 v15, v19, v23
	v_xor3_b32 v30, v39, v25, v18
	s_delay_alu instid0(VALU_DEP_2) | instskip(SKIP_2) | instid1(VALU_DEP_4)
	v_mad_u64_u32 v[18:19], null, 0xcd9e8d57, v15, 0
	v_xor3_b32 v15, v27, v22, v21
	v_xor3_b32 v21, v38, v29, v26
	v_mad_u64_u32 v[25:26], null, 0xcd9e8d57, v30, 0
	s_delay_alu instid0(VALU_DEP_3) | instskip(NEXT) | instid1(VALU_DEP_3)
	v_mad_u64_u32 v[29:30], null, 0xd2511f53, v15, 0
	v_mad_u64_u32 v[31:32], null, 0xd2511f53, v21, 0
	v_xor3_b32 v15, v2, v19, v38
	s_delay_alu instid0(VALU_DEP_4) | instskip(SKIP_2) | instid1(VALU_DEP_4)
	v_xor3_b32 v26, v40, v26, v18
	v_add_nc_u32_e32 v21, 0xdaa66d2b, v22
	v_xor3_b32 v30, v39, v30, v14
	v_mad_u64_u32 v[18:19], null, 0xd2511f53, v15, 0
	v_xor3_b32 v32, v41, v32, v29
	v_mad_u64_u32 v[14:15], null, 0xd2511f53, v26, 0
	s_delay_alu instid0(VALU_DEP_4) | instskip(NEXT) | instid1(VALU_DEP_3)
	v_mad_u64_u32 v[26:27], null, 0xcd9e8d57, v30, 0
	v_mad_u64_u32 v[29:30], null, 0xcd9e8d57, v32, 0
	v_xor3_b32 v24, v41, v19, v24
	v_add_nc_u32_e32 v32, 0x78dde6e4, v22
	v_xor3_b32 v15, v42, v15, v18
	s_delay_alu instid0(VALU_DEP_3) | instskip(SKIP_2) | instid1(VALU_DEP_4)
	v_mad_u64_u32 v[18:19], null, 0xcd9e8d57, v24, 0
	v_xor3_b32 v24, v40, v27, v28
	v_xor3_b32 v28, v21, v30, v26
	v_mad_u64_u32 v[26:27], null, 0xcd9e8d57, v15, 0
	s_delay_alu instid0(VALU_DEP_3) | instskip(NEXT) | instid1(VALU_DEP_3)
	v_mad_u64_u32 v[38:39], null, 0xd2511f53, v24, 0
	v_mad_u64_u32 v[40:41], null, 0xd2511f53, v28, 0
	v_xor3_b32 v15, v21, v19, v25
	s_delay_alu instid0(VALU_DEP_4) | instskip(SKIP_2) | instid1(VALU_DEP_4)
	v_xor3_b32 v24, v32, v27, v18
	v_add_nc_u32_e32 v21, 0x1715609d, v22
	v_add_nc_u32_e32 v28, 0xa9066899, v23
	v_mad_u64_u32 v[18:19], null, 0xd2511f53, v15, 0
	v_xor3_b32 v15, v42, v39, v31
	v_xor3_b32 v27, v43, v41, v38
	v_mad_u64_u32 v[30:31], null, 0xd2511f53, v24, 0
	v_add_nc_u32_e32 v39, 0xb54cda56, v22
	s_delay_alu instid0(VALU_DEP_4) | instskip(NEXT) | instid1(VALU_DEP_4)
	v_mad_u64_u32 v[24:25], null, 0xcd9e8d57, v15, 0
	v_mad_u64_u32 v[41:42], null, 0xcd9e8d57, v27, 0
	v_xor3_b32 v19, v43, v19, v14
	v_xor3_b32 v27, v28, v31, v18
	v_add_nc_u32_e32 v38, 0x646e171e, v23
	v_xor3_b32 v29, v32, v25, v29
	s_delay_alu instid0(VALU_DEP_4) | instskip(SKIP_2) | instid1(VALU_DEP_4)
	v_mad_u64_u32 v[14:15], null, 0xcd9e8d57, v19, 0
	v_xor3_b32 v31, v21, v42, v24
	v_mad_u64_u32 v[18:19], null, 0xcd9e8d57, v27, 0
	v_mad_u64_u32 v[24:25], null, 0xd2511f53, v29, 0
	s_delay_alu instid0(VALU_DEP_3) | instskip(SKIP_3) | instid1(VALU_DEP_3)
	v_mad_u64_u32 v[42:43], null, 0xd2511f53, v31, 0
	v_xor3_b32 v21, v21, v15, v26
	v_add_nc_u32_e32 v29, 0x5384540f, v22
	v_xor3_b32 v19, v39, v19, v14
	v_mad_u64_u32 v[14:15], null, 0xd2511f53, v21, 0
	v_xor3_b32 v21, v28, v25, v40
	v_xor3_b32 v26, v38, v43, v24
	s_delay_alu instid0(VALU_DEP_4) | instskip(NEXT) | instid1(VALU_DEP_3)
	v_mad_u64_u32 v[24:25], null, 0xd2511f53, v19, 0
	v_mad_u64_u32 v[31:32], null, 0xcd9e8d57, v21, 0
	s_delay_alu instid0(VALU_DEP_3) | instskip(SKIP_1) | instid1(VALU_DEP_4)
	v_mad_u64_u32 v[27:28], null, 0xcd9e8d57, v26, 0
	v_xor3_b32 v19, v38, v15, v30
	v_xor3_b32 v21, v44, v25, v14
	v_add_co_u32 v38, null, 0xf1bbcdc8, v22
	s_delay_alu instid0(VALU_DEP_3) | instskip(SKIP_4) | instid1(VALU_DEP_4)
	v_mad_u64_u32 v[14:15], null, 0xcd9e8d57, v19, 0
	v_xor3_b32 v19, v39, v32, v41
	v_xor3_b32 v28, v29, v28, v31
	v_mad_u64_u32 v[25:26], null, 0xcd9e8d57, v21, 0
	v_add_nc_u32_e32 v39, 0xdb3d7428, v23
	v_mad_u64_u32 v[40:41], null, 0xd2511f53, v19, 0
	s_delay_alu instid0(VALU_DEP_4) | instskip(SKIP_4) | instid1(VALU_DEP_4)
	v_mad_u64_u32 v[30:31], null, 0xd2511f53, v28, 0
	v_xor3_b32 v15, v29, v15, v18
	v_xor3_b32 v18, v38, v26, v14
	v_add_nc_u32_e32 v26, 0x8ff34781, v22
	v_xor3_b32 v19, v44, v41, v42
	v_mad_u64_u32 v[28:29], null, 0xd2511f53, v15, 0
	v_xor3_b32 v21, v39, v31, v40
	v_mad_u64_u32 v[14:15], null, 0xd2511f53, v18, 0
	s_delay_alu instid0(VALU_DEP_4) | instskip(NEXT) | instid1(VALU_DEP_3)
	v_mad_u64_u32 v[31:32], null, 0xcd9e8d57, v19, 0
	v_mad_u64_u32 v[18:19], null, 0xcd9e8d57, v21, 0
	v_add_nc_u32_e32 v40, 0x96a522ad, v23
	v_and_b32_e32 v23, 3, v20
                                        ; implicit-def: $vgpr21
	s_delay_alu instid0(VALU_DEP_2) | instskip(NEXT) | instid1(VALU_DEP_4)
	v_xor3_b32 v22, v15, v28, v40
	v_xor3_b32 v15, v19, v31, v26
	s_delay_alu instid0(VALU_DEP_3)
	v_cmpx_lt_i32_e32 1, v23
	s_xor_b32 s0, exec_lo, s0
	s_cbranch_execz .LBB15_27
; %bb.22:                               ;   in Loop: Header=BB15_3 Depth=1
	s_mov_b32 s31, exec_lo
                                        ; implicit-def: $vgpr21
	v_cmpx_lt_i32_e32 2, v23
	s_xor_b32 s31, exec_lo, s31
; %bb.23:                               ;   in Loop: Header=BB15_3 Depth=1
	v_xor3_b32 v19, v38, v32, v27
                                        ; implicit-def: $vgpr22
	s_delay_alu instid0(VALU_DEP_1) | instskip(NEXT) | instid1(VALU_DEP_1)
	v_mul_hi_u32 v19, 0xd2511f53, v19
	v_xor3_b32 v21, v19, v30, v40
; %bb.24:                               ;   in Loop: Header=BB15_3 Depth=1
	s_and_not1_saveexec_b32 s31, s31
; %bb.25:                               ;   in Loop: Header=BB15_3 Depth=1
	v_dual_mov_b32 v21, v18 :: v_dual_mov_b32 v18, v15
	v_mov_b32_e32 v15, v14
	v_mov_b32_e32 v14, v22
; %bb.26:                               ;   in Loop: Header=BB15_3 Depth=1
	s_or_b32 exec_lo, exec_lo, s31
                                        ; implicit-def: $vgpr24_vgpr25
                                        ; implicit-def: $vgpr23
                                        ; implicit-def: $vgpr22
                                        ; implicit-def: $vgpr39
                                        ; implicit-def: $vgpr28_vgpr29
                                        ; implicit-def: $vgpr25_vgpr26
                                        ; implicit-def: $vgpr26
.LBB15_27:                              ;   in Loop: Header=BB15_3 Depth=1
	s_and_not1_saveexec_b32 s0, s0
	s_cbranch_execz .LBB15_31
; %bb.28:                               ;   in Loop: Header=BB15_3 Depth=1
	v_xor3_b32 v18, v39, v29, v24
	v_cmp_eq_u32_e32 vcc_lo, 1, v23
	s_delay_alu instid0(VALU_DEP_2) | instskip(SKIP_2) | instid1(VALU_DEP_3)
	v_mad_u64_u32 v[19:20], null, 0xcd9e8d57, v18, 0
	v_mov_b32_e32 v21, v14
	v_mov_b32_e32 v18, v22
	v_xor3_b32 v23, v20, v25, v26
	s_delay_alu instid0(VALU_DEP_4)
	v_mov_b32_e32 v20, v19
	s_and_saveexec_b32 s31, vcc_lo
; %bb.29:                               ;   in Loop: Header=BB15_3 Depth=1
	v_dual_mov_b32 v21, v15 :: v_dual_mov_b32 v18, v14
	v_dual_mov_b32 v20, v22 :: v_dual_mov_b32 v23, v19
; %bb.30:                               ;   in Loop: Header=BB15_3 Depth=1
	s_or_b32 exec_lo, exec_lo, s31
	s_delay_alu instid0(VALU_DEP_1)
	v_dual_mov_b32 v14, v23 :: v_dual_mov_b32 v15, v20
.LBB15_31:                              ;   in Loop: Header=BB15_3 Depth=1
	s_or_b32 exec_lo, exec_lo, s0
	v_min_i32_e32 v19, 4, v36
	s_mov_b32 s31, 0
	s_mov_b32 s38, 0
                                        ; implicit-def: $sgpr33
                                        ; implicit-def: $sgpr34
                                        ; implicit-def: $sgpr35
	s_mov_b32 s0, exec_lo
	s_delay_alu instid0(VALU_DEP_1)
	v_cmpx_lt_i32_e32 2, v19
	s_xor_b32 s36, exec_lo, s0
	s_cbranch_execz .LBB15_41
; %bb.32:                               ;   in Loop: Header=BB15_3 Depth=1
	s_mov_b32 s35, -1
	s_mov_b32 s34, exec_lo
                                        ; implicit-def: $sgpr33
                                        ; implicit-def: $sgpr37
	v_cmpx_lt_i32_e32 3, v19
	s_cbranch_execz .LBB15_36
; %bb.33:                               ;   in Loop: Header=BB15_3 Depth=1
	v_cmp_le_f32_e32 vcc_lo, 0, v37
	v_cmp_ge_f32_e64 s0, 1.0, v37
	s_mov_b32 s33, 0
	s_delay_alu instid0(VALU_DEP_1)
	s_and_b32 s37, vcc_lo, s0
	s_mov_b32 s0, 0
	s_and_saveexec_b32 s35, s37
	s_cbranch_execz .LBB15_35
; %bb.34:                               ;   in Loop: Header=BB15_3 Depth=1
	v_cvt_f32_u32_e32 v20, v21
	v_add_co_u32 v16, vcc_lo, s12, v16
	v_add_co_ci_u32_e32 v17, vcc_lo, s13, v17, vcc_lo
	s_delay_alu instid0(VALU_DEP_3) | instskip(SKIP_1) | instid1(VALU_DEP_1)
	v_fmaak_f32 v20, 0x2f800000, v20, 0x2f800000
	s_mov_b32 s0, exec_lo
	v_cmp_le_f32_e32 vcc_lo, v20, v37
	v_cndmask_b32_e64 v20, 0, 1, vcc_lo
	global_store_b8 v[16:17], v20, off
.LBB15_35:                              ;   in Loop: Header=BB15_3 Depth=1
	s_or_b32 exec_lo, exec_lo, s35
	s_mov_b32 s37, -1
	s_or_not1_b32 s35, s0, exec_lo
.LBB15_36:                              ;   in Loop: Header=BB15_3 Depth=1
	s_or_b32 exec_lo, exec_lo, s34
	s_mov_b32 s0, 0
	s_mov_b32 s38, s33
	s_and_saveexec_b32 s34, s35
	s_cbranch_execz .LBB15_40
; %bb.37:                               ;   in Loop: Header=BB15_3 Depth=1
	v_lshlrev_b64 v[12:13], 2, v[12:13]
	s_delay_alu instid0(VALU_DEP_1) | instskip(NEXT) | instid1(VALU_DEP_2)
	v_add_co_u32 v12, vcc_lo, s8, v12
	v_add_co_ci_u32_e32 v13, vcc_lo, s9, v13, vcc_lo
	global_load_b32 v12, v[12:13], off
	s_waitcnt vmcnt(0)
	v_cmp_le_f32_e32 vcc_lo, 0, v12
	v_cmp_ge_f32_e64 s0, 1.0, v12
	s_delay_alu instid0(VALU_DEP_1) | instskip(SKIP_2) | instid1(SALU_CYCLE_1)
	s_and_b32 s35, vcc_lo, s0
	s_mov_b32 s0, 0
	s_and_saveexec_b32 s38, s35
	s_xor_b32 s35, exec_lo, s38
	s_cbranch_execz .LBB15_39
; %bb.38:                               ;   in Loop: Header=BB15_3 Depth=1
	v_cvt_f32_u32_e32 v13, v18
	v_add_co_u32 v10, vcc_lo, s12, v10
	v_add_co_ci_u32_e32 v11, vcc_lo, s13, v11, vcc_lo
	s_delay_alu instid0(VALU_DEP_3) | instskip(SKIP_1) | instid1(VALU_DEP_1)
	v_fmaak_f32 v13, 0x2f800000, v13, 0x2f800000
	s_mov_b32 s0, exec_lo
	v_cmp_le_f32_e32 vcc_lo, v13, v12
	v_cndmask_b32_e64 v12, 0, 1, vcc_lo
	global_store_b8 v[10:11], v12, off
.LBB15_39:                              ;   in Loop: Header=BB15_3 Depth=1
	s_or_b32 exec_lo, exec_lo, s35
	s_delay_alu instid0(SALU_CYCLE_1)
	s_and_not1_b32 s38, s33, exec_lo
	s_or_b32 s33, s33, exec_lo
	s_and_not1_b32 s37, s37, exec_lo
	s_and_b32 s0, s0, exec_lo
.LBB15_40:                              ;   in Loop: Header=BB15_3 Depth=1
	s_or_b32 exec_lo, exec_lo, s34
	s_delay_alu instid0(SALU_CYCLE_1)
	s_and_b32 s35, s38, exec_lo
	s_and_b32 s34, s33, exec_lo
	;; [unrolled: 1-line block ×4, first 2 shown]
.LBB15_41:                              ;   in Loop: Header=BB15_3 Depth=1
	s_and_not1_saveexec_b32 s0, s36
; %bb.42:                               ;   in Loop: Header=BB15_3 Depth=1
	v_cmp_lt_i32_e32 vcc_lo, 1, v19
	s_and_not1_b32 s36, s38, exec_lo
	s_mov_b32 s31, exec_lo
	s_and_not1_b32 s35, s35, exec_lo
	s_and_not1_b32 s34, s34, exec_lo
	s_and_b32 s37, vcc_lo, exec_lo
	s_and_not1_b32 s33, s33, exec_lo
	s_or_b32 s38, s36, s37
; %bb.43:                               ;   in Loop: Header=BB15_3 Depth=1
	s_or_b32 exec_lo, exec_lo, s0
	s_mov_b32 s36, 0
	s_mov_b32 s0, 0
	s_mov_b32 s37, s35
	s_and_saveexec_b32 s39, s38
	s_cbranch_execnz .LBB15_46
; %bb.44:                               ;   in Loop: Header=BB15_3 Depth=1
	s_or_b32 exec_lo, exec_lo, s39
	s_and_saveexec_b32 s38, s31
	s_cbranch_execnz .LBB15_49
.LBB15_45:                              ;   in Loop: Header=BB15_3 Depth=1
	s_or_b32 exec_lo, exec_lo, s38
	s_and_saveexec_b32 s31, s0
	s_cbranch_execnz .LBB15_50
	s_branch .LBB15_53
.LBB15_46:                              ;   in Loop: Header=BB15_3 Depth=1
	v_lshlrev_b64 v[8:9], 2, v[8:9]
	s_delay_alu instid0(VALU_DEP_1) | instskip(NEXT) | instid1(VALU_DEP_2)
	v_add_co_u32 v8, vcc_lo, s8, v8
	v_add_co_ci_u32_e32 v9, vcc_lo, s9, v9, vcc_lo
	global_load_b32 v8, v[8:9], off
	s_waitcnt vmcnt(0)
	v_cmp_le_f32_e32 vcc_lo, 0, v8
	v_cmp_ge_f32_e64 s0, 1.0, v8
	s_delay_alu instid0(VALU_DEP_1) | instskip(SKIP_2) | instid1(SALU_CYCLE_1)
	s_and_b32 s37, vcc_lo, s0
	s_mov_b32 s0, 0
	s_and_saveexec_b32 s38, s37
	s_xor_b32 s37, exec_lo, s38
	s_cbranch_execz .LBB15_48
; %bb.47:                               ;   in Loop: Header=BB15_3 Depth=1
	v_cvt_f32_u32_e32 v9, v15
	v_add_co_u32 v6, vcc_lo, s12, v6
	v_add_co_ci_u32_e32 v7, vcc_lo, s13, v7, vcc_lo
	s_delay_alu instid0(VALU_DEP_3) | instskip(SKIP_1) | instid1(VALU_DEP_1)
	v_fmaak_f32 v9, 0x2f800000, v9, 0x2f800000
	s_mov_b32 s0, exec_lo
	v_cmp_le_f32_e32 vcc_lo, v9, v8
	v_cndmask_b32_e64 v8, 0, 1, vcc_lo
	global_store_b8 v[6:7], v8, off
.LBB15_48:                              ;   in Loop: Header=BB15_3 Depth=1
	s_or_b32 exec_lo, exec_lo, s37
	s_delay_alu instid0(SALU_CYCLE_1)
	s_and_not1_b32 s37, s35, exec_lo
	s_or_b32 s35, s35, exec_lo
	s_and_not1_b32 s34, s34, exec_lo
	s_and_not1_b32 s33, s33, exec_lo
	s_and_b32 s0, s0, exec_lo
	s_and_not1_b32 s31, s31, exec_lo
	s_or_b32 exec_lo, exec_lo, s39
	s_and_saveexec_b32 s38, s31
	s_cbranch_execz .LBB15_45
.LBB15_49:                              ;   in Loop: Header=BB15_3 Depth=1
	v_cmp_eq_u32_e32 vcc_lo, 1, v19
	s_and_not1_b32 s0, s0, exec_lo
	s_mov_b32 s36, exec_lo
	s_and_not1_b32 s37, s37, exec_lo
	s_and_not1_b32 s35, s35, exec_lo
	s_and_b32 s31, vcc_lo, exec_lo
	s_and_not1_b32 s34, s34, exec_lo
	s_and_not1_b32 s33, s33, exec_lo
	s_or_b32 s0, s0, s31
	s_or_b32 exec_lo, exec_lo, s38
	s_and_saveexec_b32 s31, s0
	s_cbranch_execz .LBB15_53
.LBB15_50:                              ;   in Loop: Header=BB15_3 Depth=1
	v_lshlrev_b64 v[6:7], 2, v[3:4]
	s_mov_b32 s38, 0
	s_delay_alu instid0(VALU_DEP_1) | instskip(NEXT) | instid1(VALU_DEP_2)
	v_add_co_u32 v6, vcc_lo, s8, v6
	v_add_co_ci_u32_e32 v7, vcc_lo, s9, v7, vcc_lo
	global_load_b32 v3, v[6:7], off
	s_waitcnt vmcnt(0)
	v_cmp_le_f32_e32 vcc_lo, 0, v3
	v_cmp_ge_f32_e64 s0, 1.0, v3
	s_delay_alu instid0(VALU_DEP_1) | instskip(NEXT) | instid1(SALU_CYCLE_1)
	s_and_b32 s39, vcc_lo, s0
	s_and_saveexec_b32 s0, s39
	s_cbranch_execz .LBB15_52
; %bb.51:                               ;   in Loop: Header=BB15_3 Depth=1
	v_cvt_f32_u32_e32 v6, v14
	s_mov_b32 s38, exec_lo
	s_delay_alu instid0(VALU_DEP_1) | instskip(NEXT) | instid1(VALU_DEP_1)
	v_fmaak_f32 v6, 0x2f800000, v6, 0x2f800000
	v_cmp_le_f32_e32 vcc_lo, v6, v3
	v_cndmask_b32_e64 v3, 0, 1, vcc_lo
	global_store_b8 v5, v3, s[12:13]
.LBB15_52:                              ;   in Loop: Header=BB15_3 Depth=1
	s_or_b32 exec_lo, exec_lo, s0
	s_delay_alu instid0(SALU_CYCLE_1)
	s_and_not1_b32 s0, s36, exec_lo
	s_and_b32 s36, s38, exec_lo
	s_or_b32 s37, s37, exec_lo
	s_and_not1_b32 s35, s35, exec_lo
	s_and_not1_b32 s34, s34, exec_lo
	s_and_not1_b32 s33, s33, exec_lo
	s_or_b32 s36, s0, s36
.LBB15_53:                              ;   in Loop: Header=BB15_3 Depth=1
	s_or_b32 exec_lo, exec_lo, s31
	s_delay_alu instid0(SALU_CYCLE_1)
	s_and_not1_b32 s30, s30, exec_lo
	s_and_b32 s31, s37, exec_lo
	s_and_not1_b32 s28, s28, exec_lo
	s_and_b32 s35, s35, exec_lo
	s_or_b32 s30, s30, s31
	s_and_not1_b32 s29, s29, exec_lo
	s_and_b32 s31, s34, exec_lo
	s_and_not1_b32 s27, s27, exec_lo
	s_and_b32 s33, s33, exec_lo
	s_mov_b32 s0, -1
	s_or_b32 s28, s28, s35
	s_or_b32 s29, s29, s31
	;; [unrolled: 1-line block ×3, first 2 shown]
	s_and_saveexec_b32 s31, s36
	s_cbranch_execz .LBB15_2
; %bb.54:                               ;   in Loop: Header=BB15_3 Depth=1
	v_add_nc_u32_e32 v0, s24, v0
	v_subrev_nc_u32_e32 v36, s24, v36
	s_and_not1_b32 s30, s30, exec_lo
	s_and_not1_b32 s28, s28, exec_lo
	;; [unrolled: 1-line block ×3, first 2 shown]
	v_cmp_le_u32_e32 vcc_lo, s16, v0
	s_and_not1_b32 s27, s27, exec_lo
	s_or_not1_b32 s0, vcc_lo, exec_lo
	s_branch .LBB15_2
.LBB15_55:
	s_or_b32 exec_lo, exec_lo, s22
	s_xor_b32 s4, s25, -1
	s_xor_b32 s5, s26, -1
	;; [unrolled: 1-line block ×3, first 2 shown]
	s_mov_b32 s2, 0
	s_and_saveexec_b32 s3, s0
	s_delay_alu instid0(SALU_CYCLE_1)
	s_xor_b32 s0, exec_lo, s3
	s_cbranch_execz .LBB15_64
; %bb.56:
	s_mov_b32 s3, 0
	s_and_saveexec_b32 s2, s5
	s_delay_alu instid0(SALU_CYCLE_1)
	s_xor_b32 s2, exec_lo, s2
	s_cbranch_execz .LBB15_62
; %bb.57:
	s_and_saveexec_b32 s5, s4
	s_delay_alu instid0(SALU_CYCLE_1)
	s_xor_b32 s4, exec_lo, s5
	s_cbranch_execz .LBB15_60
; %bb.58:
	s_and_saveexec_b32 s5, s1
	s_delay_alu instid0(SALU_CYCLE_1)
	s_xor_b32 s1, exec_lo, s5
	s_cbranch_execnz .LBB15_78
.LBB15_59:
	s_or_b32 exec_lo, exec_lo, s1
	s_delay_alu instid0(SALU_CYCLE_1)
	s_and_b32 s3, s3, exec_lo
.LBB15_60:
	s_and_not1_saveexec_b32 s1, s4
	s_cbranch_execnz .LBB15_74
.LBB15_61:
	s_or_b32 exec_lo, exec_lo, s1
	s_delay_alu instid0(SALU_CYCLE_1)
	s_and_b32 s3, s3, exec_lo
.LBB15_62:
	s_and_not1_saveexec_b32 s1, s2
	s_cbranch_execnz .LBB15_70
.LBB15_63:
	s_or_b32 exec_lo, exec_lo, s1
	s_delay_alu instid0(SALU_CYCLE_1)
	s_and_b32 s2, s3, exec_lo
.LBB15_64:
	s_and_not1_saveexec_b32 s0, s0
	s_cbranch_execnz .LBB15_68
; %bb.65:
	s_or_b32 exec_lo, exec_lo, s0
	s_delay_alu instid0(SALU_CYCLE_1)
	s_and_b32 exec_lo, exec_lo, s2
.LBB15_66:
	; divergent unreachable
.LBB15_67:
	s_nop 0
	s_sendmsg sendmsg(MSG_DEALLOC_VGPRS)
	s_endpgm
.LBB15_68:
	s_cbranch_execnz .LBB15_72
; %bb.69:
	s_or_b32 s2, s2, exec_lo
	s_or_b32 exec_lo, exec_lo, s0
	s_delay_alu instid0(SALU_CYCLE_1)
	s_and_b32 exec_lo, exec_lo, s2
	s_cbranch_execnz .LBB15_66
	s_branch .LBB15_67
.LBB15_70:
	s_cbranch_execnz .LBB15_76
; %bb.71:
	s_or_b32 s3, s3, exec_lo
	s_branch .LBB15_63
.LBB15_72:
	s_trap 2
	s_sendmsg_rtn_b32 s0, sendmsg(MSG_RTN_GET_DOORBELL)
	s_mov_b32 ttmp2, m0
	s_waitcnt lgkmcnt(0)
	s_and_b32 s0, s0, 0x3ff
	s_delay_alu instid0(SALU_CYCLE_1) | instskip(NEXT) | instid1(SALU_CYCLE_1)
	s_bitset1_b32 s0, 10
	s_mov_b32 m0, s0
	s_sendmsg sendmsg(MSG_INTERRUPT)
	s_mov_b32 m0, ttmp2
.LBB15_73:                              ; =>This Inner Loop Header: Depth=1
	s_sethalt 5
	s_branch .LBB15_73
.LBB15_74:
	s_cbranch_execnz .LBB15_80
; %bb.75:
	s_or_b32 s3, s3, exec_lo
	s_branch .LBB15_61
.LBB15_76:
	s_trap 2
	s_sendmsg_rtn_b32 s0, sendmsg(MSG_RTN_GET_DOORBELL)
	s_mov_b32 ttmp2, m0
	s_waitcnt lgkmcnt(0)
	s_and_b32 s0, s0, 0x3ff
	s_delay_alu instid0(SALU_CYCLE_1) | instskip(NEXT) | instid1(SALU_CYCLE_1)
	s_bitset1_b32 s0, 10
	s_mov_b32 m0, s0
	s_sendmsg sendmsg(MSG_INTERRUPT)
	s_mov_b32 m0, ttmp2
.LBB15_77:                              ; =>This Inner Loop Header: Depth=1
	s_sethalt 5
	s_branch .LBB15_77
.LBB15_78:
	s_cbranch_execnz .LBB15_82
; %bb.79:
	s_mov_b32 s3, exec_lo
	s_branch .LBB15_59
.LBB15_80:
	s_trap 2
	s_sendmsg_rtn_b32 s0, sendmsg(MSG_RTN_GET_DOORBELL)
	s_mov_b32 ttmp2, m0
	s_waitcnt lgkmcnt(0)
	s_and_b32 s0, s0, 0x3ff
	s_delay_alu instid0(SALU_CYCLE_1) | instskip(NEXT) | instid1(SALU_CYCLE_1)
	s_bitset1_b32 s0, 10
	s_mov_b32 m0, s0
	s_sendmsg sendmsg(MSG_INTERRUPT)
	s_mov_b32 m0, ttmp2
.LBB15_81:                              ; =>This Inner Loop Header: Depth=1
	s_sethalt 5
	s_branch .LBB15_81
.LBB15_82:
	s_trap 2
	s_sendmsg_rtn_b32 s0, sendmsg(MSG_RTN_GET_DOORBELL)
	s_mov_b32 ttmp2, m0
	s_waitcnt lgkmcnt(0)
	s_and_b32 s0, s0, 0x3ff
	s_delay_alu instid0(SALU_CYCLE_1) | instskip(NEXT) | instid1(SALU_CYCLE_1)
	s_bitset1_b32 s0, 10
	s_mov_b32 m0, s0
	s_sendmsg sendmsg(MSG_INTERRUPT)
	s_mov_b32 m0, ttmp2
.LBB15_83:                              ; =>This Inner Loop Header: Depth=1
	s_sethalt 5
	s_branch .LBB15_83
	.section	.rodata,"a",@progbits
	.p2align	6, 0x0
	.amdhsa_kernel _ZN2at4cuda12_GLOBAL__N_121kernelPointwiseApply2IZNS_6native9templates4cuda28bernoulli_tensor_cuda_kernelIhfEEvRKNS_10TensorBaseES9_NS_15PhiloxCudaStateEEUliRhSB_SB_SB_RKfSD_SD_SD_E_hSC_jLi2ELi2ELi4ELi512ELi2EEEvNS0_6detail10TensorInfoIT0_T2_EENSG_IT1_SI_EESI_T_
		.amdhsa_group_segment_fixed_size 0
		.amdhsa_private_segment_fixed_size 0
		.amdhsa_kernarg_size 728
		.amdhsa_user_sgpr_count 15
		.amdhsa_user_sgpr_dispatch_ptr 0
		.amdhsa_user_sgpr_queue_ptr 0
		.amdhsa_user_sgpr_kernarg_segment_ptr 1
		.amdhsa_user_sgpr_dispatch_id 0
		.amdhsa_user_sgpr_private_segment_size 0
		.amdhsa_wavefront_size32 1
		.amdhsa_uses_dynamic_stack 0
		.amdhsa_enable_private_segment 0
		.amdhsa_system_sgpr_workgroup_id_x 1
		.amdhsa_system_sgpr_workgroup_id_y 0
		.amdhsa_system_sgpr_workgroup_id_z 0
		.amdhsa_system_sgpr_workgroup_info 0
		.amdhsa_system_vgpr_workitem_id 0
		.amdhsa_next_free_vgpr 45
		.amdhsa_next_free_sgpr 40
		.amdhsa_reserve_vcc 1
		.amdhsa_float_round_mode_32 0
		.amdhsa_float_round_mode_16_64 0
		.amdhsa_float_denorm_mode_32 3
		.amdhsa_float_denorm_mode_16_64 3
		.amdhsa_dx10_clamp 1
		.amdhsa_ieee_mode 1
		.amdhsa_fp16_overflow 0
		.amdhsa_workgroup_processor_mode 1
		.amdhsa_memory_ordered 1
		.amdhsa_forward_progress 0
		.amdhsa_shared_vgpr_count 0
		.amdhsa_exception_fp_ieee_invalid_op 0
		.amdhsa_exception_fp_denorm_src 0
		.amdhsa_exception_fp_ieee_div_zero 0
		.amdhsa_exception_fp_ieee_overflow 0
		.amdhsa_exception_fp_ieee_underflow 0
		.amdhsa_exception_fp_ieee_inexact 0
		.amdhsa_exception_int_div_zero 0
	.end_amdhsa_kernel
	.section	.text._ZN2at4cuda12_GLOBAL__N_121kernelPointwiseApply2IZNS_6native9templates4cuda28bernoulli_tensor_cuda_kernelIhfEEvRKNS_10TensorBaseES9_NS_15PhiloxCudaStateEEUliRhSB_SB_SB_RKfSD_SD_SD_E_hSC_jLi2ELi2ELi4ELi512ELi2EEEvNS0_6detail10TensorInfoIT0_T2_EENSG_IT1_SI_EESI_T_,"axG",@progbits,_ZN2at4cuda12_GLOBAL__N_121kernelPointwiseApply2IZNS_6native9templates4cuda28bernoulli_tensor_cuda_kernelIhfEEvRKNS_10TensorBaseES9_NS_15PhiloxCudaStateEEUliRhSB_SB_SB_RKfSD_SD_SD_E_hSC_jLi2ELi2ELi4ELi512ELi2EEEvNS0_6detail10TensorInfoIT0_T2_EENSG_IT1_SI_EESI_T_,comdat
.Lfunc_end15:
	.size	_ZN2at4cuda12_GLOBAL__N_121kernelPointwiseApply2IZNS_6native9templates4cuda28bernoulli_tensor_cuda_kernelIhfEEvRKNS_10TensorBaseES9_NS_15PhiloxCudaStateEEUliRhSB_SB_SB_RKfSD_SD_SD_E_hSC_jLi2ELi2ELi4ELi512ELi2EEEvNS0_6detail10TensorInfoIT0_T2_EENSG_IT1_SI_EESI_T_, .Lfunc_end15-_ZN2at4cuda12_GLOBAL__N_121kernelPointwiseApply2IZNS_6native9templates4cuda28bernoulli_tensor_cuda_kernelIhfEEvRKNS_10TensorBaseES9_NS_15PhiloxCudaStateEEUliRhSB_SB_SB_RKfSD_SD_SD_E_hSC_jLi2ELi2ELi4ELi512ELi2EEEvNS0_6detail10TensorInfoIT0_T2_EENSG_IT1_SI_EESI_T_
                                        ; -- End function
	.section	.AMDGPU.csdata,"",@progbits
; Kernel info:
; codeLenInByte = 4188
; NumSgprs: 42
; NumVgprs: 45
; ScratchSize: 0
; MemoryBound: 0
; FloatMode: 240
; IeeeMode: 1
; LDSByteSize: 0 bytes/workgroup (compile time only)
; SGPRBlocks: 5
; VGPRBlocks: 5
; NumSGPRsForWavesPerEU: 42
; NumVGPRsForWavesPerEU: 45
; Occupancy: 16
; WaveLimiterHint : 1
; COMPUTE_PGM_RSRC2:SCRATCH_EN: 0
; COMPUTE_PGM_RSRC2:USER_SGPR: 15
; COMPUTE_PGM_RSRC2:TRAP_HANDLER: 0
; COMPUTE_PGM_RSRC2:TGID_X_EN: 1
; COMPUTE_PGM_RSRC2:TGID_Y_EN: 0
; COMPUTE_PGM_RSRC2:TGID_Z_EN: 0
; COMPUTE_PGM_RSRC2:TIDIG_COMP_CNT: 0
	.section	.text._ZN2at4cuda12_GLOBAL__N_121kernelPointwiseApply2IZNS_6native9templates4cuda28bernoulli_tensor_cuda_kernelIhfEEvRKNS_10TensorBaseES9_NS_15PhiloxCudaStateEEUliRhSB_SB_SB_RKfSD_SD_SD_E_hSC_jLi2ELin1ELi4ELi512ELi2EEEvNS0_6detail10TensorInfoIT0_T2_EENSG_IT1_SI_EESI_T_,"axG",@progbits,_ZN2at4cuda12_GLOBAL__N_121kernelPointwiseApply2IZNS_6native9templates4cuda28bernoulli_tensor_cuda_kernelIhfEEvRKNS_10TensorBaseES9_NS_15PhiloxCudaStateEEUliRhSB_SB_SB_RKfSD_SD_SD_E_hSC_jLi2ELin1ELi4ELi512ELi2EEEvNS0_6detail10TensorInfoIT0_T2_EENSG_IT1_SI_EESI_T_,comdat
	.globl	_ZN2at4cuda12_GLOBAL__N_121kernelPointwiseApply2IZNS_6native9templates4cuda28bernoulli_tensor_cuda_kernelIhfEEvRKNS_10TensorBaseES9_NS_15PhiloxCudaStateEEUliRhSB_SB_SB_RKfSD_SD_SD_E_hSC_jLi2ELin1ELi4ELi512ELi2EEEvNS0_6detail10TensorInfoIT0_T2_EENSG_IT1_SI_EESI_T_ ; -- Begin function _ZN2at4cuda12_GLOBAL__N_121kernelPointwiseApply2IZNS_6native9templates4cuda28bernoulli_tensor_cuda_kernelIhfEEvRKNS_10TensorBaseES9_NS_15PhiloxCudaStateEEUliRhSB_SB_SB_RKfSD_SD_SD_E_hSC_jLi2ELin1ELi4ELi512ELi2EEEvNS0_6detail10TensorInfoIT0_T2_EENSG_IT1_SI_EESI_T_
	.p2align	8
	.type	_ZN2at4cuda12_GLOBAL__N_121kernelPointwiseApply2IZNS_6native9templates4cuda28bernoulli_tensor_cuda_kernelIhfEEvRKNS_10TensorBaseES9_NS_15PhiloxCudaStateEEUliRhSB_SB_SB_RKfSD_SD_SD_E_hSC_jLi2ELin1ELi4ELi512ELi2EEEvNS0_6detail10TensorInfoIT0_T2_EENSG_IT1_SI_EESI_T_,@function
_ZN2at4cuda12_GLOBAL__N_121kernelPointwiseApply2IZNS_6native9templates4cuda28bernoulli_tensor_cuda_kernelIhfEEvRKNS_10TensorBaseES9_NS_15PhiloxCudaStateEEUliRhSB_SB_SB_RKfSD_SD_SD_E_hSC_jLi2ELin1ELi4ELi512ELi2EEEvNS0_6detail10TensorInfoIT0_T2_EENSG_IT1_SI_EESI_T_: ; @_ZN2at4cuda12_GLOBAL__N_121kernelPointwiseApply2IZNS_6native9templates4cuda28bernoulli_tensor_cuda_kernelIhfEEvRKNS_10TensorBaseES9_NS_15PhiloxCudaStateEEUliRhSB_SB_SB_RKfSD_SD_SD_E_hSC_jLi2ELin1ELi4ELi512ELi2EEEvNS0_6detail10TensorInfoIT0_T2_EENSG_IT1_SI_EESI_T_
; %bb.0:
	s_clause 0x1
	s_load_b32 s2, s[0:1], 0x1e4
	s_load_b32 s18, s[0:1], 0x1b0
	s_add_u32 s4, s0, 0x1d8
	s_addc_u32 s5, s1, 0
	s_waitcnt lgkmcnt(0)
	s_and_b32 s14, s2, 0xffff
	s_mov_b32 s2, exec_lo
	v_mad_u64_u32 v[1:2], null, s15, s14, v[0:1]
	s_delay_alu instid0(VALU_DEP_1) | instskip(NEXT) | instid1(VALU_DEP_1)
	v_lshlrev_b32_e32 v30, 2, v1
	v_cmpx_gt_u32_e64 s18, v30
	s_cbranch_execz .LBB16_81
; %bb.1:
	s_clause 0x4
	s_load_b32 s19, s[0:1], 0xc
	s_load_b32 s16, s[0:1], 0x1a8
	;; [unrolled: 1-line block ×3, first 2 shown]
	s_load_b64 s[2:3], s[0:1], 0x6c
	s_load_b64 s[8:9], s[0:1], 0xd8
	v_mad_u64_u32 v[2:3], null, 0xcd9e8d57, v1, 0
	s_add_u32 s17, s0, 0xd8
	s_load_b32 s15, s[4:5], 0x0
	s_load_b32 s20, s[0:1], 0x144
	s_addc_u32 s23, s1, 0
	s_load_b64 s[10:11], s[0:1], 0x0
	v_mov_b32_e32 v4, 0
                                        ; implicit-def: $sgpr26
                                        ; implicit-def: $sgpr28
                                        ; implicit-def: $sgpr27
                                        ; implicit-def: $sgpr29
                                        ; implicit-def: $sgpr31
                                        ; implicit-def: $sgpr30
                                        ; implicit-def: $sgpr33
	s_delay_alu instid0(VALU_DEP_2)
	v_mov_b32_e32 v31, v3
	s_waitcnt lgkmcnt(0)
	v_cvt_f32_u32_e32 v0, s19
	s_cmp_gt_i32 s16, 1
	s_cselect_b32 s21, -1, 0
	s_bitcmp1_b32 s6, 0
	s_delay_alu instid0(VALU_DEP_1)
	v_rcp_iflag_f32_e32 v0, v0
	s_cselect_b32 s22, -1, 0
	s_sub_i32 s4, 0, s19
	s_mul_i32 s15, s15, s14
	s_add_i32 s25, s16, 1
	s_lshl_b32 s24, s15, 2
	s_waitcnt_depctr 0xfff
	v_mul_f32_e32 v0, 0x4f7ffffe, v0
	s_delay_alu instid0(VALU_DEP_1) | instskip(NEXT) | instid1(VALU_DEP_1)
	v_cvt_u32_f32_e32 v0, v0
	v_mul_lo_u32 v5, s4, v0
	s_clause 0x1
	s_load_b64 s[12:13], s[0:1], 0x1c8
	s_load_b128 s[4:7], s[0:1], 0x1b8
	s_mov_b32 s1, 0
	s_add_i32 s0, s16, -1
	s_delay_alu instid0(SALU_CYCLE_1) | instskip(NEXT) | instid1(SALU_CYCLE_1)
	s_lshl_b64 s[14:15], s[0:1], 2
	s_add_u32 s0, s14, s17
	v_mul_hi_u32 v5, v0, v5
	s_addc_u32 s15, s15, s23
	s_add_u32 s14, s0, 8
	s_addc_u32 s15, s15, 0
                                        ; implicit-def: $sgpr23
	s_delay_alu instid0(VALU_DEP_1)
	v_add_nc_u32_e32 v32, v0, v5
	s_branch .LBB16_3
.LBB16_2:                               ;   in Loop: Header=BB16_3 Depth=1
	s_or_b32 exec_lo, exec_lo, s16
	s_delay_alu instid0(SALU_CYCLE_1) | instskip(NEXT) | instid1(SALU_CYCLE_1)
	s_and_b32 s0, exec_lo, s0
	s_or_b32 s1, s0, s1
	s_and_not1_b32 s0, s23, exec_lo
	s_and_b32 s16, s33, exec_lo
	s_and_not1_b32 s17, s27, exec_lo
	s_and_b32 s27, s30, exec_lo
	s_or_b32 s23, s0, s16
	s_or_b32 s27, s17, s27
	s_and_not1_b32 s0, s28, exec_lo
	s_and_b32 s16, s31, exec_lo
	s_and_not1_b32 s17, s26, exec_lo
	s_and_b32 s26, s29, exec_lo
	s_or_b32 s28, s0, s16
	s_or_b32 s26, s17, s26
	s_and_not1_b32 exec_lo, exec_lo, s1
	s_cbranch_execz .LBB16_69
.LBB16_3:                               ; =>This Loop Header: Depth=1
                                        ;     Child Loop BB16_8 Depth 2
                                        ;     Child Loop BB16_15 Depth 2
	;; [unrolled: 1-line block ×4, first 2 shown]
	v_sub_nc_u32_e32 v33, s18, v30
	v_mov_b32_e32 v5, 0
	s_delay_alu instid0(VALU_DEP_2)
	v_cmp_lt_i32_e32 vcc_lo, 0, v33
	s_and_saveexec_b32 s16, vcc_lo
	s_cbranch_execz .LBB16_5
; %bb.4:                                ;   in Loop: Header=BB16_3 Depth=1
	v_mul_hi_u32 v0, v30, v32
	s_delay_alu instid0(VALU_DEP_1) | instskip(SKIP_1) | instid1(VALU_DEP_2)
	v_mul_lo_u32 v3, v0, s19
	v_add_nc_u32_e32 v5, 1, v0
	v_sub_nc_u32_e32 v3, v30, v3
	s_delay_alu instid0(VALU_DEP_1) | instskip(SKIP_1) | instid1(VALU_DEP_1)
	v_subrev_nc_u32_e32 v6, s19, v3
	v_cmp_le_u32_e64 s0, s19, v3
	v_cndmask_b32_e64 v0, v0, v5, s0
	s_delay_alu instid0(VALU_DEP_3) | instskip(NEXT) | instid1(VALU_DEP_2)
	v_cndmask_b32_e64 v3, v3, v6, s0
	v_add_nc_u32_e32 v5, 1, v0
	s_delay_alu instid0(VALU_DEP_2) | instskip(NEXT) | instid1(VALU_DEP_1)
	v_cmp_le_u32_e64 s0, s19, v3
	v_cndmask_b32_e64 v3, v0, v5, s0
	s_delay_alu instid0(VALU_DEP_1) | instskip(NEXT) | instid1(VALU_DEP_1)
	v_mul_lo_u32 v0, v3, s19
	v_sub_nc_u32_e32 v0, v30, v0
	s_delay_alu instid0(VALU_DEP_1) | instskip(NEXT) | instid1(VALU_DEP_1)
	v_mul_lo_u32 v0, v0, s3
	v_mad_u64_u32 v[5:6], null, v3, s2, v[0:1]
.LBB16_5:                               ;   in Loop: Header=BB16_3 Depth=1
	s_or_b32 exec_lo, exec_lo, s16
	v_mov_b32_e32 v6, 0
	s_and_saveexec_b32 s0, vcc_lo
	s_cbranch_execz .LBB16_10
; %bb.6:                                ;   in Loop: Header=BB16_3 Depth=1
	v_dual_mov_b32 v0, 0 :: v_dual_mov_b32 v3, v30
	s_and_not1_b32 vcc_lo, exec_lo, s21
	s_cbranch_vccnz .LBB16_9
; %bb.7:                                ;   in Loop: Header=BB16_3 Depth=1
	v_dual_mov_b32 v0, 0 :: v_dual_mov_b32 v3, v30
	s_mov_b64 s[16:17], s[14:15]
	s_mov_b32 s34, s25
	s_set_inst_prefetch_distance 0x1
	.p2align	6
.LBB16_8:                               ;   Parent Loop BB16_3 Depth=1
                                        ; =>  This Inner Loop Header: Depth=2
	s_clause 0x1
	s_load_b32 s35, s[16:17], 0x0
	s_load_b32 s36, s[16:17], 0x64
	s_add_i32 s34, s34, -1
	s_waitcnt lgkmcnt(0)
	v_cvt_f32_u32_e32 v6, s35
	s_sub_i32 s37, 0, s35
	s_add_u32 s16, s16, -4
	s_addc_u32 s17, s17, -1
	s_cmp_gt_u32 s34, 2
	v_rcp_iflag_f32_e32 v6, v6
	s_waitcnt_depctr 0xfff
	v_mul_f32_e32 v6, 0x4f7ffffe, v6
	s_delay_alu instid0(VALU_DEP_1) | instskip(NEXT) | instid1(VALU_DEP_1)
	v_cvt_u32_f32_e32 v6, v6
	v_mul_lo_u32 v7, s37, v6
	s_delay_alu instid0(VALU_DEP_1) | instskip(NEXT) | instid1(VALU_DEP_1)
	v_mul_hi_u32 v7, v6, v7
	v_dual_mov_b32 v8, v3 :: v_dual_add_nc_u32 v3, v6, v7
	s_delay_alu instid0(VALU_DEP_1) | instskip(NEXT) | instid1(VALU_DEP_1)
	v_mul_hi_u32 v3, v8, v3
	v_mul_lo_u32 v6, v3, s35
	v_add_nc_u32_e32 v7, 1, v3
	s_delay_alu instid0(VALU_DEP_2) | instskip(NEXT) | instid1(VALU_DEP_1)
	v_sub_nc_u32_e32 v6, v8, v6
	v_subrev_nc_u32_e32 v9, s35, v6
	v_cmp_le_u32_e32 vcc_lo, s35, v6
	s_delay_alu instid0(VALU_DEP_2) | instskip(NEXT) | instid1(VALU_DEP_1)
	v_dual_cndmask_b32 v3, v3, v7 :: v_dual_cndmask_b32 v6, v6, v9
	v_add_nc_u32_e32 v7, 1, v3
	s_delay_alu instid0(VALU_DEP_2) | instskip(NEXT) | instid1(VALU_DEP_2)
	v_cmp_le_u32_e32 vcc_lo, s35, v6
	v_cndmask_b32_e32 v3, v3, v7, vcc_lo
	s_delay_alu instid0(VALU_DEP_1) | instskip(NEXT) | instid1(VALU_DEP_1)
	v_mul_lo_u32 v6, v3, s35
	v_sub_nc_u32_e32 v8, v8, v6
	s_delay_alu instid0(VALU_DEP_1) | instskip(NEXT) | instid1(VALU_DEP_1)
	v_mad_u64_u32 v[6:7], null, s36, v8, v[0:1]
	v_mov_b32_e32 v0, v6
	s_cbranch_scc1 .LBB16_8
.LBB16_9:                               ;   in Loop: Header=BB16_3 Depth=1
	s_set_inst_prefetch_distance 0x2
	s_delay_alu instid0(VALU_DEP_1)
	v_mad_u64_u32 v[6:7], null, s20, v3, v[0:1]
.LBB16_10:                              ;   in Loop: Header=BB16_3 Depth=1
	s_or_b32 exec_lo, exec_lo, s0
	v_or_b32_e32 v9, 1, v30
	v_cmp_lt_i32_e32 vcc_lo, 1, v33
	v_mov_b32_e32 v3, 0
	v_mov_b32_e32 v7, 0
	s_and_saveexec_b32 s16, vcc_lo
	s_cbranch_execz .LBB16_12
; %bb.11:                               ;   in Loop: Header=BB16_3 Depth=1
	v_mul_hi_u32 v0, v9, v32
	s_delay_alu instid0(VALU_DEP_1) | instskip(SKIP_1) | instid1(VALU_DEP_2)
	v_mul_lo_u32 v7, v0, s19
	v_add_nc_u32_e32 v8, 1, v0
	v_sub_nc_u32_e32 v7, v9, v7
	s_delay_alu instid0(VALU_DEP_1) | instskip(SKIP_1) | instid1(VALU_DEP_1)
	v_subrev_nc_u32_e32 v10, s19, v7
	v_cmp_le_u32_e64 s0, s19, v7
	v_cndmask_b32_e64 v0, v0, v8, s0
	s_delay_alu instid0(VALU_DEP_3) | instskip(NEXT) | instid1(VALU_DEP_2)
	v_cndmask_b32_e64 v7, v7, v10, s0
	v_add_nc_u32_e32 v8, 1, v0
	s_delay_alu instid0(VALU_DEP_2) | instskip(NEXT) | instid1(VALU_DEP_1)
	v_cmp_le_u32_e64 s0, s19, v7
	v_cndmask_b32_e64 v10, v0, v8, s0
	s_delay_alu instid0(VALU_DEP_1) | instskip(NEXT) | instid1(VALU_DEP_1)
	v_mul_lo_u32 v0, v10, s19
	v_sub_nc_u32_e32 v0, v9, v0
	s_delay_alu instid0(VALU_DEP_1) | instskip(NEXT) | instid1(VALU_DEP_1)
	v_mul_lo_u32 v0, v0, s3
	v_mad_u64_u32 v[7:8], null, v10, s2, v[0:1]
.LBB16_12:                              ;   in Loop: Header=BB16_3 Depth=1
	s_or_b32 exec_lo, exec_lo, s16
	s_and_saveexec_b32 s0, vcc_lo
	s_cbranch_execz .LBB16_17
; %bb.13:                               ;   in Loop: Header=BB16_3 Depth=1
	v_mov_b32_e32 v0, 0
	s_and_not1_b32 vcc_lo, exec_lo, s21
	s_cbranch_vccnz .LBB16_16
; %bb.14:                               ;   in Loop: Header=BB16_3 Depth=1
	v_mov_b32_e32 v0, 0
	s_mov_b64 s[16:17], s[14:15]
	s_mov_b32 s34, s25
	s_set_inst_prefetch_distance 0x1
	.p2align	6
.LBB16_15:                              ;   Parent Loop BB16_3 Depth=1
                                        ; =>  This Inner Loop Header: Depth=2
	s_clause 0x1
	s_load_b32 s35, s[16:17], 0x0
	s_load_b32 s36, s[16:17], 0x64
	s_add_i32 s34, s34, -1
	v_mov_b32_e32 v10, v9
	s_waitcnt lgkmcnt(0)
	v_cvt_f32_u32_e32 v3, s35
	s_sub_i32 s37, 0, s35
	s_add_u32 s16, s16, -4
	s_addc_u32 s17, s17, -1
	s_cmp_gt_u32 s34, 2
	v_rcp_iflag_f32_e32 v3, v3
	s_waitcnt_depctr 0xfff
	v_mul_f32_e32 v3, 0x4f7ffffe, v3
	s_delay_alu instid0(VALU_DEP_1) | instskip(NEXT) | instid1(VALU_DEP_1)
	v_cvt_u32_f32_e32 v3, v3
	v_mul_lo_u32 v8, s37, v3
	s_delay_alu instid0(VALU_DEP_1) | instskip(NEXT) | instid1(VALU_DEP_1)
	v_mul_hi_u32 v8, v3, v8
	v_add_nc_u32_e32 v3, v3, v8
	s_delay_alu instid0(VALU_DEP_1) | instskip(NEXT) | instid1(VALU_DEP_1)
	v_mul_hi_u32 v3, v10, v3
	v_mul_lo_u32 v8, v3, s35
	v_add_nc_u32_e32 v9, 1, v3
	s_delay_alu instid0(VALU_DEP_2) | instskip(NEXT) | instid1(VALU_DEP_1)
	v_sub_nc_u32_e32 v8, v10, v8
	v_subrev_nc_u32_e32 v11, s35, v8
	v_cmp_le_u32_e32 vcc_lo, s35, v8
	s_delay_alu instid0(VALU_DEP_2) | instskip(NEXT) | instid1(VALU_DEP_1)
	v_dual_cndmask_b32 v3, v3, v9 :: v_dual_cndmask_b32 v8, v8, v11
	v_add_nc_u32_e32 v9, 1, v3
	s_delay_alu instid0(VALU_DEP_2) | instskip(NEXT) | instid1(VALU_DEP_2)
	v_cmp_le_u32_e32 vcc_lo, s35, v8
	v_cndmask_b32_e32 v9, v3, v9, vcc_lo
	s_delay_alu instid0(VALU_DEP_1) | instskip(NEXT) | instid1(VALU_DEP_1)
	v_mul_lo_u32 v3, v9, s35
	v_sub_nc_u32_e32 v3, v10, v3
	s_delay_alu instid0(VALU_DEP_1) | instskip(NEXT) | instid1(VALU_DEP_1)
	v_mad_u64_u32 v[10:11], null, s36, v3, v[0:1]
	v_mov_b32_e32 v0, v10
	s_cbranch_scc1 .LBB16_15
.LBB16_16:                              ;   in Loop: Header=BB16_3 Depth=1
	s_set_inst_prefetch_distance 0x2
	s_delay_alu instid0(VALU_DEP_1) | instskip(NEXT) | instid1(VALU_DEP_1)
	v_mad_u64_u32 v[10:11], null, s20, v9, v[0:1]
	v_mov_b32_e32 v3, v10
.LBB16_17:                              ;   in Loop: Header=BB16_3 Depth=1
	s_or_b32 exec_lo, exec_lo, s0
	v_or_b32_e32 v11, 2, v30
	v_cmp_lt_i32_e32 vcc_lo, 2, v33
	v_mov_b32_e32 v8, 0
	s_and_saveexec_b32 s16, vcc_lo
	s_cbranch_execz .LBB16_19
; %bb.18:                               ;   in Loop: Header=BB16_3 Depth=1
	v_mul_hi_u32 v0, v11, v32
	s_delay_alu instid0(VALU_DEP_1) | instskip(SKIP_1) | instid1(VALU_DEP_2)
	v_mul_lo_u32 v8, v0, s19
	v_add_nc_u32_e32 v9, 1, v0
	v_sub_nc_u32_e32 v8, v11, v8
	s_delay_alu instid0(VALU_DEP_1) | instskip(SKIP_1) | instid1(VALU_DEP_1)
	v_subrev_nc_u32_e32 v10, s19, v8
	v_cmp_le_u32_e64 s0, s19, v8
	v_cndmask_b32_e64 v0, v0, v9, s0
	s_delay_alu instid0(VALU_DEP_3) | instskip(NEXT) | instid1(VALU_DEP_2)
	v_cndmask_b32_e64 v8, v8, v10, s0
	v_add_nc_u32_e32 v9, 1, v0
	s_delay_alu instid0(VALU_DEP_2) | instskip(NEXT) | instid1(VALU_DEP_1)
	v_cmp_le_u32_e64 s0, s19, v8
	v_cndmask_b32_e64 v10, v0, v9, s0
	s_delay_alu instid0(VALU_DEP_1) | instskip(NEXT) | instid1(VALU_DEP_1)
	v_mul_lo_u32 v0, v10, s19
	v_sub_nc_u32_e32 v0, v11, v0
	s_delay_alu instid0(VALU_DEP_1) | instskip(NEXT) | instid1(VALU_DEP_1)
	v_mul_lo_u32 v0, v0, s3
	v_mad_u64_u32 v[8:9], null, v10, s2, v[0:1]
.LBB16_19:                              ;   in Loop: Header=BB16_3 Depth=1
	s_or_b32 exec_lo, exec_lo, s16
	v_mov_b32_e32 v9, 0
	v_mov_b32_e32 v10, 0
	s_and_saveexec_b32 s0, vcc_lo
	s_cbranch_execz .LBB16_24
; %bb.20:                               ;   in Loop: Header=BB16_3 Depth=1
	v_mov_b32_e32 v0, 0
	s_and_not1_b32 vcc_lo, exec_lo, s21
	s_cbranch_vccnz .LBB16_23
; %bb.21:                               ;   in Loop: Header=BB16_3 Depth=1
	v_mov_b32_e32 v0, 0
	s_mov_b64 s[16:17], s[14:15]
	s_mov_b32 s34, s25
	s_set_inst_prefetch_distance 0x1
	.p2align	6
.LBB16_22:                              ;   Parent Loop BB16_3 Depth=1
                                        ; =>  This Inner Loop Header: Depth=2
	s_clause 0x1
	s_load_b32 s35, s[16:17], 0x0
	s_load_b32 s36, s[16:17], 0x64
	s_add_i32 s34, s34, -1
	v_mov_b32_e32 v12, v11
	s_waitcnt lgkmcnt(0)
	v_cvt_f32_u32_e32 v9, s35
	s_sub_i32 s37, 0, s35
	s_add_u32 s16, s16, -4
	s_addc_u32 s17, s17, -1
	s_cmp_gt_u32 s34, 2
	v_rcp_iflag_f32_e32 v9, v9
	s_waitcnt_depctr 0xfff
	v_mul_f32_e32 v9, 0x4f7ffffe, v9
	s_delay_alu instid0(VALU_DEP_1) | instskip(NEXT) | instid1(VALU_DEP_1)
	v_cvt_u32_f32_e32 v9, v9
	v_mul_lo_u32 v10, s37, v9
	s_delay_alu instid0(VALU_DEP_1) | instskip(NEXT) | instid1(VALU_DEP_1)
	v_mul_hi_u32 v10, v9, v10
	v_add_nc_u32_e32 v9, v9, v10
	s_delay_alu instid0(VALU_DEP_1) | instskip(NEXT) | instid1(VALU_DEP_1)
	v_mul_hi_u32 v9, v12, v9
	v_mul_lo_u32 v10, v9, s35
	v_add_nc_u32_e32 v11, 1, v9
	s_delay_alu instid0(VALU_DEP_2) | instskip(NEXT) | instid1(VALU_DEP_1)
	v_sub_nc_u32_e32 v10, v12, v10
	v_subrev_nc_u32_e32 v13, s35, v10
	v_cmp_le_u32_e32 vcc_lo, s35, v10
	s_delay_alu instid0(VALU_DEP_2) | instskip(NEXT) | instid1(VALU_DEP_1)
	v_dual_cndmask_b32 v9, v9, v11 :: v_dual_cndmask_b32 v10, v10, v13
	v_add_nc_u32_e32 v11, 1, v9
	s_delay_alu instid0(VALU_DEP_2) | instskip(NEXT) | instid1(VALU_DEP_2)
	v_cmp_le_u32_e32 vcc_lo, s35, v10
	v_cndmask_b32_e32 v11, v9, v11, vcc_lo
	s_delay_alu instid0(VALU_DEP_1) | instskip(NEXT) | instid1(VALU_DEP_1)
	v_mul_lo_u32 v9, v11, s35
	v_sub_nc_u32_e32 v12, v12, v9
	s_delay_alu instid0(VALU_DEP_1) | instskip(NEXT) | instid1(VALU_DEP_1)
	v_mad_u64_u32 v[9:10], null, s36, v12, v[0:1]
	v_mov_b32_e32 v0, v9
	s_cbranch_scc1 .LBB16_22
.LBB16_23:                              ;   in Loop: Header=BB16_3 Depth=1
	s_set_inst_prefetch_distance 0x2
	s_delay_alu instid0(VALU_DEP_1)
	v_mad_u64_u32 v[9:10], null, s20, v11, v[0:1]
	v_mov_b32_e32 v10, v4
.LBB16_24:                              ;   in Loop: Header=BB16_3 Depth=1
	s_or_b32 exec_lo, exec_lo, s0
	v_mov_b32_e32 v13, 0
	v_mov_b32_e32 v14, 0
	v_or_b32_e32 v15, 3, v30
	v_cmp_lt_i32_e32 vcc_lo, 3, v33
	s_delay_alu instid0(VALU_DEP_3)
	v_dual_mov_b32 v11, v13 :: v_dual_mov_b32 v12, v14
	s_and_saveexec_b32 s16, vcc_lo
	s_cbranch_execz .LBB16_26
; %bb.25:                               ;   in Loop: Header=BB16_3 Depth=1
	v_mul_hi_u32 v0, v15, v32
	s_delay_alu instid0(VALU_DEP_1) | instskip(SKIP_1) | instid1(VALU_DEP_2)
	v_mul_lo_u32 v11, v0, s19
	v_add_nc_u32_e32 v12, 1, v0
	v_sub_nc_u32_e32 v11, v15, v11
	s_delay_alu instid0(VALU_DEP_1) | instskip(SKIP_1) | instid1(VALU_DEP_1)
	v_subrev_nc_u32_e32 v16, s19, v11
	v_cmp_le_u32_e64 s0, s19, v11
	v_cndmask_b32_e64 v0, v0, v12, s0
	s_delay_alu instid0(VALU_DEP_3) | instskip(NEXT) | instid1(VALU_DEP_2)
	v_cndmask_b32_e64 v11, v11, v16, s0
	v_add_nc_u32_e32 v12, 1, v0
	s_delay_alu instid0(VALU_DEP_2) | instskip(NEXT) | instid1(VALU_DEP_1)
	v_cmp_le_u32_e64 s0, s19, v11
	v_cndmask_b32_e64 v16, v0, v12, s0
	s_delay_alu instid0(VALU_DEP_1) | instskip(NEXT) | instid1(VALU_DEP_1)
	v_mul_lo_u32 v0, v16, s19
	v_sub_nc_u32_e32 v0, v15, v0
	s_delay_alu instid0(VALU_DEP_1) | instskip(NEXT) | instid1(VALU_DEP_1)
	v_mul_lo_u32 v0, v0, s3
	v_mad_u64_u32 v[11:12], null, v16, s2, v[0:1]
	v_mov_b32_e32 v12, v4
.LBB16_26:                              ;   in Loop: Header=BB16_3 Depth=1
	s_or_b32 exec_lo, exec_lo, s16
	s_and_saveexec_b32 s0, vcc_lo
	s_cbranch_execz .LBB16_31
; %bb.27:                               ;   in Loop: Header=BB16_3 Depth=1
	v_mov_b32_e32 v0, 0
	s_and_not1_b32 vcc_lo, exec_lo, s21
	s_cbranch_vccnz .LBB16_30
; %bb.28:                               ;   in Loop: Header=BB16_3 Depth=1
	v_mov_b32_e32 v0, 0
	s_mov_b64 s[16:17], s[14:15]
	s_mov_b32 s34, s25
	s_set_inst_prefetch_distance 0x1
	.p2align	6
.LBB16_29:                              ;   Parent Loop BB16_3 Depth=1
                                        ; =>  This Inner Loop Header: Depth=2
	s_clause 0x1
	s_load_b32 s35, s[16:17], 0x0
	s_load_b32 s36, s[16:17], 0x64
	s_add_i32 s34, s34, -1
	v_mov_b32_e32 v16, v15
	s_waitcnt lgkmcnt(0)
	v_cvt_f32_u32_e32 v13, s35
	s_sub_i32 s37, 0, s35
	s_add_u32 s16, s16, -4
	s_addc_u32 s17, s17, -1
	s_cmp_gt_u32 s34, 2
	v_rcp_iflag_f32_e32 v13, v13
	s_waitcnt_depctr 0xfff
	v_mul_f32_e32 v13, 0x4f7ffffe, v13
	s_delay_alu instid0(VALU_DEP_1) | instskip(NEXT) | instid1(VALU_DEP_1)
	v_cvt_u32_f32_e32 v13, v13
	v_mul_lo_u32 v14, s37, v13
	s_delay_alu instid0(VALU_DEP_1) | instskip(NEXT) | instid1(VALU_DEP_1)
	v_mul_hi_u32 v14, v13, v14
	v_add_nc_u32_e32 v13, v13, v14
	s_delay_alu instid0(VALU_DEP_1) | instskip(NEXT) | instid1(VALU_DEP_1)
	v_mul_hi_u32 v13, v16, v13
	v_mul_lo_u32 v14, v13, s35
	v_add_nc_u32_e32 v15, 1, v13
	s_delay_alu instid0(VALU_DEP_2) | instskip(NEXT) | instid1(VALU_DEP_1)
	v_sub_nc_u32_e32 v14, v16, v14
	v_subrev_nc_u32_e32 v17, s35, v14
	v_cmp_le_u32_e32 vcc_lo, s35, v14
	s_delay_alu instid0(VALU_DEP_2) | instskip(NEXT) | instid1(VALU_DEP_1)
	v_dual_cndmask_b32 v13, v13, v15 :: v_dual_cndmask_b32 v14, v14, v17
	v_add_nc_u32_e32 v15, 1, v13
	s_delay_alu instid0(VALU_DEP_2) | instskip(NEXT) | instid1(VALU_DEP_2)
	v_cmp_le_u32_e32 vcc_lo, s35, v14
	v_cndmask_b32_e32 v15, v13, v15, vcc_lo
	s_delay_alu instid0(VALU_DEP_1) | instskip(NEXT) | instid1(VALU_DEP_1)
	v_mul_lo_u32 v13, v15, s35
	v_sub_nc_u32_e32 v16, v16, v13
	s_delay_alu instid0(VALU_DEP_1) | instskip(NEXT) | instid1(VALU_DEP_1)
	v_mad_u64_u32 v[13:14], null, s36, v16, v[0:1]
	v_mov_b32_e32 v0, v13
	s_cbranch_scc1 .LBB16_29
.LBB16_30:                              ;   in Loop: Header=BB16_3 Depth=1
	s_set_inst_prefetch_distance 0x2
	s_delay_alu instid0(VALU_DEP_1)
	v_mad_u64_u32 v[13:14], null, s20, v15, v[0:1]
	v_mov_b32_e32 v14, v4
.LBB16_31:                              ;   in Loop: Header=BB16_3 Depth=1
	s_or_b32 exec_lo, exec_lo, s0
	s_delay_alu instid0(VALU_DEP_1) | instskip(SKIP_3) | instid1(VALU_DEP_3)
	v_lshlrev_b64 v[13:14], 2, v[13:14]
	s_waitcnt lgkmcnt(0)
	v_dual_mov_b32 v18, s7 :: v_dual_mov_b32 v17, s6
	v_dual_mov_b32 v20, s5 :: v_dual_mov_b32 v19, s4
	v_add_co_u32 v13, vcc_lo, s8, v13
	s_delay_alu instid0(VALU_DEP_4)
	v_add_co_ci_u32_e32 v14, vcc_lo, s9, v14, vcc_lo
	s_and_not1_b32 vcc_lo, exec_lo, s22
	global_load_b32 v0, v[13:14], off
	s_cbranch_vccnz .LBB16_33
; %bb.32:                               ;   in Loop: Header=BB16_3 Depth=1
	v_dual_mov_b32 v14, s7 :: v_dual_mov_b32 v13, s6
	v_dual_mov_b32 v16, s5 :: v_dual_mov_b32 v15, s4
	flat_load_b64 v[13:14], v[13:14]
	flat_load_b64 v[19:20], v[15:16]
	s_waitcnt vmcnt(1) lgkmcnt(1)
	v_add_co_u32 v17, vcc_lo, v13, s12
	v_add_co_ci_u32_e32 v18, vcc_lo, s13, v14, vcc_lo
.LBB16_33:                              ;   in Loop: Header=BB16_3 Depth=1
	s_delay_alu instid0(VALU_DEP_1)
	v_alignbit_b32 v16, v18, v17, 2
	v_lshrrev_b32_e32 v15, 2, v18
	s_waitcnt vmcnt(0) lgkmcnt(0)
	v_add_nc_u32_e32 v35, 0xbb67ae85, v20
	v_add_nc_u32_e32 v36, 0x76cf5d0a, v20
	;; [unrolled: 1-line block ×3, first 2 shown]
	v_add_co_u32 v18, vcc_lo, v16, 1
	s_delay_alu instid0(VALU_DEP_1) | instskip(SKIP_4) | instid1(VALU_DEP_4)
	v_cndmask_b32_e64 v13, 0, 1, vcc_lo
	v_add_co_ci_u32_e32 v27, vcc_lo, 0, v15, vcc_lo
	v_xor3_b32 v23, v31, v19, v15
	v_add_nc_u32_e32 v38, 0x32370b8f, v20
	v_add_nc_u32_e32 v39, 0xed9eba14, v20
	v_cmp_eq_u32_e32 vcc_lo, 0, v27
	v_add_nc_u32_e32 v40, 0x1715609d, v19
	v_add_nc_u32_e32 v41, 0xa9066899, v20
	s_mov_b32 s0, exec_lo
	v_dual_cndmask_b32 v21, 0, v13 :: v_dual_add_nc_u32 v34, 0x9e3779b9, v19
	v_mad_u64_u32 v[13:14], null, 0xd2511f53, v18, 0
	s_delay_alu instid0(VALU_DEP_2) | instskip(NEXT) | instid1(VALU_DEP_2)
	v_add_nc_u32_e32 v18, v21, v1
	v_xor_b32_e32 v22, v14, v20
	s_delay_alu instid0(VALU_DEP_2) | instskip(SKIP_2) | instid1(VALU_DEP_1)
	v_cmp_eq_u32_e32 vcc_lo, 0, v18
	v_mad_u64_u32 v[14:15], null, 0xd2511f53, v16, 0
	v_cndmask_b32_e32 v21, 0, v21, vcc_lo
	v_xor_b32_e32 v16, v21, v22
	v_mad_u64_u32 v[21:22], null, 0xd2511f53, v23, 0
	v_mad_u64_u32 v[23:24], null, 0xcd9e8d57, v18, 0
	v_add_nc_u32_e32 v18, 0x3c6ef372, v19
	s_delay_alu instid0(VALU_DEP_4) | instskip(SKIP_2) | instid1(VALU_DEP_2)
	v_mad_u64_u32 v[25:26], null, 0xcd9e8d57, v16, 0
	v_xor_b32_e32 v16, v15, v20
	v_xor3_b32 v28, v35, v22, v14
	v_mad_u64_u32 v[14:15], null, 0xcd9e8d57, v16, 0
	v_xor3_b32 v16, v24, v19, v27
	v_xor3_b32 v24, v34, v26, v23
	s_delay_alu instid0(VALU_DEP_4) | instskip(NEXT) | instid1(VALU_DEP_3)
	v_mad_u64_u32 v[22:23], null, 0xcd9e8d57, v28, 0
	v_mad_u64_u32 v[26:27], null, 0xd2511f53, v16, 0
	s_delay_alu instid0(VALU_DEP_3) | instskip(SKIP_1) | instid1(VALU_DEP_4)
	v_mad_u64_u32 v[28:29], null, 0xd2511f53, v24, 0
	v_xor3_b32 v16, v2, v15, v34
	v_xor3_b32 v34, v18, v23, v14
	s_delay_alu instid0(VALU_DEP_4) | instskip(NEXT) | instid1(VALU_DEP_3)
	v_xor3_b32 v13, v35, v27, v13
	v_mad_u64_u32 v[14:15], null, 0xd2511f53, v16, 0
	v_xor3_b32 v16, v36, v29, v26
	s_delay_alu instid0(VALU_DEP_4) | instskip(NEXT) | instid1(VALU_DEP_4)
	v_mad_u64_u32 v[23:24], null, 0xd2511f53, v34, 0
	v_mad_u64_u32 v[26:27], null, 0xcd9e8d57, v13, 0
	s_delay_alu instid0(VALU_DEP_3) | instskip(SKIP_4) | instid1(VALU_DEP_4)
	v_mad_u64_u32 v[34:35], null, 0xcd9e8d57, v16, 0
	v_xor3_b32 v15, v36, v15, v21
	v_add_nc_u32_e32 v29, 0x78dde6e4, v19
	v_xor3_b32 v21, v38, v24, v14
	v_xor3_b32 v18, v18, v27, v25
	v_mad_u64_u32 v[13:14], null, 0xcd9e8d57, v15, 0
	v_xor3_b32 v35, v37, v35, v26
	s_delay_alu instid0(VALU_DEP_4) | instskip(NEXT) | instid1(VALU_DEP_4)
	v_mad_u64_u32 v[15:16], null, 0xcd9e8d57, v21, 0
	v_mad_u64_u32 v[24:25], null, 0xd2511f53, v18, 0
	s_delay_alu instid0(VALU_DEP_3) | instskip(SKIP_1) | instid1(VALU_DEP_4)
	v_mad_u64_u32 v[26:27], null, 0xd2511f53, v35, 0
	v_xor3_b32 v18, v37, v14, v22
	v_xor3_b32 v16, v29, v16, v13
	s_delay_alu instid0(VALU_DEP_2) | instskip(SKIP_2) | instid1(VALU_DEP_4)
	v_mad_u64_u32 v[13:14], null, 0xd2511f53, v18, 0
	v_xor3_b32 v18, v38, v25, v28
	v_xor3_b32 v24, v39, v27, v24
	v_mad_u64_u32 v[27:28], null, 0xd2511f53, v16, 0
	s_delay_alu instid0(VALU_DEP_3) | instskip(NEXT) | instid1(VALU_DEP_3)
	v_mad_u64_u32 v[21:22], null, 0xcd9e8d57, v18, 0
	v_mad_u64_u32 v[35:36], null, 0xcd9e8d57, v24, 0
	v_xor3_b32 v16, v39, v14, v23
	s_delay_alu instid0(VALU_DEP_4) | instskip(SKIP_2) | instid1(VALU_DEP_4)
	v_xor3_b32 v24, v41, v28, v13
	v_add_nc_u32_e32 v18, 0xb54cda56, v19
	v_add_nc_u32_e32 v23, 0x646e171e, v20
	v_mad_u64_u32 v[13:14], null, 0xcd9e8d57, v16, 0
	v_xor3_b32 v16, v29, v22, v34
	v_xor3_b32 v25, v40, v36, v21
	v_mad_u64_u32 v[36:37], null, 0xcd9e8d57, v24, 0
	v_add_nc_u32_e32 v29, 0x5384540f, v19
	s_delay_alu instid0(VALU_DEP_4) | instskip(NEXT) | instid1(VALU_DEP_4)
	v_mad_u64_u32 v[21:22], null, 0xd2511f53, v16, 0
	v_mad_u64_u32 v[38:39], null, 0xd2511f53, v25, 0
	v_xor3_b32 v15, v40, v14, v15
	v_xor3_b32 v16, v18, v37, v13
	v_add_nc_u32_e32 v40, 0x1fd5c5a3, v20
	v_add_co_u32 v34, null, 0xf1bbcdc8, v19
	v_xor3_b32 v24, v41, v22, v26
	v_xor3_b32 v26, v23, v39, v21
	v_mad_u64_u32 v[13:14], null, 0xd2511f53, v15, 0
	v_mad_u64_u32 v[21:22], null, 0xd2511f53, v16, 0
	s_delay_alu instid0(VALU_DEP_4) | instskip(NEXT) | instid1(VALU_DEP_4)
	v_mad_u64_u32 v[15:16], null, 0xcd9e8d57, v24, 0
	v_mad_u64_u32 v[24:25], null, 0xcd9e8d57, v26, 0
	s_delay_alu instid0(VALU_DEP_4) | instskip(NEXT) | instid1(VALU_DEP_4)
	v_xor3_b32 v23, v23, v14, v27
	v_xor3_b32 v26, v40, v22, v13
	s_delay_alu instid0(VALU_DEP_4) | instskip(NEXT) | instid1(VALU_DEP_3)
	v_xor3_b32 v18, v18, v16, v35
	v_mad_u64_u32 v[13:14], null, 0xcd9e8d57, v23, 0
	v_xor3_b32 v25, v29, v25, v15
	s_delay_alu instid0(VALU_DEP_4) | instskip(NEXT) | instid1(VALU_DEP_4)
	v_mad_u64_u32 v[22:23], null, 0xcd9e8d57, v26, 0
	v_mad_u64_u32 v[15:16], null, 0xd2511f53, v18, 0
	s_delay_alu instid0(VALU_DEP_3)
	v_mad_u64_u32 v[27:28], null, 0xd2511f53, v25, 0
	v_add_nc_u32_e32 v35, 0xdb3d7428, v20
	v_xor3_b32 v14, v29, v14, v36
	v_xor3_b32 v18, v34, v23, v13
	v_add_nc_u32_e32 v36, 0x96a522ad, v20
	v_xor3_b32 v16, v40, v16, v38
	v_and_b32_e32 v20, 3, v17
	v_xor3_b32 v23, v35, v28, v15
	v_mad_u64_u32 v[25:26], null, 0xd2511f53, v14, 0
	v_mad_u64_u32 v[13:14], null, 0xd2511f53, v18, 0
	;; [unrolled: 1-line block ×3, first 2 shown]
	s_delay_alu instid0(VALU_DEP_4) | instskip(SKIP_1) | instid1(VALU_DEP_4)
	v_mad_u64_u32 v[15:16], null, 0xcd9e8d57, v23, 0
	v_add_nc_u32_e32 v23, 0x8ff34781, v19
                                        ; implicit-def: $vgpr18
	v_xor3_b32 v19, v14, v25, v36
	s_delay_alu instid0(VALU_DEP_2)
	v_xor3_b32 v14, v16, v28, v23
	v_cmpx_lt_i32_e32 1, v20
	s_xor_b32 s0, exec_lo, s0
	s_cbranch_execz .LBB16_39
; %bb.34:                               ;   in Loop: Header=BB16_3 Depth=1
	s_mov_b32 s16, exec_lo
                                        ; implicit-def: $vgpr18
	v_cmpx_lt_i32_e32 2, v20
	s_xor_b32 s16, exec_lo, s16
; %bb.35:                               ;   in Loop: Header=BB16_3 Depth=1
	v_xor3_b32 v16, v34, v29, v24
                                        ; implicit-def: $vgpr19
	s_delay_alu instid0(VALU_DEP_1) | instskip(NEXT) | instid1(VALU_DEP_1)
	v_mul_hi_u32 v16, 0xd2511f53, v16
	v_xor3_b32 v18, v16, v27, v36
; %bb.36:                               ;   in Loop: Header=BB16_3 Depth=1
	s_and_not1_saveexec_b32 s16, s16
; %bb.37:                               ;   in Loop: Header=BB16_3 Depth=1
	v_dual_mov_b32 v18, v15 :: v_dual_mov_b32 v15, v14
	v_dual_mov_b32 v14, v13 :: v_dual_mov_b32 v13, v19
; %bb.38:                               ;   in Loop: Header=BB16_3 Depth=1
	s_or_b32 exec_lo, exec_lo, s16
                                        ; implicit-def: $vgpr21_vgpr22
                                        ; implicit-def: $vgpr20
                                        ; implicit-def: $vgpr19
                                        ; implicit-def: $vgpr35
                                        ; implicit-def: $vgpr25_vgpr26
                                        ; implicit-def: $vgpr22_vgpr23
                                        ; implicit-def: $vgpr23
.LBB16_39:                              ;   in Loop: Header=BB16_3 Depth=1
	s_and_not1_saveexec_b32 s0, s0
	s_cbranch_execz .LBB16_43
; %bb.40:                               ;   in Loop: Header=BB16_3 Depth=1
	v_xor3_b32 v15, v35, v26, v21
	v_cmp_eq_u32_e32 vcc_lo, 1, v20
	v_mov_b32_e32 v18, v13
	s_delay_alu instid0(VALU_DEP_3) | instskip(SKIP_1) | instid1(VALU_DEP_2)
	v_mad_u64_u32 v[16:17], null, 0xcd9e8d57, v15, 0
	v_mov_b32_e32 v15, v19
	v_xor3_b32 v20, v17, v22, v23
	s_delay_alu instid0(VALU_DEP_3)
	v_mov_b32_e32 v17, v16
	s_and_saveexec_b32 s16, vcc_lo
; %bb.41:                               ;   in Loop: Header=BB16_3 Depth=1
	v_dual_mov_b32 v18, v14 :: v_dual_mov_b32 v15, v13
	v_dual_mov_b32 v17, v19 :: v_dual_mov_b32 v20, v16
; %bb.42:                               ;   in Loop: Header=BB16_3 Depth=1
	s_or_b32 exec_lo, exec_lo, s16
	s_delay_alu instid0(VALU_DEP_1)
	v_dual_mov_b32 v13, v20 :: v_dual_mov_b32 v14, v17
.LBB16_43:                              ;   in Loop: Header=BB16_3 Depth=1
	s_or_b32 exec_lo, exec_lo, s0
	v_min_i32_e32 v16, 4, v33
	s_mov_b32 s16, 0
	s_mov_b32 s38, 0
	;; [unrolled: 1-line block ×3, first 2 shown]
                                        ; implicit-def: $sgpr34
                                        ; implicit-def: $sgpr35
                                        ; implicit-def: $sgpr36
	s_mov_b32 s0, exec_lo
	v_cmpx_lt_i32_e32 2, v16
	s_xor_b32 s37, exec_lo, s0
	s_cbranch_execz .LBB16_55
; %bb.44:                               ;   in Loop: Header=BB16_3 Depth=1
	s_mov_b32 s0, -1
	s_mov_b32 s39, 0
	s_mov_b32 s35, exec_lo
                                        ; implicit-def: $sgpr17
                                        ; implicit-def: $sgpr34
	v_cmpx_lt_i32_e32 3, v16
	s_cbranch_execz .LBB16_50
; %bb.45:                               ;   in Loop: Header=BB16_3 Depth=1
	s_mov_b32 s0, 0
	s_mov_b32 s39, -1
	s_mov_b32 s36, exec_lo
                                        ; implicit-def: $sgpr17
                                        ; implicit-def: $sgpr34
	v_cmpx_eq_u32_e32 4, v16
	s_cbranch_execz .LBB16_49
; %bb.46:                               ;   in Loop: Header=BB16_3 Depth=1
	v_cmp_le_f32_e32 vcc_lo, 0, v0
	v_cmp_ge_f32_e64 s0, 1.0, v0
	s_mov_b32 s17, 0
	s_delay_alu instid0(VALU_DEP_1)
	s_and_b32 s39, vcc_lo, s0
	s_mov_b32 s0, 0
	s_and_saveexec_b32 s34, s39
	s_cbranch_execz .LBB16_48
; %bb.47:                               ;   in Loop: Header=BB16_3 Depth=1
	v_cvt_f32_u32_e32 v17, v18
	v_add_co_u32 v11, vcc_lo, s10, v11
	v_add_co_ci_u32_e32 v12, vcc_lo, s11, v12, vcc_lo
	s_delay_alu instid0(VALU_DEP_3) | instskip(SKIP_1) | instid1(VALU_DEP_1)
	v_fmaak_f32 v17, 0x2f800000, v17, 0x2f800000
	s_mov_b32 s0, exec_lo
	v_cmp_le_f32_e32 vcc_lo, v17, v0
	v_cndmask_b32_e64 v0, 0, 1, vcc_lo
	global_store_b8 v[11:12], v0, off
.LBB16_48:                              ;   in Loop: Header=BB16_3 Depth=1
	s_or_b32 exec_lo, exec_lo, s34
	s_mov_b32 s34, -1
	s_xor_b32 s39, exec_lo, -1
	s_and_b32 s0, s0, exec_lo
.LBB16_49:                              ;   in Loop: Header=BB16_3 Depth=1
	s_or_b32 exec_lo, exec_lo, s36
	s_delay_alu instid0(SALU_CYCLE_1)
	s_and_b32 s39, s39, exec_lo
	s_or_not1_b32 s0, s0, exec_lo
.LBB16_50:                              ;   in Loop: Header=BB16_3 Depth=1
	s_or_b32 exec_lo, exec_lo, s35
	s_mov_b32 s36, s17
	s_and_saveexec_b32 s35, s0
	s_cbranch_execz .LBB16_54
; %bb.51:                               ;   in Loop: Header=BB16_3 Depth=1
	v_lshlrev_b64 v[9:10], 2, v[9:10]
	s_delay_alu instid0(VALU_DEP_1) | instskip(NEXT) | instid1(VALU_DEP_2)
	v_add_co_u32 v9, vcc_lo, s8, v9
	v_add_co_ci_u32_e32 v10, vcc_lo, s9, v10, vcc_lo
	global_load_b32 v0, v[9:10], off
	s_waitcnt vmcnt(0)
	v_cmp_le_f32_e32 vcc_lo, 0, v0
	v_cmp_ge_f32_e64 s0, 1.0, v0
	s_delay_alu instid0(VALU_DEP_1) | instskip(SKIP_2) | instid1(SALU_CYCLE_1)
	s_and_b32 s36, vcc_lo, s0
	s_mov_b32 s0, 0
	s_and_saveexec_b32 s38, s36
	s_xor_b32 s36, exec_lo, s38
	s_cbranch_execz .LBB16_53
; %bb.52:                               ;   in Loop: Header=BB16_3 Depth=1
	v_cvt_f32_u32_e32 v9, v15
	s_mov_b32 s0, exec_lo
	s_delay_alu instid0(VALU_DEP_1) | instskip(NEXT) | instid1(VALU_DEP_1)
	v_fmaak_f32 v9, 0x2f800000, v9, 0x2f800000
	v_cmp_le_f32_e32 vcc_lo, v9, v0
	v_cndmask_b32_e64 v0, 0, 1, vcc_lo
	global_store_b8 v8, v0, s[10:11]
.LBB16_53:                              ;   in Loop: Header=BB16_3 Depth=1
	s_or_b32 exec_lo, exec_lo, s36
	s_delay_alu instid0(SALU_CYCLE_1)
	s_and_not1_b32 s36, s17, exec_lo
	s_or_b32 s17, s17, exec_lo
	s_and_not1_b32 s34, s34, exec_lo
	s_and_b32 s38, s0, exec_lo
.LBB16_54:                              ;   in Loop: Header=BB16_3 Depth=1
	s_or_b32 exec_lo, exec_lo, s35
	s_delay_alu instid0(SALU_CYCLE_1)
	s_and_b32 s36, s36, exec_lo
	s_and_b32 s35, s17, exec_lo
	;; [unrolled: 1-line block ×5, first 2 shown]
.LBB16_55:                              ;   in Loop: Header=BB16_3 Depth=1
	s_and_not1_saveexec_b32 s0, s37
; %bb.56:                               ;   in Loop: Header=BB16_3 Depth=1
	v_cmp_lt_i32_e32 vcc_lo, 1, v16
	s_and_not1_b32 s37, s38, exec_lo
	s_mov_b32 s16, exec_lo
	s_and_not1_b32 s36, s36, exec_lo
	s_and_not1_b32 s35, s35, exec_lo
	s_and_b32 s38, vcc_lo, exec_lo
	s_and_not1_b32 s34, s34, exec_lo
	s_or_b32 s38, s37, s38
; %bb.57:                               ;   in Loop: Header=BB16_3 Depth=1
	s_or_b32 exec_lo, exec_lo, s0
	s_mov_b32 s0, 0
	s_mov_b32 s37, s36
	s_and_saveexec_b32 s39, s38
	s_cbranch_execnz .LBB16_60
; %bb.58:                               ;   in Loop: Header=BB16_3 Depth=1
	s_or_b32 exec_lo, exec_lo, s39
	s_and_saveexec_b32 s38, s16
	s_cbranch_execnz .LBB16_63
.LBB16_59:                              ;   in Loop: Header=BB16_3 Depth=1
	s_or_b32 exec_lo, exec_lo, s38
	s_and_saveexec_b32 s16, s0
	s_cbranch_execnz .LBB16_64
	s_branch .LBB16_67
.LBB16_60:                              ;   in Loop: Header=BB16_3 Depth=1
	v_lshlrev_b64 v[8:9], 2, v[3:4]
	s_mov_b32 s38, 0
	s_delay_alu instid0(VALU_DEP_1) | instskip(NEXT) | instid1(VALU_DEP_2)
	v_add_co_u32 v8, vcc_lo, s8, v8
	v_add_co_ci_u32_e32 v9, vcc_lo, s9, v9, vcc_lo
	global_load_b32 v0, v[8:9], off
	s_waitcnt vmcnt(0)
	v_cmp_le_f32_e32 vcc_lo, 0, v0
	v_cmp_ge_f32_e64 s0, 1.0, v0
	s_delay_alu instid0(VALU_DEP_1) | instskip(NEXT) | instid1(SALU_CYCLE_1)
	s_and_b32 s0, vcc_lo, s0
	s_and_saveexec_b32 s37, s0
	s_delay_alu instid0(SALU_CYCLE_1)
	s_xor_b32 s0, exec_lo, s37
	s_cbranch_execz .LBB16_62
; %bb.61:                               ;   in Loop: Header=BB16_3 Depth=1
	v_cvt_f32_u32_e32 v3, v14
	s_mov_b32 s38, exec_lo
	s_delay_alu instid0(VALU_DEP_1) | instskip(NEXT) | instid1(VALU_DEP_1)
	v_fmaak_f32 v3, 0x2f800000, v3, 0x2f800000
	v_cmp_le_f32_e32 vcc_lo, v3, v0
	v_cndmask_b32_e64 v0, 0, 1, vcc_lo
	global_store_b8 v7, v0, s[10:11]
.LBB16_62:                              ;   in Loop: Header=BB16_3 Depth=1
	s_or_b32 exec_lo, exec_lo, s0
	s_delay_alu instid0(SALU_CYCLE_1)
	s_and_not1_b32 s37, s36, exec_lo
	s_or_b32 s36, s36, exec_lo
	s_and_not1_b32 s35, s35, exec_lo
	s_and_not1_b32 s34, s34, exec_lo
	s_and_b32 s0, s38, exec_lo
	s_and_not1_b32 s16, s16, exec_lo
	s_or_b32 exec_lo, exec_lo, s39
	s_and_saveexec_b32 s38, s16
	s_cbranch_execz .LBB16_59
.LBB16_63:                              ;   in Loop: Header=BB16_3 Depth=1
	v_cmp_eq_u32_e32 vcc_lo, 1, v16
	s_and_not1_b32 s0, s0, exec_lo
	s_and_not1_b32 s37, s37, exec_lo
	;; [unrolled: 1-line block ×4, first 2 shown]
	s_and_b32 s16, vcc_lo, exec_lo
	s_and_not1_b32 s34, s34, exec_lo
	s_or_b32 s17, s17, exec_lo
	s_or_b32 s0, s0, s16
	s_or_b32 exec_lo, exec_lo, s38
	s_and_saveexec_b32 s16, s0
	s_cbranch_execz .LBB16_67
.LBB16_64:                              ;   in Loop: Header=BB16_3 Depth=1
	v_mov_b32_e32 v7, v4
	s_mov_b32 s38, 0
	s_delay_alu instid0(VALU_DEP_1) | instskip(NEXT) | instid1(VALU_DEP_1)
	v_lshlrev_b64 v[6:7], 2, v[6:7]
	v_add_co_u32 v6, vcc_lo, s8, v6
	s_delay_alu instid0(VALU_DEP_2) | instskip(SKIP_4) | instid1(VALU_DEP_1)
	v_add_co_ci_u32_e32 v7, vcc_lo, s9, v7, vcc_lo
	global_load_b32 v0, v[6:7], off
	s_waitcnt vmcnt(0)
	v_cmp_le_f32_e32 vcc_lo, 0, v0
	v_cmp_ge_f32_e64 s0, 1.0, v0
	s_and_b32 s39, vcc_lo, s0
	s_delay_alu instid0(SALU_CYCLE_1)
	s_and_saveexec_b32 s0, s39
	s_cbranch_execz .LBB16_66
; %bb.65:                               ;   in Loop: Header=BB16_3 Depth=1
	v_cvt_f32_u32_e32 v3, v13
	s_mov_b32 s38, exec_lo
	s_delay_alu instid0(VALU_DEP_1) | instskip(NEXT) | instid1(VALU_DEP_1)
	v_fmaak_f32 v3, 0x2f800000, v3, 0x2f800000
	v_cmp_le_f32_e32 vcc_lo, v3, v0
	v_cndmask_b32_e64 v0, 0, 1, vcc_lo
	global_store_b8 v5, v0, s[10:11]
.LBB16_66:                              ;   in Loop: Header=BB16_3 Depth=1
	s_or_b32 exec_lo, exec_lo, s0
	s_delay_alu instid0(SALU_CYCLE_1)
	s_and_not1_b32 s0, s17, exec_lo
	s_and_b32 s17, s38, exec_lo
	s_or_b32 s37, s37, exec_lo
	s_and_not1_b32 s36, s36, exec_lo
	s_and_not1_b32 s35, s35, exec_lo
	;; [unrolled: 1-line block ×3, first 2 shown]
	s_or_b32 s17, s0, s17
.LBB16_67:                              ;   in Loop: Header=BB16_3 Depth=1
	s_or_b32 exec_lo, exec_lo, s16
	s_delay_alu instid0(SALU_CYCLE_1)
	s_and_not1_b32 s16, s33, exec_lo
	s_and_b32 s33, s37, exec_lo
	s_and_not1_b32 s30, s30, exec_lo
	s_and_b32 s36, s36, exec_lo
	s_or_b32 s33, s16, s33
	s_and_not1_b32 s16, s31, exec_lo
	s_and_b32 s31, s35, exec_lo
	s_and_not1_b32 s29, s29, exec_lo
	s_and_b32 s34, s34, exec_lo
	s_mov_b32 s0, -1
	s_or_b32 s30, s30, s36
	s_or_b32 s31, s16, s31
	;; [unrolled: 1-line block ×3, first 2 shown]
	s_and_saveexec_b32 s16, s17
	s_cbranch_execz .LBB16_2
; %bb.68:                               ;   in Loop: Header=BB16_3 Depth=1
	v_add_nc_u32_e32 v30, s24, v30
	s_and_not1_b32 s33, s33, exec_lo
	s_and_not1_b32 s30, s30, exec_lo
	;; [unrolled: 1-line block ×4, first 2 shown]
	v_cmp_le_u32_e32 vcc_lo, s18, v30
	s_or_not1_b32 s0, vcc_lo, exec_lo
	s_branch .LBB16_2
.LBB16_69:
	s_or_b32 exec_lo, exec_lo, s1
	s_xor_b32 s3, s27, -1
	s_xor_b32 s4, s28, -1
	;; [unrolled: 1-line block ×3, first 2 shown]
	s_mov_b32 s1, 0
	s_and_saveexec_b32 s2, s0
	s_delay_alu instid0(SALU_CYCLE_1)
	s_xor_b32 s0, exec_lo, s2
	s_cbranch_execz .LBB16_78
; %bb.70:
	s_mov_b32 s2, 0
	s_and_saveexec_b32 s1, s4
	s_delay_alu instid0(SALU_CYCLE_1)
	s_xor_b32 s1, exec_lo, s1
	s_cbranch_execz .LBB16_76
; %bb.71:
	s_and_saveexec_b32 s4, s3
	s_delay_alu instid0(SALU_CYCLE_1)
	s_xor_b32 s3, exec_lo, s4
	s_cbranch_execz .LBB16_74
; %bb.72:
	s_and_saveexec_b32 s4, s23
	s_delay_alu instid0(SALU_CYCLE_1)
	s_xor_b32 s4, exec_lo, s4
	s_cbranch_execnz .LBB16_92
.LBB16_73:
	s_or_b32 exec_lo, exec_lo, s4
	s_delay_alu instid0(SALU_CYCLE_1)
	s_and_b32 s2, s2, exec_lo
.LBB16_74:
	s_and_not1_saveexec_b32 s3, s3
	s_cbranch_execnz .LBB16_88
.LBB16_75:
	s_or_b32 exec_lo, exec_lo, s3
	s_delay_alu instid0(SALU_CYCLE_1)
	s_and_b32 s2, s2, exec_lo
.LBB16_76:
	s_and_not1_saveexec_b32 s1, s1
	s_cbranch_execnz .LBB16_84
.LBB16_77:
	s_or_b32 exec_lo, exec_lo, s1
	s_delay_alu instid0(SALU_CYCLE_1)
	s_and_b32 s1, s2, exec_lo
.LBB16_78:
	s_and_not1_saveexec_b32 s0, s0
	s_cbranch_execnz .LBB16_82
; %bb.79:
	s_or_b32 exec_lo, exec_lo, s0
	s_delay_alu instid0(SALU_CYCLE_1)
	s_and_b32 exec_lo, exec_lo, s1
.LBB16_80:
	; divergent unreachable
.LBB16_81:
	s_nop 0
	s_sendmsg sendmsg(MSG_DEALLOC_VGPRS)
	s_endpgm
.LBB16_82:
	s_cbranch_execnz .LBB16_86
; %bb.83:
	s_or_b32 s1, s1, exec_lo
	s_or_b32 exec_lo, exec_lo, s0
	s_delay_alu instid0(SALU_CYCLE_1)
	s_and_b32 exec_lo, exec_lo, s1
	s_cbranch_execnz .LBB16_80
	s_branch .LBB16_81
.LBB16_84:
	s_cbranch_execnz .LBB16_90
; %bb.85:
	s_or_b32 s2, s2, exec_lo
	s_branch .LBB16_77
.LBB16_86:
	s_trap 2
	s_sendmsg_rtn_b32 s0, sendmsg(MSG_RTN_GET_DOORBELL)
	s_mov_b32 ttmp2, m0
	s_waitcnt lgkmcnt(0)
	s_and_b32 s0, s0, 0x3ff
	s_delay_alu instid0(SALU_CYCLE_1) | instskip(NEXT) | instid1(SALU_CYCLE_1)
	s_bitset1_b32 s0, 10
	s_mov_b32 m0, s0
	s_sendmsg sendmsg(MSG_INTERRUPT)
	s_mov_b32 m0, ttmp2
.LBB16_87:                              ; =>This Inner Loop Header: Depth=1
	s_sethalt 5
	s_branch .LBB16_87
.LBB16_88:
	s_cbranch_execnz .LBB16_94
; %bb.89:
	s_or_b32 s2, s2, exec_lo
	s_branch .LBB16_75
.LBB16_90:
	s_trap 2
	s_sendmsg_rtn_b32 s0, sendmsg(MSG_RTN_GET_DOORBELL)
	s_mov_b32 ttmp2, m0
	s_waitcnt lgkmcnt(0)
	s_and_b32 s0, s0, 0x3ff
	s_delay_alu instid0(SALU_CYCLE_1) | instskip(NEXT) | instid1(SALU_CYCLE_1)
	s_bitset1_b32 s0, 10
	s_mov_b32 m0, s0
	s_sendmsg sendmsg(MSG_INTERRUPT)
	s_mov_b32 m0, ttmp2
.LBB16_91:                              ; =>This Inner Loop Header: Depth=1
	s_sethalt 5
	s_branch .LBB16_91
.LBB16_92:
	s_cbranch_execnz .LBB16_96
; %bb.93:
	s_mov_b32 s2, exec_lo
	s_branch .LBB16_73
.LBB16_94:
	s_trap 2
	s_sendmsg_rtn_b32 s0, sendmsg(MSG_RTN_GET_DOORBELL)
	s_mov_b32 ttmp2, m0
	s_waitcnt lgkmcnt(0)
	s_and_b32 s0, s0, 0x3ff
	s_delay_alu instid0(SALU_CYCLE_1) | instskip(NEXT) | instid1(SALU_CYCLE_1)
	s_bitset1_b32 s0, 10
	s_mov_b32 m0, s0
	s_sendmsg sendmsg(MSG_INTERRUPT)
	s_mov_b32 m0, ttmp2
.LBB16_95:                              ; =>This Inner Loop Header: Depth=1
	s_sethalt 5
	s_branch .LBB16_95
.LBB16_96:
	s_trap 2
	s_sendmsg_rtn_b32 s0, sendmsg(MSG_RTN_GET_DOORBELL)
	s_mov_b32 ttmp2, m0
	s_waitcnt lgkmcnt(0)
	s_and_b32 s0, s0, 0x3ff
	s_delay_alu instid0(SALU_CYCLE_1) | instskip(NEXT) | instid1(SALU_CYCLE_1)
	s_bitset1_b32 s0, 10
	s_mov_b32 m0, s0
	s_sendmsg sendmsg(MSG_INTERRUPT)
	s_mov_b32 m0, ttmp2
.LBB16_97:                              ; =>This Inner Loop Header: Depth=1
	s_sethalt 5
	s_branch .LBB16_97
	.section	.rodata,"a",@progbits
	.p2align	6, 0x0
	.amdhsa_kernel _ZN2at4cuda12_GLOBAL__N_121kernelPointwiseApply2IZNS_6native9templates4cuda28bernoulli_tensor_cuda_kernelIhfEEvRKNS_10TensorBaseES9_NS_15PhiloxCudaStateEEUliRhSB_SB_SB_RKfSD_SD_SD_E_hSC_jLi2ELin1ELi4ELi512ELi2EEEvNS0_6detail10TensorInfoIT0_T2_EENSG_IT1_SI_EESI_T_
		.amdhsa_group_segment_fixed_size 0
		.amdhsa_private_segment_fixed_size 0
		.amdhsa_kernarg_size 728
		.amdhsa_user_sgpr_count 15
		.amdhsa_user_sgpr_dispatch_ptr 0
		.amdhsa_user_sgpr_queue_ptr 0
		.amdhsa_user_sgpr_kernarg_segment_ptr 1
		.amdhsa_user_sgpr_dispatch_id 0
		.amdhsa_user_sgpr_private_segment_size 0
		.amdhsa_wavefront_size32 1
		.amdhsa_uses_dynamic_stack 0
		.amdhsa_enable_private_segment 0
		.amdhsa_system_sgpr_workgroup_id_x 1
		.amdhsa_system_sgpr_workgroup_id_y 0
		.amdhsa_system_sgpr_workgroup_id_z 0
		.amdhsa_system_sgpr_workgroup_info 0
		.amdhsa_system_vgpr_workitem_id 0
		.amdhsa_next_free_vgpr 42
		.amdhsa_next_free_sgpr 40
		.amdhsa_reserve_vcc 1
		.amdhsa_float_round_mode_32 0
		.amdhsa_float_round_mode_16_64 0
		.amdhsa_float_denorm_mode_32 3
		.amdhsa_float_denorm_mode_16_64 3
		.amdhsa_dx10_clamp 1
		.amdhsa_ieee_mode 1
		.amdhsa_fp16_overflow 0
		.amdhsa_workgroup_processor_mode 1
		.amdhsa_memory_ordered 1
		.amdhsa_forward_progress 0
		.amdhsa_shared_vgpr_count 0
		.amdhsa_exception_fp_ieee_invalid_op 0
		.amdhsa_exception_fp_denorm_src 0
		.amdhsa_exception_fp_ieee_div_zero 0
		.amdhsa_exception_fp_ieee_overflow 0
		.amdhsa_exception_fp_ieee_underflow 0
		.amdhsa_exception_fp_ieee_inexact 0
		.amdhsa_exception_int_div_zero 0
	.end_amdhsa_kernel
	.section	.text._ZN2at4cuda12_GLOBAL__N_121kernelPointwiseApply2IZNS_6native9templates4cuda28bernoulli_tensor_cuda_kernelIhfEEvRKNS_10TensorBaseES9_NS_15PhiloxCudaStateEEUliRhSB_SB_SB_RKfSD_SD_SD_E_hSC_jLi2ELin1ELi4ELi512ELi2EEEvNS0_6detail10TensorInfoIT0_T2_EENSG_IT1_SI_EESI_T_,"axG",@progbits,_ZN2at4cuda12_GLOBAL__N_121kernelPointwiseApply2IZNS_6native9templates4cuda28bernoulli_tensor_cuda_kernelIhfEEvRKNS_10TensorBaseES9_NS_15PhiloxCudaStateEEUliRhSB_SB_SB_RKfSD_SD_SD_E_hSC_jLi2ELin1ELi4ELi512ELi2EEEvNS0_6detail10TensorInfoIT0_T2_EENSG_IT1_SI_EESI_T_,comdat
.Lfunc_end16:
	.size	_ZN2at4cuda12_GLOBAL__N_121kernelPointwiseApply2IZNS_6native9templates4cuda28bernoulli_tensor_cuda_kernelIhfEEvRKNS_10TensorBaseES9_NS_15PhiloxCudaStateEEUliRhSB_SB_SB_RKfSD_SD_SD_E_hSC_jLi2ELin1ELi4ELi512ELi2EEEvNS0_6detail10TensorInfoIT0_T2_EENSG_IT1_SI_EESI_T_, .Lfunc_end16-_ZN2at4cuda12_GLOBAL__N_121kernelPointwiseApply2IZNS_6native9templates4cuda28bernoulli_tensor_cuda_kernelIhfEEvRKNS_10TensorBaseES9_NS_15PhiloxCudaStateEEUliRhSB_SB_SB_RKfSD_SD_SD_E_hSC_jLi2ELin1ELi4ELi512ELi2EEEvNS0_6detail10TensorInfoIT0_T2_EENSG_IT1_SI_EESI_T_
                                        ; -- End function
	.section	.AMDGPU.csdata,"",@progbits
; Kernel info:
; codeLenInByte = 4776
; NumSgprs: 42
; NumVgprs: 42
; ScratchSize: 0
; MemoryBound: 0
; FloatMode: 240
; IeeeMode: 1
; LDSByteSize: 0 bytes/workgroup (compile time only)
; SGPRBlocks: 5
; VGPRBlocks: 5
; NumSGPRsForWavesPerEU: 42
; NumVGPRsForWavesPerEU: 42
; Occupancy: 16
; WaveLimiterHint : 1
; COMPUTE_PGM_RSRC2:SCRATCH_EN: 0
; COMPUTE_PGM_RSRC2:USER_SGPR: 15
; COMPUTE_PGM_RSRC2:TRAP_HANDLER: 0
; COMPUTE_PGM_RSRC2:TGID_X_EN: 1
; COMPUTE_PGM_RSRC2:TGID_Y_EN: 0
; COMPUTE_PGM_RSRC2:TGID_Z_EN: 0
; COMPUTE_PGM_RSRC2:TIDIG_COMP_CNT: 0
	.section	.text._ZN2at4cuda12_GLOBAL__N_121kernelPointwiseApply2IZNS_6native9templates4cuda28bernoulli_tensor_cuda_kernelIhfEEvRKNS_10TensorBaseES9_NS_15PhiloxCudaStateEEUliRhSB_SB_SB_RKfSD_SD_SD_E_hSC_jLin1ELi1ELi4ELi512ELi2EEEvNS0_6detail10TensorInfoIT0_T2_EENSG_IT1_SI_EESI_T_,"axG",@progbits,_ZN2at4cuda12_GLOBAL__N_121kernelPointwiseApply2IZNS_6native9templates4cuda28bernoulli_tensor_cuda_kernelIhfEEvRKNS_10TensorBaseES9_NS_15PhiloxCudaStateEEUliRhSB_SB_SB_RKfSD_SD_SD_E_hSC_jLin1ELi1ELi4ELi512ELi2EEEvNS0_6detail10TensorInfoIT0_T2_EENSG_IT1_SI_EESI_T_,comdat
	.globl	_ZN2at4cuda12_GLOBAL__N_121kernelPointwiseApply2IZNS_6native9templates4cuda28bernoulli_tensor_cuda_kernelIhfEEvRKNS_10TensorBaseES9_NS_15PhiloxCudaStateEEUliRhSB_SB_SB_RKfSD_SD_SD_E_hSC_jLin1ELi1ELi4ELi512ELi2EEEvNS0_6detail10TensorInfoIT0_T2_EENSG_IT1_SI_EESI_T_ ; -- Begin function _ZN2at4cuda12_GLOBAL__N_121kernelPointwiseApply2IZNS_6native9templates4cuda28bernoulli_tensor_cuda_kernelIhfEEvRKNS_10TensorBaseES9_NS_15PhiloxCudaStateEEUliRhSB_SB_SB_RKfSD_SD_SD_E_hSC_jLin1ELi1ELi4ELi512ELi2EEEvNS0_6detail10TensorInfoIT0_T2_EENSG_IT1_SI_EESI_T_
	.p2align	8
	.type	_ZN2at4cuda12_GLOBAL__N_121kernelPointwiseApply2IZNS_6native9templates4cuda28bernoulli_tensor_cuda_kernelIhfEEvRKNS_10TensorBaseES9_NS_15PhiloxCudaStateEEUliRhSB_SB_SB_RKfSD_SD_SD_E_hSC_jLin1ELi1ELi4ELi512ELi2EEEvNS0_6detail10TensorInfoIT0_T2_EENSG_IT1_SI_EESI_T_,@function
_ZN2at4cuda12_GLOBAL__N_121kernelPointwiseApply2IZNS_6native9templates4cuda28bernoulli_tensor_cuda_kernelIhfEEvRKNS_10TensorBaseES9_NS_15PhiloxCudaStateEEUliRhSB_SB_SB_RKfSD_SD_SD_E_hSC_jLin1ELi1ELi4ELi512ELi2EEEvNS0_6detail10TensorInfoIT0_T2_EENSG_IT1_SI_EESI_T_: ; @_ZN2at4cuda12_GLOBAL__N_121kernelPointwiseApply2IZNS_6native9templates4cuda28bernoulli_tensor_cuda_kernelIhfEEvRKNS_10TensorBaseES9_NS_15PhiloxCudaStateEEUliRhSB_SB_SB_RKfSD_SD_SD_E_hSC_jLin1ELi1ELi4ELi512ELi2EEEvNS0_6detail10TensorInfoIT0_T2_EENSG_IT1_SI_EESI_T_
; %bb.0:
	s_clause 0x1
	s_load_b32 s4, s[0:1], 0x1e4
	s_load_b32 s20, s[0:1], 0x1b0
	s_add_u32 s2, s0, 0x1d8
	s_addc_u32 s3, s1, 0
	s_waitcnt lgkmcnt(0)
	s_and_b32 s14, s4, 0xffff
	s_mov_b32 s4, exec_lo
	v_mad_u64_u32 v[1:2], null, s15, s14, v[0:1]
	s_delay_alu instid0(VALU_DEP_1) | instskip(NEXT) | instid1(VALU_DEP_1)
	v_lshlrev_b32_e32 v29, 2, v1
	v_cmpx_gt_u32_e64 s20, v29
	s_cbranch_execz .LBB17_73
; %bb.1:
	s_load_b32 s16, s[0:1], 0xd0
	s_load_b32 s2, s[2:3], 0x0
	s_clause 0x6
	s_load_b32 s3, s[0:1], 0x1d0
	s_load_b64 s[8:9], s[0:1], 0xd8
	s_load_b64 s[10:11], s[0:1], 0x1c8
	s_load_b32 s21, s[0:1], 0x144
	s_load_b128 s[4:7], s[0:1], 0x1b8
	s_load_b32 s22, s[0:1], 0x6c
	s_load_b64 s[12:13], s[0:1], 0x0
	v_mad_u64_u32 v[2:3], null, 0xcd9e8d57, v1, 0
	s_mov_b32 s15, 0
	v_mov_b32_e32 v4, 0
                                        ; implicit-def: $sgpr27
                                        ; implicit-def: $sgpr29
                                        ; implicit-def: $sgpr28
                                        ; implicit-def: $sgpr30
                                        ; implicit-def: $sgpr33
                                        ; implicit-def: $sgpr31
                                        ; implicit-def: $sgpr34
	s_delay_alu instid0(VALU_DEP_2)
	v_mov_b32_e32 v30, v3
	s_waitcnt lgkmcnt(0)
	s_cmp_gt_i32 s16, 1
	s_mul_i32 s2, s2, s14
	s_cselect_b32 s23, -1, 0
	s_bitcmp1_b32 s3, 0
	s_cselect_b32 s24, -1, 0
	s_add_i32 s14, s16, -1
	s_lshl_b32 s25, s2, 2
	s_lshl_b64 s[2:3], s[14:15], 2
	s_add_i32 s26, s16, 1
	s_add_u32 s0, s2, s0
	s_addc_u32 s1, s3, s1
	s_add_u32 s16, s0, 8
	s_addc_u32 s17, s1, 0
                                        ; implicit-def: $sgpr14
	s_branch .LBB17_3
.LBB17_2:                               ;   in Loop: Header=BB17_3 Depth=1
	s_or_b32 exec_lo, exec_lo, s1
	s_delay_alu instid0(SALU_CYCLE_1) | instskip(NEXT) | instid1(SALU_CYCLE_1)
	s_and_b32 s0, exec_lo, s0
	s_or_b32 s15, s0, s15
	s_and_not1_b32 s0, s14, exec_lo
	s_and_b32 s1, s34, exec_lo
	s_and_not1_b32 s2, s28, exec_lo
	s_and_b32 s3, s31, exec_lo
	s_or_b32 s14, s0, s1
	s_or_b32 s28, s2, s3
	s_and_not1_b32 s0, s29, exec_lo
	s_and_b32 s1, s33, exec_lo
	s_and_not1_b32 s2, s27, exec_lo
	s_and_b32 s3, s30, exec_lo
	s_or_b32 s29, s0, s1
	s_or_b32 s27, s2, s3
	s_and_not1_b32 exec_lo, exec_lo, s15
	s_cbranch_execz .LBB17_61
.LBB17_3:                               ; =>This Loop Header: Depth=1
                                        ;     Child Loop BB17_6 Depth 2
                                        ;     Child Loop BB17_11 Depth 2
	;; [unrolled: 1-line block ×4, first 2 shown]
	v_sub_nc_u32_e32 v31, s20, v29
	v_mov_b32_e32 v5, 0
	s_delay_alu instid0(VALU_DEP_2) | instskip(NEXT) | instid1(VALU_DEP_1)
	v_cmp_lt_i32_e64 s0, 0, v31
	s_and_saveexec_b32 s1, s0
	s_cbranch_execz .LBB17_8
; %bb.4:                                ;   in Loop: Header=BB17_3 Depth=1
	v_dual_mov_b32 v0, 0 :: v_dual_mov_b32 v3, v29
	s_and_not1_b32 vcc_lo, exec_lo, s23
	s_cbranch_vccnz .LBB17_7
; %bb.5:                                ;   in Loop: Header=BB17_3 Depth=1
	v_dual_mov_b32 v0, 0 :: v_dual_mov_b32 v3, v29
	s_mov_b64 s[2:3], s[16:17]
	s_mov_b32 s18, s26
	s_set_inst_prefetch_distance 0x1
	.p2align	6
.LBB17_6:                               ;   Parent Loop BB17_3 Depth=1
                                        ; =>  This Inner Loop Header: Depth=2
	s_clause 0x1
	s_load_b32 s19, s[2:3], 0x0
	s_load_b32 s35, s[2:3], 0x64
	v_mov_b32_e32 v7, v3
	s_add_i32 s18, s18, -1
	s_waitcnt lgkmcnt(0)
	v_cvt_f32_u32_e32 v5, s19
	s_sub_i32 s36, 0, s19
	s_add_u32 s2, s2, -4
	s_addc_u32 s3, s3, -1
	s_cmp_gt_u32 s18, 2
	v_rcp_iflag_f32_e32 v5, v5
	s_waitcnt_depctr 0xfff
	v_mul_f32_e32 v5, 0x4f7ffffe, v5
	s_delay_alu instid0(VALU_DEP_1) | instskip(NEXT) | instid1(VALU_DEP_1)
	v_cvt_u32_f32_e32 v5, v5
	v_mul_lo_u32 v6, s36, v5
	s_delay_alu instid0(VALU_DEP_1) | instskip(NEXT) | instid1(VALU_DEP_1)
	v_mul_hi_u32 v6, v5, v6
	v_add_nc_u32_e32 v3, v5, v6
	s_delay_alu instid0(VALU_DEP_1) | instskip(NEXT) | instid1(VALU_DEP_1)
	v_mul_hi_u32 v3, v7, v3
	v_add_nc_u32_e32 v6, 1, v3
	v_mul_lo_u32 v5, v3, s19
	s_delay_alu instid0(VALU_DEP_1) | instskip(NEXT) | instid1(VALU_DEP_1)
	v_sub_nc_u32_e32 v5, v7, v5
	v_subrev_nc_u32_e32 v8, s19, v5
	v_cmp_le_u32_e32 vcc_lo, s19, v5
	v_cndmask_b32_e32 v3, v3, v6, vcc_lo
	s_delay_alu instid0(VALU_DEP_1) | instskip(NEXT) | instid1(VALU_DEP_1)
	v_dual_cndmask_b32 v5, v5, v8 :: v_dual_add_nc_u32 v6, 1, v3
	v_cmp_le_u32_e32 vcc_lo, s19, v5
	s_delay_alu instid0(VALU_DEP_2) | instskip(NEXT) | instid1(VALU_DEP_1)
	v_cndmask_b32_e32 v3, v3, v6, vcc_lo
	v_mul_lo_u32 v5, v3, s19
	s_delay_alu instid0(VALU_DEP_1) | instskip(NEXT) | instid1(VALU_DEP_1)
	v_sub_nc_u32_e32 v7, v7, v5
	v_mad_u64_u32 v[5:6], null, s35, v7, v[0:1]
	s_delay_alu instid0(VALU_DEP_1)
	v_mov_b32_e32 v0, v5
	s_cbranch_scc1 .LBB17_6
.LBB17_7:                               ;   in Loop: Header=BB17_3 Depth=1
	s_set_inst_prefetch_distance 0x2
	s_delay_alu instid0(VALU_DEP_1)
	v_mad_u64_u32 v[5:6], null, s22, v3, v[0:1]
.LBB17_8:                               ;   in Loop: Header=BB17_3 Depth=1
	s_or_b32 exec_lo, exec_lo, s1
	v_mov_b32_e32 v6, 0
	v_mov_b32_e32 v7, 0
	v_cmp_lt_i32_e64 s1, 1, v31
	s_delay_alu instid0(VALU_DEP_1)
	s_and_saveexec_b32 s18, s1
	s_cbranch_execz .LBB17_13
; %bb.9:                                ;   in Loop: Header=BB17_3 Depth=1
	v_or_b32_e32 v3, 1, v29
	v_mov_b32_e32 v0, 0
	s_and_not1_b32 vcc_lo, exec_lo, s23
	s_cbranch_vccnz .LBB17_12
; %bb.10:                               ;   in Loop: Header=BB17_3 Depth=1
	v_mov_b32_e32 v0, 0
	s_mov_b64 s[2:3], s[16:17]
	s_mov_b32 s19, s26
	s_set_inst_prefetch_distance 0x1
	.p2align	6
.LBB17_11:                              ;   Parent Loop BB17_3 Depth=1
                                        ; =>  This Inner Loop Header: Depth=2
	s_clause 0x1
	s_load_b32 s35, s[2:3], 0x0
	s_load_b32 s36, s[2:3], 0x64
	s_add_i32 s19, s19, -1
	s_waitcnt lgkmcnt(0)
	v_cvt_f32_u32_e32 v6, s35
	s_sub_i32 s37, 0, s35
	s_add_u32 s2, s2, -4
	s_addc_u32 s3, s3, -1
	s_cmp_gt_u32 s19, 2
	v_rcp_iflag_f32_e32 v6, v6
	s_waitcnt_depctr 0xfff
	v_mul_f32_e32 v6, 0x4f7ffffe, v6
	s_delay_alu instid0(VALU_DEP_1) | instskip(NEXT) | instid1(VALU_DEP_1)
	v_cvt_u32_f32_e32 v6, v6
	v_mul_lo_u32 v7, s37, v6
	s_delay_alu instid0(VALU_DEP_1) | instskip(NEXT) | instid1(VALU_DEP_1)
	v_mul_hi_u32 v7, v6, v7
	v_dual_mov_b32 v8, v3 :: v_dual_add_nc_u32 v3, v6, v7
	s_delay_alu instid0(VALU_DEP_1) | instskip(NEXT) | instid1(VALU_DEP_1)
	v_mul_hi_u32 v3, v8, v3
	v_mul_lo_u32 v6, v3, s35
	v_add_nc_u32_e32 v7, 1, v3
	s_delay_alu instid0(VALU_DEP_2) | instskip(NEXT) | instid1(VALU_DEP_1)
	v_sub_nc_u32_e32 v6, v8, v6
	v_subrev_nc_u32_e32 v9, s35, v6
	v_cmp_le_u32_e32 vcc_lo, s35, v6
	s_delay_alu instid0(VALU_DEP_2) | instskip(NEXT) | instid1(VALU_DEP_1)
	v_dual_cndmask_b32 v3, v3, v7 :: v_dual_cndmask_b32 v6, v6, v9
	v_add_nc_u32_e32 v7, 1, v3
	s_delay_alu instid0(VALU_DEP_2) | instskip(NEXT) | instid1(VALU_DEP_2)
	v_cmp_le_u32_e32 vcc_lo, s35, v6
	v_cndmask_b32_e32 v3, v3, v7, vcc_lo
	s_delay_alu instid0(VALU_DEP_1) | instskip(NEXT) | instid1(VALU_DEP_1)
	v_mul_lo_u32 v6, v3, s35
	v_sub_nc_u32_e32 v8, v8, v6
	s_delay_alu instid0(VALU_DEP_1) | instskip(NEXT) | instid1(VALU_DEP_1)
	v_mad_u64_u32 v[6:7], null, s36, v8, v[0:1]
	v_mov_b32_e32 v0, v6
	s_cbranch_scc1 .LBB17_11
.LBB17_12:                              ;   in Loop: Header=BB17_3 Depth=1
	s_set_inst_prefetch_distance 0x2
	s_delay_alu instid0(VALU_DEP_1)
	v_mad_u64_u32 v[6:7], null, s22, v3, v[0:1]
	v_mov_b32_e32 v7, v4
.LBB17_13:                              ;   in Loop: Header=BB17_3 Depth=1
	s_or_b32 exec_lo, exec_lo, s18
	v_mov_b32_e32 v8, 0
	v_mov_b32_e32 v9, 0
	v_cmp_lt_i32_e64 s2, 2, v31
	s_delay_alu instid0(VALU_DEP_1)
	s_and_saveexec_b32 s3, s2
	s_cbranch_execz .LBB17_18
; %bb.14:                               ;   in Loop: Header=BB17_3 Depth=1
	v_or_b32_e32 v3, 2, v29
	v_mov_b32_e32 v0, 0
	s_and_not1_b32 vcc_lo, exec_lo, s23
	s_cbranch_vccnz .LBB17_17
; %bb.15:                               ;   in Loop: Header=BB17_3 Depth=1
	v_mov_b32_e32 v0, 0
	s_mov_b64 s[18:19], s[16:17]
	s_mov_b32 s35, s26
	s_set_inst_prefetch_distance 0x1
	.p2align	6
.LBB17_16:                              ;   Parent Loop BB17_3 Depth=1
                                        ; =>  This Inner Loop Header: Depth=2
	s_clause 0x1
	s_load_b32 s36, s[18:19], 0x0
	s_load_b32 s37, s[18:19], 0x64
	s_add_i32 s35, s35, -1
	s_waitcnt lgkmcnt(0)
	v_cvt_f32_u32_e32 v8, s36
	s_sub_i32 s38, 0, s36
	s_add_u32 s18, s18, -4
	s_addc_u32 s19, s19, -1
	s_cmp_gt_u32 s35, 2
	v_rcp_iflag_f32_e32 v8, v8
	s_waitcnt_depctr 0xfff
	v_mul_f32_e32 v8, 0x4f7ffffe, v8
	s_delay_alu instid0(VALU_DEP_1) | instskip(NEXT) | instid1(VALU_DEP_1)
	v_cvt_u32_f32_e32 v8, v8
	v_mul_lo_u32 v9, s38, v8
	s_delay_alu instid0(VALU_DEP_1) | instskip(NEXT) | instid1(VALU_DEP_1)
	v_mul_hi_u32 v9, v8, v9
	v_dual_mov_b32 v10, v3 :: v_dual_add_nc_u32 v3, v8, v9
	s_delay_alu instid0(VALU_DEP_1) | instskip(NEXT) | instid1(VALU_DEP_1)
	v_mul_hi_u32 v3, v10, v3
	v_mul_lo_u32 v8, v3, s36
	v_add_nc_u32_e32 v9, 1, v3
	s_delay_alu instid0(VALU_DEP_2) | instskip(NEXT) | instid1(VALU_DEP_1)
	v_sub_nc_u32_e32 v8, v10, v8
	v_subrev_nc_u32_e32 v11, s36, v8
	v_cmp_le_u32_e32 vcc_lo, s36, v8
	s_delay_alu instid0(VALU_DEP_2) | instskip(NEXT) | instid1(VALU_DEP_1)
	v_dual_cndmask_b32 v3, v3, v9 :: v_dual_cndmask_b32 v8, v8, v11
	v_add_nc_u32_e32 v9, 1, v3
	s_delay_alu instid0(VALU_DEP_2) | instskip(NEXT) | instid1(VALU_DEP_2)
	v_cmp_le_u32_e32 vcc_lo, s36, v8
	v_cndmask_b32_e32 v3, v3, v9, vcc_lo
	s_delay_alu instid0(VALU_DEP_1) | instskip(NEXT) | instid1(VALU_DEP_1)
	v_mul_lo_u32 v8, v3, s36
	v_sub_nc_u32_e32 v10, v10, v8
	s_delay_alu instid0(VALU_DEP_1) | instskip(NEXT) | instid1(VALU_DEP_1)
	v_mad_u64_u32 v[8:9], null, s37, v10, v[0:1]
	v_mov_b32_e32 v0, v8
	s_cbranch_scc1 .LBB17_16
.LBB17_17:                              ;   in Loop: Header=BB17_3 Depth=1
	s_set_inst_prefetch_distance 0x2
	s_delay_alu instid0(VALU_DEP_1)
	v_mad_u64_u32 v[8:9], null, s22, v3, v[0:1]
	v_mov_b32_e32 v9, v4
.LBB17_18:                              ;   in Loop: Header=BB17_3 Depth=1
	s_or_b32 exec_lo, exec_lo, s3
	v_mov_b32_e32 v12, 0
	v_mov_b32_e32 v13, 0
	v_cmp_lt_i32_e64 s3, 3, v31
	s_delay_alu instid0(VALU_DEP_1)
	s_and_saveexec_b32 s35, s3
	s_cbranch_execz .LBB17_23
; %bb.19:                               ;   in Loop: Header=BB17_3 Depth=1
	v_or_b32_e32 v3, 3, v29
	v_mov_b32_e32 v0, 0
	s_and_not1_b32 vcc_lo, exec_lo, s23
	s_cbranch_vccnz .LBB17_22
; %bb.20:                               ;   in Loop: Header=BB17_3 Depth=1
	v_mov_b32_e32 v0, 0
	s_mov_b64 s[18:19], s[16:17]
	s_mov_b32 s36, s26
	s_set_inst_prefetch_distance 0x1
	.p2align	6
.LBB17_21:                              ;   Parent Loop BB17_3 Depth=1
                                        ; =>  This Inner Loop Header: Depth=2
	s_clause 0x1
	s_load_b32 s37, s[18:19], 0x0
	s_load_b32 s38, s[18:19], 0x64
	s_add_i32 s36, s36, -1
	s_waitcnt lgkmcnt(0)
	v_cvt_f32_u32_e32 v10, s37
	s_sub_i32 s39, 0, s37
	s_add_u32 s18, s18, -4
	s_addc_u32 s19, s19, -1
	s_cmp_gt_u32 s36, 2
	v_rcp_iflag_f32_e32 v10, v10
	s_waitcnt_depctr 0xfff
	v_mul_f32_e32 v10, 0x4f7ffffe, v10
	s_delay_alu instid0(VALU_DEP_1) | instskip(NEXT) | instid1(VALU_DEP_1)
	v_cvt_u32_f32_e32 v10, v10
	v_mul_lo_u32 v11, s39, v10
	s_delay_alu instid0(VALU_DEP_1) | instskip(NEXT) | instid1(VALU_DEP_1)
	v_mul_hi_u32 v11, v10, v11
	v_dual_mov_b32 v12, v3 :: v_dual_add_nc_u32 v3, v10, v11
	s_delay_alu instid0(VALU_DEP_1) | instskip(NEXT) | instid1(VALU_DEP_1)
	v_mul_hi_u32 v3, v12, v3
	v_mul_lo_u32 v10, v3, s37
	v_add_nc_u32_e32 v11, 1, v3
	s_delay_alu instid0(VALU_DEP_2) | instskip(NEXT) | instid1(VALU_DEP_1)
	v_sub_nc_u32_e32 v10, v12, v10
	v_subrev_nc_u32_e32 v13, s37, v10
	v_cmp_le_u32_e32 vcc_lo, s37, v10
	s_delay_alu instid0(VALU_DEP_2) | instskip(NEXT) | instid1(VALU_DEP_1)
	v_dual_cndmask_b32 v3, v3, v11 :: v_dual_cndmask_b32 v10, v10, v13
	v_add_nc_u32_e32 v11, 1, v3
	s_delay_alu instid0(VALU_DEP_2) | instskip(NEXT) | instid1(VALU_DEP_2)
	v_cmp_le_u32_e32 vcc_lo, s37, v10
	v_cndmask_b32_e32 v3, v3, v11, vcc_lo
	s_delay_alu instid0(VALU_DEP_1) | instskip(NEXT) | instid1(VALU_DEP_1)
	v_mul_lo_u32 v10, v3, s37
	v_sub_nc_u32_e32 v12, v12, v10
	s_delay_alu instid0(VALU_DEP_1) | instskip(NEXT) | instid1(VALU_DEP_1)
	v_mad_u64_u32 v[10:11], null, s38, v12, v[0:1]
	v_mov_b32_e32 v0, v10
	s_cbranch_scc1 .LBB17_21
.LBB17_22:                              ;   in Loop: Header=BB17_3 Depth=1
	s_set_inst_prefetch_distance 0x2
	s_delay_alu instid0(VALU_DEP_1)
	v_mad_u64_u32 v[12:13], null, s22, v3, v[0:1]
	v_mov_b32_e32 v13, v4
.LBB17_23:                              ;   in Loop: Header=BB17_3 Depth=1
	s_or_b32 exec_lo, exec_lo, s35
	v_mul_lo_u32 v0, v29, s21
	v_mov_b32_e32 v19, s5
	v_dual_mov_b32 v17, s7 :: v_dual_mov_b32 v16, s6
	v_mov_b32_e32 v18, s4
	s_delay_alu instid0(VALU_DEP_4) | instskip(NEXT) | instid1(VALU_DEP_1)
	v_add_nc_u32_e32 v32, s21, v0
	v_add_nc_u32_e32 v33, s21, v32
	s_delay_alu instid0(VALU_DEP_1) | instskip(NEXT) | instid1(VALU_DEP_1)
	v_add_nc_u32_e32 v3, s21, v33
	v_cndmask_b32_e64 v3, 0, v3, s3
	s_delay_alu instid0(VALU_DEP_1) | instskip(NEXT) | instid1(VALU_DEP_1)
	v_lshlrev_b64 v[10:11], 2, v[3:4]
	v_add_co_u32 v10, vcc_lo, s8, v10
	s_delay_alu instid0(VALU_DEP_2)
	v_add_co_ci_u32_e32 v11, vcc_lo, s9, v11, vcc_lo
	s_and_not1_b32 vcc_lo, exec_lo, s24
	global_load_b32 v3, v[10:11], off
	s_cbranch_vccnz .LBB17_25
; %bb.24:                               ;   in Loop: Header=BB17_3 Depth=1
	v_dual_mov_b32 v11, s7 :: v_dual_mov_b32 v10, s6
	v_dual_mov_b32 v15, s5 :: v_dual_mov_b32 v14, s4
	flat_load_b64 v[10:11], v[10:11]
	flat_load_b64 v[18:19], v[14:15]
	s_waitcnt vmcnt(1) lgkmcnt(1)
	v_add_co_u32 v16, vcc_lo, v10, s10
	v_add_co_ci_u32_e32 v17, vcc_lo, s11, v11, vcc_lo
.LBB17_25:                              ;   in Loop: Header=BB17_3 Depth=1
	s_delay_alu instid0(VALU_DEP_1)
	v_alignbit_b32 v20, v17, v16, 2
	v_lshrrev_b32_e32 v14, 2, v17
	s_waitcnt vmcnt(0) lgkmcnt(0)
	v_add_nc_u32_e32 v35, 0xbb67ae85, v19
	v_add_nc_u32_e32 v36, 0x3c6ef372, v18
	;; [unrolled: 1-line block ×3, first 2 shown]
	v_add_co_u32 v15, vcc_lo, v20, 1
	s_delay_alu instid0(VALU_DEP_1) | instskip(SKIP_4) | instid1(VALU_DEP_4)
	v_cndmask_b32_e64 v10, 0, 1, vcc_lo
	v_add_co_ci_u32_e32 v17, vcc_lo, 0, v14, vcc_lo
	v_xor3_b32 v22, v30, v18, v14
	v_add_nc_u32_e32 v39, 0xed9eba14, v19
	v_add_nc_u32_e32 v40, 0x1fd5c5a3, v19
	v_cmp_eq_u32_e32 vcc_lo, 0, v17
	s_mov_b32 s3, exec_lo
	v_dual_cndmask_b32 v21, 0, v10 :: v_dual_add_nc_u32 v38, 0x32370b8f, v19
	v_mad_u64_u32 v[10:11], null, 0xd2511f53, v15, 0
	v_mad_u64_u32 v[14:15], null, 0xd2511f53, v20, 0
	s_delay_alu instid0(VALU_DEP_3) | instskip(NEXT) | instid1(VALU_DEP_3)
	v_add_nc_u32_e32 v24, v21, v1
	v_xor_b32_e32 v11, v11, v19
	s_delay_alu instid0(VALU_DEP_2) | instskip(SKIP_1) | instid1(VALU_DEP_1)
	v_cmp_eq_u32_e32 vcc_lo, 0, v24
	v_dual_cndmask_b32 v21, 0, v21 :: v_dual_add_nc_u32 v34, 0x9e3779b9, v18
	v_xor_b32_e32 v11, v21, v11
	v_mad_u64_u32 v[20:21], null, 0xd2511f53, v22, 0
	v_mad_u64_u32 v[22:23], null, 0xcd9e8d57, v24, 0
	s_delay_alu instid0(VALU_DEP_3) | instskip(SKIP_1) | instid1(VALU_DEP_4)
	v_mad_u64_u32 v[24:25], null, 0xcd9e8d57, v11, 0
	v_xor_b32_e32 v11, v15, v19
	v_xor3_b32 v26, v35, v21, v14
	s_delay_alu instid0(VALU_DEP_2) | instskip(SKIP_2) | instid1(VALU_DEP_4)
	v_mad_u64_u32 v[14:15], null, 0xcd9e8d57, v11, 0
	v_xor3_b32 v11, v23, v18, v17
	v_xor3_b32 v17, v34, v25, v22
	v_mad_u64_u32 v[21:22], null, 0xcd9e8d57, v26, 0
	s_delay_alu instid0(VALU_DEP_3) | instskip(NEXT) | instid1(VALU_DEP_3)
	v_mad_u64_u32 v[25:26], null, 0xd2511f53, v11, 0
	v_mad_u64_u32 v[27:28], null, 0xd2511f53, v17, 0
	v_xor3_b32 v11, v2, v15, v34
	s_delay_alu instid0(VALU_DEP_4) | instskip(SKIP_2) | instid1(VALU_DEP_4)
	v_xor3_b32 v22, v36, v22, v14
	v_add_nc_u32_e32 v17, 0xdaa66d2b, v18
	v_xor3_b32 v26, v35, v26, v10
	v_mad_u64_u32 v[14:15], null, 0xd2511f53, v11, 0
	v_xor3_b32 v28, v37, v28, v25
	v_mad_u64_u32 v[10:11], null, 0xd2511f53, v22, 0
	s_delay_alu instid0(VALU_DEP_4) | instskip(NEXT) | instid1(VALU_DEP_3)
	v_mad_u64_u32 v[22:23], null, 0xcd9e8d57, v26, 0
	v_mad_u64_u32 v[25:26], null, 0xcd9e8d57, v28, 0
	v_xor3_b32 v20, v37, v15, v20
	v_add_nc_u32_e32 v28, 0x78dde6e4, v18
	v_xor3_b32 v11, v38, v11, v14
	s_delay_alu instid0(VALU_DEP_3) | instskip(SKIP_2) | instid1(VALU_DEP_4)
	v_mad_u64_u32 v[14:15], null, 0xcd9e8d57, v20, 0
	v_xor3_b32 v20, v36, v23, v24
	v_xor3_b32 v24, v17, v26, v22
	v_mad_u64_u32 v[22:23], null, 0xcd9e8d57, v11, 0
	s_delay_alu instid0(VALU_DEP_3) | instskip(NEXT) | instid1(VALU_DEP_3)
	v_mad_u64_u32 v[34:35], null, 0xd2511f53, v20, 0
	v_mad_u64_u32 v[36:37], null, 0xd2511f53, v24, 0
	v_xor3_b32 v11, v17, v15, v21
	s_delay_alu instid0(VALU_DEP_4) | instskip(SKIP_2) | instid1(VALU_DEP_4)
	v_xor3_b32 v20, v28, v23, v14
	v_add_nc_u32_e32 v17, 0x1715609d, v18
	v_add_nc_u32_e32 v24, 0xa9066899, v19
	v_mad_u64_u32 v[14:15], null, 0xd2511f53, v11, 0
	v_xor3_b32 v11, v38, v35, v27
	v_xor3_b32 v23, v39, v37, v34
	v_mad_u64_u32 v[26:27], null, 0xd2511f53, v20, 0
	v_add_nc_u32_e32 v35, 0xb54cda56, v18
	s_delay_alu instid0(VALU_DEP_4) | instskip(NEXT) | instid1(VALU_DEP_4)
	v_mad_u64_u32 v[20:21], null, 0xcd9e8d57, v11, 0
	v_mad_u64_u32 v[37:38], null, 0xcd9e8d57, v23, 0
	v_xor3_b32 v15, v39, v15, v10
	v_xor3_b32 v23, v24, v27, v14
	v_add_nc_u32_e32 v34, 0x646e171e, v19
	v_xor3_b32 v25, v28, v21, v25
	s_delay_alu instid0(VALU_DEP_4) | instskip(SKIP_2) | instid1(VALU_DEP_4)
	v_mad_u64_u32 v[10:11], null, 0xcd9e8d57, v15, 0
	v_xor3_b32 v27, v17, v38, v20
	v_mad_u64_u32 v[14:15], null, 0xcd9e8d57, v23, 0
	v_mad_u64_u32 v[20:21], null, 0xd2511f53, v25, 0
	s_delay_alu instid0(VALU_DEP_3) | instskip(SKIP_3) | instid1(VALU_DEP_3)
	v_mad_u64_u32 v[38:39], null, 0xd2511f53, v27, 0
	v_xor3_b32 v17, v17, v11, v22
	v_add_nc_u32_e32 v25, 0x5384540f, v18
	v_xor3_b32 v15, v35, v15, v10
	v_mad_u64_u32 v[10:11], null, 0xd2511f53, v17, 0
	v_xor3_b32 v17, v24, v21, v36
	v_xor3_b32 v22, v34, v39, v20
	s_delay_alu instid0(VALU_DEP_4) | instskip(NEXT) | instid1(VALU_DEP_3)
	v_mad_u64_u32 v[20:21], null, 0xd2511f53, v15, 0
	v_mad_u64_u32 v[27:28], null, 0xcd9e8d57, v17, 0
	s_delay_alu instid0(VALU_DEP_3) | instskip(SKIP_1) | instid1(VALU_DEP_4)
	v_mad_u64_u32 v[23:24], null, 0xcd9e8d57, v22, 0
	v_xor3_b32 v15, v34, v11, v26
	v_xor3_b32 v17, v40, v21, v10
	v_add_co_u32 v34, null, 0xf1bbcdc8, v18
	s_delay_alu instid0(VALU_DEP_3) | instskip(SKIP_4) | instid1(VALU_DEP_4)
	v_mad_u64_u32 v[10:11], null, 0xcd9e8d57, v15, 0
	v_xor3_b32 v15, v35, v28, v37
	v_xor3_b32 v24, v25, v24, v27
	v_mad_u64_u32 v[21:22], null, 0xcd9e8d57, v17, 0
	v_add_nc_u32_e32 v35, 0xdb3d7428, v19
	v_mad_u64_u32 v[36:37], null, 0xd2511f53, v15, 0
	s_delay_alu instid0(VALU_DEP_4) | instskip(SKIP_4) | instid1(VALU_DEP_4)
	v_mad_u64_u32 v[26:27], null, 0xd2511f53, v24, 0
	v_xor3_b32 v11, v25, v11, v14
	v_xor3_b32 v14, v34, v22, v10
	v_add_nc_u32_e32 v22, 0x8ff34781, v18
	v_xor3_b32 v15, v40, v37, v38
	v_mad_u64_u32 v[24:25], null, 0xd2511f53, v11, 0
	v_xor3_b32 v17, v35, v27, v36
	v_mad_u64_u32 v[10:11], null, 0xd2511f53, v14, 0
	s_delay_alu instid0(VALU_DEP_4) | instskip(NEXT) | instid1(VALU_DEP_3)
	v_mad_u64_u32 v[27:28], null, 0xcd9e8d57, v15, 0
	v_mad_u64_u32 v[14:15], null, 0xcd9e8d57, v17, 0
	v_add_nc_u32_e32 v36, 0x96a522ad, v19
	v_and_b32_e32 v19, 3, v16
                                        ; implicit-def: $vgpr17
	s_delay_alu instid0(VALU_DEP_2) | instskip(NEXT) | instid1(VALU_DEP_4)
	v_xor3_b32 v18, v11, v24, v36
	v_xor3_b32 v11, v15, v27, v22
	s_delay_alu instid0(VALU_DEP_3)
	v_cmpx_lt_i32_e32 1, v19
	s_xor_b32 s3, exec_lo, s3
	s_cbranch_execz .LBB17_31
; %bb.26:                               ;   in Loop: Header=BB17_3 Depth=1
	s_mov_b32 s18, exec_lo
                                        ; implicit-def: $vgpr17
	v_cmpx_lt_i32_e32 2, v19
	s_xor_b32 s18, exec_lo, s18
; %bb.27:                               ;   in Loop: Header=BB17_3 Depth=1
	v_xor3_b32 v15, v34, v28, v23
                                        ; implicit-def: $vgpr18
	s_delay_alu instid0(VALU_DEP_1) | instskip(NEXT) | instid1(VALU_DEP_1)
	v_mul_hi_u32 v15, 0xd2511f53, v15
	v_xor3_b32 v17, v15, v26, v36
; %bb.28:                               ;   in Loop: Header=BB17_3 Depth=1
	s_and_not1_saveexec_b32 s18, s18
; %bb.29:                               ;   in Loop: Header=BB17_3 Depth=1
	v_dual_mov_b32 v17, v14 :: v_dual_mov_b32 v14, v11
	v_mov_b32_e32 v11, v10
	v_mov_b32_e32 v10, v18
; %bb.30:                               ;   in Loop: Header=BB17_3 Depth=1
	s_or_b32 exec_lo, exec_lo, s18
                                        ; implicit-def: $vgpr20_vgpr21
                                        ; implicit-def: $vgpr19
                                        ; implicit-def: $vgpr18
                                        ; implicit-def: $vgpr35
                                        ; implicit-def: $vgpr24_vgpr25
                                        ; implicit-def: $vgpr21_vgpr22
                                        ; implicit-def: $vgpr22
.LBB17_31:                              ;   in Loop: Header=BB17_3 Depth=1
	s_and_not1_saveexec_b32 s3, s3
	s_cbranch_execz .LBB17_35
; %bb.32:                               ;   in Loop: Header=BB17_3 Depth=1
	v_xor3_b32 v14, v35, v25, v20
	v_cmp_eq_u32_e32 vcc_lo, 1, v19
	s_delay_alu instid0(VALU_DEP_2) | instskip(SKIP_2) | instid1(VALU_DEP_3)
	v_mad_u64_u32 v[15:16], null, 0xcd9e8d57, v14, 0
	v_mov_b32_e32 v17, v10
	v_mov_b32_e32 v14, v18
	v_xor3_b32 v19, v16, v21, v22
	s_delay_alu instid0(VALU_DEP_4)
	v_mov_b32_e32 v16, v15
	s_and_saveexec_b32 s18, vcc_lo
; %bb.33:                               ;   in Loop: Header=BB17_3 Depth=1
	v_dual_mov_b32 v17, v11 :: v_dual_mov_b32 v14, v10
	v_dual_mov_b32 v16, v18 :: v_dual_mov_b32 v19, v15
; %bb.34:                               ;   in Loop: Header=BB17_3 Depth=1
	s_or_b32 exec_lo, exec_lo, s18
	s_delay_alu instid0(VALU_DEP_1)
	v_dual_mov_b32 v10, v19 :: v_dual_mov_b32 v11, v16
.LBB17_35:                              ;   in Loop: Header=BB17_3 Depth=1
	s_or_b32 exec_lo, exec_lo, s3
	v_min_i32_e32 v15, 4, v31
	s_mov_b32 s18, 0
	s_mov_b32 s38, 0
	;; [unrolled: 1-line block ×3, first 2 shown]
	s_mov_b32 s37, exec_lo
                                        ; implicit-def: $sgpr19
                                        ; implicit-def: $sgpr35
                                        ; implicit-def: $sgpr36
	v_cmpx_lt_i32_e32 2, v15
	s_xor_b32 s37, exec_lo, s37
	s_cbranch_execz .LBB17_47
; %bb.36:                               ;   in Loop: Header=BB17_3 Depth=1
	s_mov_b32 s36, -1
	s_mov_b32 s39, 0
	s_mov_b32 s35, exec_lo
                                        ; implicit-def: $sgpr19
                                        ; implicit-def: $sgpr3
	v_cmpx_lt_i32_e32 3, v15
	s_cbranch_execz .LBB17_42
; %bb.37:                               ;   in Loop: Header=BB17_3 Depth=1
	s_mov_b32 s40, 0
	s_mov_b32 s39, -1
	s_mov_b32 s36, exec_lo
                                        ; implicit-def: $sgpr19
                                        ; implicit-def: $sgpr3
	v_cmpx_eq_u32_e32 4, v15
	s_cbranch_execz .LBB17_41
; %bb.38:                               ;   in Loop: Header=BB17_3 Depth=1
	v_cmp_le_f32_e32 vcc_lo, 0, v3
	v_cmp_ge_f32_e64 s3, 1.0, v3
	s_mov_b32 s19, 0
	s_delay_alu instid0(VALU_DEP_1) | instskip(NEXT) | instid1(SALU_CYCLE_1)
	s_and_b32 s39, vcc_lo, s3
	s_and_saveexec_b32 s3, s39
	s_cbranch_execz .LBB17_40
; %bb.39:                               ;   in Loop: Header=BB17_3 Depth=1
	v_cvt_f32_u32_e32 v16, v17
	v_add_co_u32 v12, vcc_lo, s12, v12
	v_add_co_ci_u32_e32 v13, vcc_lo, s13, v13, vcc_lo
	s_delay_alu instid0(VALU_DEP_3) | instskip(SKIP_1) | instid1(VALU_DEP_1)
	v_fmaak_f32 v16, 0x2f800000, v16, 0x2f800000
	s_mov_b32 s40, exec_lo
	v_cmp_le_f32_e32 vcc_lo, v16, v3
	v_cndmask_b32_e64 v3, 0, 1, vcc_lo
	global_store_b8 v[12:13], v3, off
.LBB17_40:                              ;   in Loop: Header=BB17_3 Depth=1
	s_or_b32 exec_lo, exec_lo, s3
	s_mov_b32 s3, -1
	s_xor_b32 s39, exec_lo, -1
	s_and_b32 s40, s40, exec_lo
.LBB17_41:                              ;   in Loop: Header=BB17_3 Depth=1
	s_or_b32 exec_lo, exec_lo, s36
	s_delay_alu instid0(SALU_CYCLE_1)
	s_and_b32 s39, s39, exec_lo
	s_or_not1_b32 s36, s40, exec_lo
.LBB17_42:                              ;   in Loop: Header=BB17_3 Depth=1
	s_or_b32 exec_lo, exec_lo, s35
	s_mov_b32 s40, s19
	s_and_saveexec_b32 s35, s36
	s_cbranch_execz .LBB17_46
; %bb.43:                               ;   in Loop: Header=BB17_3 Depth=1
	v_cndmask_b32_e64 v3, 0, v33, s2
	s_mov_b32 s36, 0
	s_delay_alu instid0(VALU_DEP_1) | instskip(NEXT) | instid1(VALU_DEP_1)
	v_lshlrev_b64 v[12:13], 2, v[3:4]
	v_add_co_u32 v12, vcc_lo, s8, v12
	s_delay_alu instid0(VALU_DEP_2) | instskip(SKIP_4) | instid1(VALU_DEP_1)
	v_add_co_ci_u32_e32 v13, vcc_lo, s9, v13, vcc_lo
	global_load_b32 v3, v[12:13], off
	s_waitcnt vmcnt(0)
	v_cmp_le_f32_e32 vcc_lo, 0, v3
	v_cmp_ge_f32_e64 s2, 1.0, v3
	s_and_b32 s2, vcc_lo, s2
	s_delay_alu instid0(SALU_CYCLE_1) | instskip(NEXT) | instid1(SALU_CYCLE_1)
	s_and_saveexec_b32 s38, s2
	s_xor_b32 s2, exec_lo, s38
	s_cbranch_execz .LBB17_45
; %bb.44:                               ;   in Loop: Header=BB17_3 Depth=1
	v_cvt_f32_u32_e32 v12, v14
	v_add_co_u32 v8, vcc_lo, s12, v8
	v_add_co_ci_u32_e32 v9, vcc_lo, s13, v9, vcc_lo
	s_delay_alu instid0(VALU_DEP_3) | instskip(SKIP_1) | instid1(VALU_DEP_1)
	v_fmaak_f32 v12, 0x2f800000, v12, 0x2f800000
	s_mov_b32 s36, exec_lo
	v_cmp_le_f32_e32 vcc_lo, v12, v3
	v_cndmask_b32_e64 v3, 0, 1, vcc_lo
	global_store_b8 v[8:9], v3, off
.LBB17_45:                              ;   in Loop: Header=BB17_3 Depth=1
	s_or_b32 exec_lo, exec_lo, s2
	s_delay_alu instid0(SALU_CYCLE_1)
	s_and_not1_b32 s40, s19, exec_lo
	s_or_b32 s19, s19, exec_lo
	s_and_not1_b32 s3, s3, exec_lo
	s_and_b32 s38, s36, exec_lo
.LBB17_46:                              ;   in Loop: Header=BB17_3 Depth=1
	s_or_b32 exec_lo, exec_lo, s35
	s_delay_alu instid0(SALU_CYCLE_1)
	s_and_b32 s36, s40, exec_lo
	s_and_b32 s35, s19, exec_lo
	;; [unrolled: 1-line block ×5, first 2 shown]
.LBB17_47:                              ;   in Loop: Header=BB17_3 Depth=1
	s_and_not1_saveexec_b32 s2, s37
; %bb.48:                               ;   in Loop: Header=BB17_3 Depth=1
	v_cmp_lt_i32_e32 vcc_lo, 1, v15
	s_and_not1_b32 s37, s38, exec_lo
	s_mov_b32 s18, exec_lo
	s_and_not1_b32 s36, s36, exec_lo
	s_and_not1_b32 s35, s35, exec_lo
	s_and_b32 s38, vcc_lo, exec_lo
	s_and_not1_b32 s19, s19, exec_lo
	s_or_b32 s38, s37, s38
; %bb.49:                               ;   in Loop: Header=BB17_3 Depth=1
	s_or_b32 exec_lo, exec_lo, s2
	s_mov_b32 s37, 0
	s_mov_b32 s2, s36
	s_and_saveexec_b32 s39, s38
	s_cbranch_execnz .LBB17_52
; %bb.50:                               ;   in Loop: Header=BB17_3 Depth=1
	s_or_b32 exec_lo, exec_lo, s39
	s_and_saveexec_b32 s1, s18
	s_cbranch_execnz .LBB17_55
.LBB17_51:                              ;   in Loop: Header=BB17_3 Depth=1
	s_or_b32 exec_lo, exec_lo, s1
	s_and_saveexec_b32 s1, s37
	s_cbranch_execnz .LBB17_56
	s_branch .LBB17_59
.LBB17_52:                              ;   in Loop: Header=BB17_3 Depth=1
	v_cndmask_b32_e64 v3, 0, v32, s1
	s_delay_alu instid0(VALU_DEP_1) | instskip(NEXT) | instid1(VALU_DEP_1)
	v_lshlrev_b64 v[8:9], 2, v[3:4]
	v_add_co_u32 v8, vcc_lo, s8, v8
	s_delay_alu instid0(VALU_DEP_2) | instskip(SKIP_4) | instid1(VALU_DEP_1)
	v_add_co_ci_u32_e32 v9, vcc_lo, s9, v9, vcc_lo
	global_load_b32 v3, v[8:9], off
	s_waitcnt vmcnt(0)
	v_cmp_le_f32_e32 vcc_lo, 0, v3
	v_cmp_ge_f32_e64 s1, 1.0, v3
	s_and_b32 s1, vcc_lo, s1
	s_delay_alu instid0(SALU_CYCLE_1) | instskip(NEXT) | instid1(SALU_CYCLE_1)
	s_and_saveexec_b32 s2, s1
	s_xor_b32 s1, exec_lo, s2
	s_cbranch_execz .LBB17_54
; %bb.53:                               ;   in Loop: Header=BB17_3 Depth=1
	v_cvt_f32_u32_e32 v8, v11
	v_add_co_u32 v6, vcc_lo, s12, v6
	v_add_co_ci_u32_e32 v7, vcc_lo, s13, v7, vcc_lo
	s_delay_alu instid0(VALU_DEP_3) | instskip(SKIP_1) | instid1(VALU_DEP_1)
	v_fmaak_f32 v8, 0x2f800000, v8, 0x2f800000
	s_mov_b32 s37, exec_lo
	v_cmp_le_f32_e32 vcc_lo, v8, v3
	v_cndmask_b32_e64 v3, 0, 1, vcc_lo
	global_store_b8 v[6:7], v3, off
.LBB17_54:                              ;   in Loop: Header=BB17_3 Depth=1
	s_or_b32 exec_lo, exec_lo, s1
	s_delay_alu instid0(SALU_CYCLE_1)
	s_and_not1_b32 s2, s36, exec_lo
	s_or_b32 s36, s36, exec_lo
	s_and_not1_b32 s35, s35, exec_lo
	s_and_not1_b32 s19, s19, exec_lo
	s_and_b32 s37, s37, exec_lo
	s_and_not1_b32 s18, s18, exec_lo
	s_or_b32 exec_lo, exec_lo, s39
	s_and_saveexec_b32 s1, s18
	s_cbranch_execz .LBB17_51
.LBB17_55:                              ;   in Loop: Header=BB17_3 Depth=1
	v_cmp_eq_u32_e32 vcc_lo, 1, v15
	s_and_not1_b32 s18, s37, exec_lo
	s_and_not1_b32 s2, s2, exec_lo
	;; [unrolled: 1-line block ×4, first 2 shown]
	s_and_b32 s37, vcc_lo, exec_lo
	s_and_not1_b32 s19, s19, exec_lo
	s_or_b32 s3, s3, exec_lo
	s_or_b32 s37, s18, s37
	s_or_b32 exec_lo, exec_lo, s1
	s_and_saveexec_b32 s1, s37
	s_cbranch_execz .LBB17_59
.LBB17_56:                              ;   in Loop: Header=BB17_3 Depth=1
	v_cndmask_b32_e64 v3, 0, v0, s0
	s_mov_b32 s18, 0
	s_delay_alu instid0(VALU_DEP_1) | instskip(NEXT) | instid1(VALU_DEP_1)
	v_lshlrev_b64 v[6:7], 2, v[3:4]
	v_add_co_u32 v6, vcc_lo, s8, v6
	s_delay_alu instid0(VALU_DEP_2) | instskip(SKIP_4) | instid1(VALU_DEP_1)
	v_add_co_ci_u32_e32 v7, vcc_lo, s9, v7, vcc_lo
	global_load_b32 v0, v[6:7], off
	s_waitcnt vmcnt(0)
	v_cmp_le_f32_e32 vcc_lo, 0, v0
	v_cmp_ge_f32_e64 s0, 1.0, v0
	s_and_b32 s37, vcc_lo, s0
	s_delay_alu instid0(SALU_CYCLE_1)
	s_and_saveexec_b32 s0, s37
	s_cbranch_execz .LBB17_58
; %bb.57:                               ;   in Loop: Header=BB17_3 Depth=1
	v_cvt_f32_u32_e32 v3, v10
	s_mov_b32 s18, exec_lo
	s_delay_alu instid0(VALU_DEP_1) | instskip(NEXT) | instid1(VALU_DEP_1)
	v_fmaak_f32 v3, 0x2f800000, v3, 0x2f800000
	v_cmp_le_f32_e32 vcc_lo, v3, v0
	v_cndmask_b32_e64 v0, 0, 1, vcc_lo
	global_store_b8 v5, v0, s[12:13]
.LBB17_58:                              ;   in Loop: Header=BB17_3 Depth=1
	s_or_b32 exec_lo, exec_lo, s0
	s_delay_alu instid0(SALU_CYCLE_1)
	s_and_not1_b32 s0, s3, exec_lo
	s_and_b32 s3, s18, exec_lo
	s_or_b32 s2, s2, exec_lo
	s_and_not1_b32 s36, s36, exec_lo
	s_and_not1_b32 s35, s35, exec_lo
	s_and_not1_b32 s19, s19, exec_lo
	s_or_b32 s3, s0, s3
.LBB17_59:                              ;   in Loop: Header=BB17_3 Depth=1
	s_or_b32 exec_lo, exec_lo, s1
	s_delay_alu instid0(SALU_CYCLE_1)
	s_and_not1_b32 s1, s34, exec_lo
	s_and_b32 s2, s2, exec_lo
	s_and_not1_b32 s18, s31, exec_lo
	s_and_b32 s31, s36, exec_lo
	s_or_b32 s34, s1, s2
	s_or_b32 s31, s18, s31
	s_and_not1_b32 s1, s33, exec_lo
	s_and_b32 s2, s35, exec_lo
	s_and_not1_b32 s18, s30, exec_lo
	s_and_b32 s19, s19, exec_lo
	s_mov_b32 s0, -1
	s_or_b32 s33, s1, s2
	s_or_b32 s30, s18, s19
	s_and_saveexec_b32 s1, s3
	s_cbranch_execz .LBB17_2
; %bb.60:                               ;   in Loop: Header=BB17_3 Depth=1
	v_add_nc_u32_e32 v29, s25, v29
	s_and_not1_b32 s34, s34, exec_lo
	s_and_not1_b32 s31, s31, exec_lo
	;; [unrolled: 1-line block ×4, first 2 shown]
	v_cmp_le_u32_e32 vcc_lo, s20, v29
	s_or_not1_b32 s0, vcc_lo, exec_lo
	s_branch .LBB17_2
.LBB17_61:
	s_or_b32 exec_lo, exec_lo, s15
	s_xor_b32 s3, s28, -1
	s_xor_b32 s4, s29, -1
	;; [unrolled: 1-line block ×3, first 2 shown]
	s_mov_b32 s1, 0
	s_and_saveexec_b32 s2, s0
	s_delay_alu instid0(SALU_CYCLE_1)
	s_xor_b32 s0, exec_lo, s2
	s_cbranch_execz .LBB17_70
; %bb.62:
	s_mov_b32 s2, 0
	s_and_saveexec_b32 s1, s4
	s_delay_alu instid0(SALU_CYCLE_1)
	s_xor_b32 s1, exec_lo, s1
	s_cbranch_execz .LBB17_68
; %bb.63:
	s_and_saveexec_b32 s4, s3
	s_delay_alu instid0(SALU_CYCLE_1)
	s_xor_b32 s3, exec_lo, s4
	s_cbranch_execz .LBB17_66
; %bb.64:
	s_and_saveexec_b32 s4, s14
	s_delay_alu instid0(SALU_CYCLE_1)
	s_xor_b32 s4, exec_lo, s4
	s_cbranch_execnz .LBB17_84
.LBB17_65:
	s_or_b32 exec_lo, exec_lo, s4
	s_delay_alu instid0(SALU_CYCLE_1)
	s_and_b32 s2, s2, exec_lo
.LBB17_66:
	s_and_not1_saveexec_b32 s3, s3
	s_cbranch_execnz .LBB17_80
.LBB17_67:
	s_or_b32 exec_lo, exec_lo, s3
	s_delay_alu instid0(SALU_CYCLE_1)
	s_and_b32 s2, s2, exec_lo
.LBB17_68:
	s_and_not1_saveexec_b32 s1, s1
	s_cbranch_execnz .LBB17_76
.LBB17_69:
	s_or_b32 exec_lo, exec_lo, s1
	s_delay_alu instid0(SALU_CYCLE_1)
	s_and_b32 s1, s2, exec_lo
.LBB17_70:
	s_and_not1_saveexec_b32 s0, s0
	s_cbranch_execnz .LBB17_74
; %bb.71:
	s_or_b32 exec_lo, exec_lo, s0
	s_delay_alu instid0(SALU_CYCLE_1)
	s_and_b32 exec_lo, exec_lo, s1
.LBB17_72:
	; divergent unreachable
.LBB17_73:
	s_nop 0
	s_sendmsg sendmsg(MSG_DEALLOC_VGPRS)
	s_endpgm
.LBB17_74:
	s_cbranch_execnz .LBB17_78
; %bb.75:
	s_or_b32 s1, s1, exec_lo
	s_or_b32 exec_lo, exec_lo, s0
	s_delay_alu instid0(SALU_CYCLE_1)
	s_and_b32 exec_lo, exec_lo, s1
	s_cbranch_execnz .LBB17_72
	s_branch .LBB17_73
.LBB17_76:
	s_cbranch_execnz .LBB17_82
; %bb.77:
	s_or_b32 s2, s2, exec_lo
	s_branch .LBB17_69
.LBB17_78:
	s_trap 2
	s_sendmsg_rtn_b32 s0, sendmsg(MSG_RTN_GET_DOORBELL)
	s_mov_b32 ttmp2, m0
	s_waitcnt lgkmcnt(0)
	s_and_b32 s0, s0, 0x3ff
	s_delay_alu instid0(SALU_CYCLE_1) | instskip(NEXT) | instid1(SALU_CYCLE_1)
	s_bitset1_b32 s0, 10
	s_mov_b32 m0, s0
	s_sendmsg sendmsg(MSG_INTERRUPT)
	s_mov_b32 m0, ttmp2
.LBB17_79:                              ; =>This Inner Loop Header: Depth=1
	s_sethalt 5
	s_branch .LBB17_79
.LBB17_80:
	s_cbranch_execnz .LBB17_86
; %bb.81:
	s_or_b32 s2, s2, exec_lo
	s_branch .LBB17_67
.LBB17_82:
	s_trap 2
	s_sendmsg_rtn_b32 s0, sendmsg(MSG_RTN_GET_DOORBELL)
	s_mov_b32 ttmp2, m0
	s_waitcnt lgkmcnt(0)
	s_and_b32 s0, s0, 0x3ff
	s_delay_alu instid0(SALU_CYCLE_1) | instskip(NEXT) | instid1(SALU_CYCLE_1)
	s_bitset1_b32 s0, 10
	s_mov_b32 m0, s0
	s_sendmsg sendmsg(MSG_INTERRUPT)
	s_mov_b32 m0, ttmp2
.LBB17_83:                              ; =>This Inner Loop Header: Depth=1
	s_sethalt 5
	s_branch .LBB17_83
.LBB17_84:
	s_cbranch_execnz .LBB17_88
; %bb.85:
	s_mov_b32 s2, exec_lo
	s_branch .LBB17_65
.LBB17_86:
	s_trap 2
	s_sendmsg_rtn_b32 s0, sendmsg(MSG_RTN_GET_DOORBELL)
	s_mov_b32 ttmp2, m0
	s_waitcnt lgkmcnt(0)
	s_and_b32 s0, s0, 0x3ff
	s_delay_alu instid0(SALU_CYCLE_1) | instskip(NEXT) | instid1(SALU_CYCLE_1)
	s_bitset1_b32 s0, 10
	s_mov_b32 m0, s0
	s_sendmsg sendmsg(MSG_INTERRUPT)
	s_mov_b32 m0, ttmp2
.LBB17_87:                              ; =>This Inner Loop Header: Depth=1
	s_sethalt 5
	s_branch .LBB17_87
.LBB17_88:
	s_trap 2
	s_sendmsg_rtn_b32 s0, sendmsg(MSG_RTN_GET_DOORBELL)
	s_mov_b32 ttmp2, m0
	s_waitcnt lgkmcnt(0)
	s_and_b32 s0, s0, 0x3ff
	s_delay_alu instid0(SALU_CYCLE_1) | instskip(NEXT) | instid1(SALU_CYCLE_1)
	s_bitset1_b32 s0, 10
	s_mov_b32 m0, s0
	s_sendmsg sendmsg(MSG_INTERRUPT)
	s_mov_b32 m0, ttmp2
.LBB17_89:                              ; =>This Inner Loop Header: Depth=1
	s_sethalt 5
	s_branch .LBB17_89
	.section	.rodata,"a",@progbits
	.p2align	6, 0x0
	.amdhsa_kernel _ZN2at4cuda12_GLOBAL__N_121kernelPointwiseApply2IZNS_6native9templates4cuda28bernoulli_tensor_cuda_kernelIhfEEvRKNS_10TensorBaseES9_NS_15PhiloxCudaStateEEUliRhSB_SB_SB_RKfSD_SD_SD_E_hSC_jLin1ELi1ELi4ELi512ELi2EEEvNS0_6detail10TensorInfoIT0_T2_EENSG_IT1_SI_EESI_T_
		.amdhsa_group_segment_fixed_size 0
		.amdhsa_private_segment_fixed_size 0
		.amdhsa_kernarg_size 728
		.amdhsa_user_sgpr_count 15
		.amdhsa_user_sgpr_dispatch_ptr 0
		.amdhsa_user_sgpr_queue_ptr 0
		.amdhsa_user_sgpr_kernarg_segment_ptr 1
		.amdhsa_user_sgpr_dispatch_id 0
		.amdhsa_user_sgpr_private_segment_size 0
		.amdhsa_wavefront_size32 1
		.amdhsa_uses_dynamic_stack 0
		.amdhsa_enable_private_segment 0
		.amdhsa_system_sgpr_workgroup_id_x 1
		.amdhsa_system_sgpr_workgroup_id_y 0
		.amdhsa_system_sgpr_workgroup_id_z 0
		.amdhsa_system_sgpr_workgroup_info 0
		.amdhsa_system_vgpr_workitem_id 0
		.amdhsa_next_free_vgpr 41
		.amdhsa_next_free_sgpr 41
		.amdhsa_reserve_vcc 1
		.amdhsa_float_round_mode_32 0
		.amdhsa_float_round_mode_16_64 0
		.amdhsa_float_denorm_mode_32 3
		.amdhsa_float_denorm_mode_16_64 3
		.amdhsa_dx10_clamp 1
		.amdhsa_ieee_mode 1
		.amdhsa_fp16_overflow 0
		.amdhsa_workgroup_processor_mode 1
		.amdhsa_memory_ordered 1
		.amdhsa_forward_progress 0
		.amdhsa_shared_vgpr_count 0
		.amdhsa_exception_fp_ieee_invalid_op 0
		.amdhsa_exception_fp_denorm_src 0
		.amdhsa_exception_fp_ieee_div_zero 0
		.amdhsa_exception_fp_ieee_overflow 0
		.amdhsa_exception_fp_ieee_underflow 0
		.amdhsa_exception_fp_ieee_inexact 0
		.amdhsa_exception_int_div_zero 0
	.end_amdhsa_kernel
	.section	.text._ZN2at4cuda12_GLOBAL__N_121kernelPointwiseApply2IZNS_6native9templates4cuda28bernoulli_tensor_cuda_kernelIhfEEvRKNS_10TensorBaseES9_NS_15PhiloxCudaStateEEUliRhSB_SB_SB_RKfSD_SD_SD_E_hSC_jLin1ELi1ELi4ELi512ELi2EEEvNS0_6detail10TensorInfoIT0_T2_EENSG_IT1_SI_EESI_T_,"axG",@progbits,_ZN2at4cuda12_GLOBAL__N_121kernelPointwiseApply2IZNS_6native9templates4cuda28bernoulli_tensor_cuda_kernelIhfEEvRKNS_10TensorBaseES9_NS_15PhiloxCudaStateEEUliRhSB_SB_SB_RKfSD_SD_SD_E_hSC_jLin1ELi1ELi4ELi512ELi2EEEvNS0_6detail10TensorInfoIT0_T2_EENSG_IT1_SI_EESI_T_,comdat
.Lfunc_end17:
	.size	_ZN2at4cuda12_GLOBAL__N_121kernelPointwiseApply2IZNS_6native9templates4cuda28bernoulli_tensor_cuda_kernelIhfEEvRKNS_10TensorBaseES9_NS_15PhiloxCudaStateEEUliRhSB_SB_SB_RKfSD_SD_SD_E_hSC_jLin1ELi1ELi4ELi512ELi2EEEvNS0_6detail10TensorInfoIT0_T2_EENSG_IT1_SI_EESI_T_, .Lfunc_end17-_ZN2at4cuda12_GLOBAL__N_121kernelPointwiseApply2IZNS_6native9templates4cuda28bernoulli_tensor_cuda_kernelIhfEEvRKNS_10TensorBaseES9_NS_15PhiloxCudaStateEEUliRhSB_SB_SB_RKfSD_SD_SD_E_hSC_jLin1ELi1ELi4ELi512ELi2EEEvNS0_6detail10TensorInfoIT0_T2_EENSG_IT1_SI_EESI_T_
                                        ; -- End function
	.section	.AMDGPU.csdata,"",@progbits
; Kernel info:
; codeLenInByte = 4216
; NumSgprs: 43
; NumVgprs: 41
; ScratchSize: 0
; MemoryBound: 0
; FloatMode: 240
; IeeeMode: 1
; LDSByteSize: 0 bytes/workgroup (compile time only)
; SGPRBlocks: 5
; VGPRBlocks: 5
; NumSGPRsForWavesPerEU: 43
; NumVGPRsForWavesPerEU: 41
; Occupancy: 16
; WaveLimiterHint : 1
; COMPUTE_PGM_RSRC2:SCRATCH_EN: 0
; COMPUTE_PGM_RSRC2:USER_SGPR: 15
; COMPUTE_PGM_RSRC2:TRAP_HANDLER: 0
; COMPUTE_PGM_RSRC2:TGID_X_EN: 1
; COMPUTE_PGM_RSRC2:TGID_Y_EN: 0
; COMPUTE_PGM_RSRC2:TGID_Z_EN: 0
; COMPUTE_PGM_RSRC2:TIDIG_COMP_CNT: 0
	.section	.text._ZN2at4cuda12_GLOBAL__N_121kernelPointwiseApply2IZNS_6native9templates4cuda28bernoulli_tensor_cuda_kernelIhfEEvRKNS_10TensorBaseES9_NS_15PhiloxCudaStateEEUliRhSB_SB_SB_RKfSD_SD_SD_E_hSC_jLin1ELi2ELi4ELi512ELi2EEEvNS0_6detail10TensorInfoIT0_T2_EENSG_IT1_SI_EESI_T_,"axG",@progbits,_ZN2at4cuda12_GLOBAL__N_121kernelPointwiseApply2IZNS_6native9templates4cuda28bernoulli_tensor_cuda_kernelIhfEEvRKNS_10TensorBaseES9_NS_15PhiloxCudaStateEEUliRhSB_SB_SB_RKfSD_SD_SD_E_hSC_jLin1ELi2ELi4ELi512ELi2EEEvNS0_6detail10TensorInfoIT0_T2_EENSG_IT1_SI_EESI_T_,comdat
	.globl	_ZN2at4cuda12_GLOBAL__N_121kernelPointwiseApply2IZNS_6native9templates4cuda28bernoulli_tensor_cuda_kernelIhfEEvRKNS_10TensorBaseES9_NS_15PhiloxCudaStateEEUliRhSB_SB_SB_RKfSD_SD_SD_E_hSC_jLin1ELi2ELi4ELi512ELi2EEEvNS0_6detail10TensorInfoIT0_T2_EENSG_IT1_SI_EESI_T_ ; -- Begin function _ZN2at4cuda12_GLOBAL__N_121kernelPointwiseApply2IZNS_6native9templates4cuda28bernoulli_tensor_cuda_kernelIhfEEvRKNS_10TensorBaseES9_NS_15PhiloxCudaStateEEUliRhSB_SB_SB_RKfSD_SD_SD_E_hSC_jLin1ELi2ELi4ELi512ELi2EEEvNS0_6detail10TensorInfoIT0_T2_EENSG_IT1_SI_EESI_T_
	.p2align	8
	.type	_ZN2at4cuda12_GLOBAL__N_121kernelPointwiseApply2IZNS_6native9templates4cuda28bernoulli_tensor_cuda_kernelIhfEEvRKNS_10TensorBaseES9_NS_15PhiloxCudaStateEEUliRhSB_SB_SB_RKfSD_SD_SD_E_hSC_jLin1ELi2ELi4ELi512ELi2EEEvNS0_6detail10TensorInfoIT0_T2_EENSG_IT1_SI_EESI_T_,@function
_ZN2at4cuda12_GLOBAL__N_121kernelPointwiseApply2IZNS_6native9templates4cuda28bernoulli_tensor_cuda_kernelIhfEEvRKNS_10TensorBaseES9_NS_15PhiloxCudaStateEEUliRhSB_SB_SB_RKfSD_SD_SD_E_hSC_jLin1ELi2ELi4ELi512ELi2EEEvNS0_6detail10TensorInfoIT0_T2_EENSG_IT1_SI_EESI_T_: ; @_ZN2at4cuda12_GLOBAL__N_121kernelPointwiseApply2IZNS_6native9templates4cuda28bernoulli_tensor_cuda_kernelIhfEEvRKNS_10TensorBaseES9_NS_15PhiloxCudaStateEEUliRhSB_SB_SB_RKfSD_SD_SD_E_hSC_jLin1ELi2ELi4ELi512ELi2EEEvNS0_6detail10TensorInfoIT0_T2_EENSG_IT1_SI_EESI_T_
; %bb.0:
	s_clause 0x1
	s_load_b32 s2, s[0:1], 0x1e4
	s_load_b32 s20, s[0:1], 0x1b0
	s_add_u32 s4, s0, 0x1d8
	s_addc_u32 s5, s1, 0
	s_waitcnt lgkmcnt(0)
	s_and_b32 s12, s2, 0xffff
	s_mov_b32 s2, exec_lo
	v_mad_u64_u32 v[1:2], null, s15, s12, v[0:1]
	s_delay_alu instid0(VALU_DEP_1) | instskip(NEXT) | instid1(VALU_DEP_1)
	v_lshlrev_b32_e32 v32, 2, v1
	v_cmpx_gt_u32_e64 s20, v32
	s_cbranch_execz .LBB18_81
; %bb.1:
	s_clause 0x3
	s_load_b32 s21, s[0:1], 0xe4
	s_load_b32 s18, s[0:1], 0xd0
	s_load_b64 s[2:3], s[0:1], 0x144
	s_load_b32 s6, s[0:1], 0x1d0
	v_mad_u64_u32 v[2:3], null, 0xcd9e8d57, v1, 0
	s_load_b32 s16, s[4:5], 0x0
	s_clause 0x2
	s_load_b32 s22, s[0:1], 0x6c
	s_load_b64 s[8:9], s[0:1], 0xd8
	s_load_b64 s[14:15], s[0:1], 0x0
	v_mov_b32_e32 v4, 0
                                        ; implicit-def: $sgpr26
                                        ; implicit-def: $sgpr28
                                        ; implicit-def: $sgpr27
                                        ; implicit-def: $sgpr29
                                        ; implicit-def: $sgpr31
                                        ; implicit-def: $sgpr30
                                        ; implicit-def: $sgpr33
	s_delay_alu instid0(VALU_DEP_2)
	v_mov_b32_e32 v33, v3
	s_waitcnt lgkmcnt(0)
	v_cvt_f32_u32_e32 v0, s21
	s_cmp_gt_i32 s18, 1
	s_cselect_b32 s23, -1, 0
	s_bitcmp1_b32 s6, 0
	s_delay_alu instid0(VALU_DEP_1)
	v_rcp_iflag_f32_e32 v0, v0
	s_cselect_b32 s24, -1, 0
	s_sub_i32 s13, 0, s21
	s_clause 0x1
	s_load_b64 s[10:11], s[0:1], 0x1c8
	s_load_b128 s[4:7], s[0:1], 0x1b8
	s_mul_i32 s16, s16, s12
	s_add_i32 s12, s18, -1
	s_lshl_b32 s25, s16, 2
	s_waitcnt_depctr 0xfff
	v_mul_f32_e32 v0, 0x4f7ffffe, v0
	s_delay_alu instid0(VALU_DEP_1) | instskip(NEXT) | instid1(VALU_DEP_1)
	v_cvt_u32_f32_e32 v0, v0
	v_mul_lo_u32 v5, s13, v0
	s_mov_b32 s13, 0
	s_delay_alu instid0(SALU_CYCLE_1) | instskip(SKIP_4) | instid1(VALU_DEP_1)
	s_lshl_b64 s[16:17], s[12:13], 2
	s_add_i32 s12, s18, 1
	s_add_u32 s0, s16, s0
	s_addc_u32 s1, s17, s1
	s_add_u32 s16, s0, 8
	v_mul_hi_u32 v5, v0, v5
	s_addc_u32 s17, s1, 0
                                        ; implicit-def: $sgpr1
	s_delay_alu instid0(VALU_DEP_1)
	v_add_nc_u32_e32 v34, v0, v5
	s_branch .LBB18_3
.LBB18_2:                               ;   in Loop: Header=BB18_3 Depth=1
	s_or_b32 exec_lo, exec_lo, s18
	s_delay_alu instid0(SALU_CYCLE_1) | instskip(NEXT) | instid1(SALU_CYCLE_1)
	s_and_b32 s0, exec_lo, s0
	s_or_b32 s13, s0, s13
	s_and_not1_b32 s0, s1, exec_lo
	s_and_b32 s1, s33, exec_lo
	s_and_not1_b32 s18, s27, exec_lo
	s_and_b32 s19, s30, exec_lo
	s_or_b32 s1, s0, s1
	s_or_b32 s27, s18, s19
	s_and_not1_b32 s0, s28, exec_lo
	s_and_b32 s18, s31, exec_lo
	s_and_not1_b32 s19, s26, exec_lo
	s_and_b32 s26, s29, exec_lo
	s_or_b32 s28, s0, s18
	s_or_b32 s26, s19, s26
	s_and_not1_b32 exec_lo, exec_lo, s13
	s_cbranch_execz .LBB18_69
.LBB18_3:                               ; =>This Loop Header: Depth=1
                                        ;     Child Loop BB18_6 Depth 2
                                        ;     Child Loop BB18_13 Depth 2
	;; [unrolled: 1-line block ×4, first 2 shown]
	v_sub_nc_u32_e32 v35, s20, v32
	v_mov_b32_e32 v5, 0
	s_delay_alu instid0(VALU_DEP_2) | instskip(NEXT) | instid1(VALU_DEP_1)
	v_cmp_lt_i32_e64 s0, 0, v35
	s_and_saveexec_b32 s34, s0
	s_cbranch_execz .LBB18_8
; %bb.4:                                ;   in Loop: Header=BB18_3 Depth=1
	v_dual_mov_b32 v0, 0 :: v_dual_mov_b32 v3, v32
	s_and_not1_b32 vcc_lo, exec_lo, s23
	s_cbranch_vccnz .LBB18_7
; %bb.5:                                ;   in Loop: Header=BB18_3 Depth=1
	v_dual_mov_b32 v0, 0 :: v_dual_mov_b32 v3, v32
	s_mov_b64 s[18:19], s[16:17]
	s_mov_b32 s35, s12
	s_set_inst_prefetch_distance 0x1
	.p2align	6
.LBB18_6:                               ;   Parent Loop BB18_3 Depth=1
                                        ; =>  This Inner Loop Header: Depth=2
	s_clause 0x1
	s_load_b32 s36, s[18:19], 0x0
	s_load_b32 s37, s[18:19], 0x64
	v_mov_b32_e32 v7, v3
	s_add_i32 s35, s35, -1
	s_waitcnt lgkmcnt(0)
	v_cvt_f32_u32_e32 v5, s36
	s_sub_i32 s38, 0, s36
	s_add_u32 s18, s18, -4
	s_addc_u32 s19, s19, -1
	s_cmp_gt_u32 s35, 2
	v_rcp_iflag_f32_e32 v5, v5
	s_waitcnt_depctr 0xfff
	v_mul_f32_e32 v5, 0x4f7ffffe, v5
	s_delay_alu instid0(VALU_DEP_1) | instskip(NEXT) | instid1(VALU_DEP_1)
	v_cvt_u32_f32_e32 v5, v5
	v_mul_lo_u32 v6, s38, v5
	s_delay_alu instid0(VALU_DEP_1) | instskip(NEXT) | instid1(VALU_DEP_1)
	v_mul_hi_u32 v6, v5, v6
	v_add_nc_u32_e32 v3, v5, v6
	s_delay_alu instid0(VALU_DEP_1) | instskip(NEXT) | instid1(VALU_DEP_1)
	v_mul_hi_u32 v3, v7, v3
	v_add_nc_u32_e32 v6, 1, v3
	v_mul_lo_u32 v5, v3, s36
	s_delay_alu instid0(VALU_DEP_1) | instskip(NEXT) | instid1(VALU_DEP_1)
	v_sub_nc_u32_e32 v5, v7, v5
	v_subrev_nc_u32_e32 v8, s36, v5
	v_cmp_le_u32_e32 vcc_lo, s36, v5
	v_cndmask_b32_e32 v3, v3, v6, vcc_lo
	s_delay_alu instid0(VALU_DEP_1) | instskip(NEXT) | instid1(VALU_DEP_1)
	v_dual_cndmask_b32 v5, v5, v8 :: v_dual_add_nc_u32 v6, 1, v3
	v_cmp_le_u32_e32 vcc_lo, s36, v5
	s_delay_alu instid0(VALU_DEP_2) | instskip(NEXT) | instid1(VALU_DEP_1)
	v_cndmask_b32_e32 v3, v3, v6, vcc_lo
	v_mul_lo_u32 v5, v3, s36
	s_delay_alu instid0(VALU_DEP_1) | instskip(NEXT) | instid1(VALU_DEP_1)
	v_sub_nc_u32_e32 v7, v7, v5
	v_mad_u64_u32 v[5:6], null, s37, v7, v[0:1]
	s_delay_alu instid0(VALU_DEP_1)
	v_mov_b32_e32 v0, v5
	s_cbranch_scc1 .LBB18_6
.LBB18_7:                               ;   in Loop: Header=BB18_3 Depth=1
	s_set_inst_prefetch_distance 0x2
	s_delay_alu instid0(VALU_DEP_1)
	v_mad_u64_u32 v[5:6], null, s22, v3, v[0:1]
.LBB18_8:                               ;   in Loop: Header=BB18_3 Depth=1
	s_or_b32 exec_lo, exec_lo, s34
	v_mov_b32_e32 v8, 0
	v_mov_b32_e32 v6, 0
	s_and_saveexec_b32 s18, s0
	s_cbranch_execz .LBB18_10
; %bb.9:                                ;   in Loop: Header=BB18_3 Depth=1
	v_mul_hi_u32 v0, v32, v34
	s_delay_alu instid0(VALU_DEP_1) | instskip(NEXT) | instid1(VALU_DEP_1)
	v_mul_lo_u32 v3, v0, s21
	v_sub_nc_u32_e32 v3, v32, v3
	s_delay_alu instid0(VALU_DEP_1) | instskip(SKIP_1) | instid1(VALU_DEP_2)
	v_subrev_nc_u32_e32 v7, s21, v3
	v_cmp_le_u32_e32 vcc_lo, s21, v3
	v_dual_cndmask_b32 v3, v3, v7 :: v_dual_add_nc_u32 v6, 1, v0
	s_delay_alu instid0(VALU_DEP_1) | instskip(NEXT) | instid1(VALU_DEP_2)
	v_cndmask_b32_e32 v0, v0, v6, vcc_lo
	v_cmp_le_u32_e32 vcc_lo, s21, v3
	s_delay_alu instid0(VALU_DEP_2) | instskip(NEXT) | instid1(VALU_DEP_1)
	v_add_nc_u32_e32 v6, 1, v0
	v_cndmask_b32_e32 v3, v0, v6, vcc_lo
	s_delay_alu instid0(VALU_DEP_1) | instskip(NEXT) | instid1(VALU_DEP_1)
	v_mul_lo_u32 v0, v3, s21
	v_sub_nc_u32_e32 v0, v32, v0
	s_delay_alu instid0(VALU_DEP_1) | instskip(NEXT) | instid1(VALU_DEP_1)
	v_mul_lo_u32 v0, v0, s3
	v_mad_u64_u32 v[6:7], null, v3, s2, v[0:1]
.LBB18_10:                              ;   in Loop: Header=BB18_3 Depth=1
	s_or_b32 exec_lo, exec_lo, s18
	v_or_b32_e32 v7, 1, v32
	v_cmp_lt_i32_e64 s0, 1, v35
	s_delay_alu instid0(VALU_DEP_1)
	s_and_saveexec_b32 s34, s0
	s_cbranch_execz .LBB18_15
; %bb.11:                               ;   in Loop: Header=BB18_3 Depth=1
	s_delay_alu instid0(VALU_DEP_2)
	v_dual_mov_b32 v0, 0 :: v_dual_mov_b32 v3, v7
	s_and_not1_b32 vcc_lo, exec_lo, s23
	s_cbranch_vccnz .LBB18_14
; %bb.12:                               ;   in Loop: Header=BB18_3 Depth=1
	v_dual_mov_b32 v0, 0 :: v_dual_mov_b32 v3, v7
	s_mov_b64 s[18:19], s[16:17]
	s_mov_b32 s35, s12
	s_set_inst_prefetch_distance 0x1
	.p2align	6
.LBB18_13:                              ;   Parent Loop BB18_3 Depth=1
                                        ; =>  This Inner Loop Header: Depth=2
	s_clause 0x1
	s_load_b32 s36, s[18:19], 0x0
	s_load_b32 s37, s[18:19], 0x64
	s_add_i32 s35, s35, -1
	s_waitcnt lgkmcnt(0)
	v_cvt_f32_u32_e32 v8, s36
	s_sub_i32 s38, 0, s36
	s_add_u32 s18, s18, -4
	s_addc_u32 s19, s19, -1
	s_cmp_gt_u32 s35, 2
	v_rcp_iflag_f32_e32 v8, v8
	s_waitcnt_depctr 0xfff
	v_mul_f32_e32 v8, 0x4f7ffffe, v8
	s_delay_alu instid0(VALU_DEP_1) | instskip(NEXT) | instid1(VALU_DEP_1)
	v_cvt_u32_f32_e32 v8, v8
	v_mul_lo_u32 v9, s38, v8
	s_delay_alu instid0(VALU_DEP_1) | instskip(NEXT) | instid1(VALU_DEP_1)
	v_mul_hi_u32 v9, v8, v9
	v_dual_mov_b32 v10, v3 :: v_dual_add_nc_u32 v3, v8, v9
	s_delay_alu instid0(VALU_DEP_1) | instskip(NEXT) | instid1(VALU_DEP_1)
	v_mul_hi_u32 v3, v10, v3
	v_mul_lo_u32 v8, v3, s36
	v_add_nc_u32_e32 v9, 1, v3
	s_delay_alu instid0(VALU_DEP_2) | instskip(NEXT) | instid1(VALU_DEP_1)
	v_sub_nc_u32_e32 v8, v10, v8
	v_subrev_nc_u32_e32 v11, s36, v8
	v_cmp_le_u32_e32 vcc_lo, s36, v8
	s_delay_alu instid0(VALU_DEP_2) | instskip(NEXT) | instid1(VALU_DEP_1)
	v_dual_cndmask_b32 v3, v3, v9 :: v_dual_cndmask_b32 v8, v8, v11
	v_add_nc_u32_e32 v9, 1, v3
	s_delay_alu instid0(VALU_DEP_2) | instskip(NEXT) | instid1(VALU_DEP_2)
	v_cmp_le_u32_e32 vcc_lo, s36, v8
	v_cndmask_b32_e32 v3, v3, v9, vcc_lo
	s_delay_alu instid0(VALU_DEP_1) | instskip(NEXT) | instid1(VALU_DEP_1)
	v_mul_lo_u32 v8, v3, s36
	v_sub_nc_u32_e32 v10, v10, v8
	s_delay_alu instid0(VALU_DEP_1) | instskip(NEXT) | instid1(VALU_DEP_1)
	v_mad_u64_u32 v[8:9], null, s37, v10, v[0:1]
	v_mov_b32_e32 v0, v8
	s_cbranch_scc1 .LBB18_13
.LBB18_14:                              ;   in Loop: Header=BB18_3 Depth=1
	s_set_inst_prefetch_distance 0x2
	s_delay_alu instid0(VALU_DEP_1)
	v_mad_u64_u32 v[8:9], null, s22, v3, v[0:1]
.LBB18_15:                              ;   in Loop: Header=BB18_3 Depth=1
	s_or_b32 exec_lo, exec_lo, s34
	v_mov_b32_e32 v3, 0
	s_and_saveexec_b32 s18, s0
	s_cbranch_execz .LBB18_17
; %bb.16:                               ;   in Loop: Header=BB18_3 Depth=1
	v_mul_hi_u32 v0, v7, v34
	s_delay_alu instid0(VALU_DEP_1) | instskip(SKIP_1) | instid1(VALU_DEP_2)
	v_mul_lo_u32 v3, v0, s21
	v_add_nc_u32_e32 v9, 1, v0
	v_sub_nc_u32_e32 v3, v7, v3
	s_delay_alu instid0(VALU_DEP_1) | instskip(SKIP_1) | instid1(VALU_DEP_2)
	v_subrev_nc_u32_e32 v10, s21, v3
	v_cmp_le_u32_e32 vcc_lo, s21, v3
	v_dual_cndmask_b32 v0, v0, v9 :: v_dual_cndmask_b32 v3, v3, v10
	s_delay_alu instid0(VALU_DEP_1) | instskip(NEXT) | instid1(VALU_DEP_2)
	v_add_nc_u32_e32 v9, 1, v0
	v_cmp_le_u32_e32 vcc_lo, s21, v3
	s_delay_alu instid0(VALU_DEP_2) | instskip(NEXT) | instid1(VALU_DEP_1)
	v_cndmask_b32_e32 v3, v0, v9, vcc_lo
	v_mul_lo_u32 v0, v3, s21
	s_delay_alu instid0(VALU_DEP_1) | instskip(NEXT) | instid1(VALU_DEP_1)
	v_sub_nc_u32_e32 v0, v7, v0
	v_mul_lo_u32 v0, v0, s3
	s_delay_alu instid0(VALU_DEP_1) | instskip(NEXT) | instid1(VALU_DEP_1)
	v_mad_u64_u32 v[9:10], null, v3, s2, v[0:1]
	v_mov_b32_e32 v3, v9
.LBB18_17:                              ;   in Loop: Header=BB18_3 Depth=1
	s_or_b32 exec_lo, exec_lo, s18
	v_mov_b32_e32 v9, 0
	v_or_b32_e32 v7, 2, v32
	v_mov_b32_e32 v10, 0
	v_cmp_lt_i32_e64 s0, 2, v35
	s_delay_alu instid0(VALU_DEP_1)
	s_and_saveexec_b32 s34, s0
	s_cbranch_execz .LBB18_22
; %bb.18:                               ;   in Loop: Header=BB18_3 Depth=1
	v_dual_mov_b32 v0, 0 :: v_dual_mov_b32 v11, v7
	s_and_not1_b32 vcc_lo, exec_lo, s23
	s_cbranch_vccnz .LBB18_21
; %bb.19:                               ;   in Loop: Header=BB18_3 Depth=1
	v_dual_mov_b32 v0, 0 :: v_dual_mov_b32 v11, v7
	s_mov_b64 s[18:19], s[16:17]
	s_mov_b32 s35, s12
	s_set_inst_prefetch_distance 0x1
	.p2align	6
.LBB18_20:                              ;   Parent Loop BB18_3 Depth=1
                                        ; =>  This Inner Loop Header: Depth=2
	s_clause 0x1
	s_load_b32 s36, s[18:19], 0x0
	s_load_b32 s37, s[18:19], 0x64
	s_add_i32 s35, s35, -1
	v_mov_b32_e32 v12, v11
	s_waitcnt lgkmcnt(0)
	v_cvt_f32_u32_e32 v9, s36
	s_sub_i32 s38, 0, s36
	s_add_u32 s18, s18, -4
	s_addc_u32 s19, s19, -1
	s_cmp_gt_u32 s35, 2
	v_rcp_iflag_f32_e32 v9, v9
	s_waitcnt_depctr 0xfff
	v_mul_f32_e32 v9, 0x4f7ffffe, v9
	s_delay_alu instid0(VALU_DEP_1) | instskip(NEXT) | instid1(VALU_DEP_1)
	v_cvt_u32_f32_e32 v9, v9
	v_mul_lo_u32 v10, s38, v9
	s_delay_alu instid0(VALU_DEP_1) | instskip(NEXT) | instid1(VALU_DEP_1)
	v_mul_hi_u32 v10, v9, v10
	v_add_nc_u32_e32 v9, v9, v10
	s_delay_alu instid0(VALU_DEP_1) | instskip(NEXT) | instid1(VALU_DEP_1)
	v_mul_hi_u32 v9, v12, v9
	v_mul_lo_u32 v10, v9, s36
	v_add_nc_u32_e32 v11, 1, v9
	s_delay_alu instid0(VALU_DEP_2) | instskip(NEXT) | instid1(VALU_DEP_1)
	v_sub_nc_u32_e32 v10, v12, v10
	v_subrev_nc_u32_e32 v13, s36, v10
	v_cmp_le_u32_e32 vcc_lo, s36, v10
	s_delay_alu instid0(VALU_DEP_2) | instskip(NEXT) | instid1(VALU_DEP_1)
	v_dual_cndmask_b32 v9, v9, v11 :: v_dual_cndmask_b32 v10, v10, v13
	v_add_nc_u32_e32 v11, 1, v9
	s_delay_alu instid0(VALU_DEP_2) | instskip(NEXT) | instid1(VALU_DEP_2)
	v_cmp_le_u32_e32 vcc_lo, s36, v10
	v_cndmask_b32_e32 v11, v9, v11, vcc_lo
	s_delay_alu instid0(VALU_DEP_1) | instskip(NEXT) | instid1(VALU_DEP_1)
	v_mul_lo_u32 v9, v11, s36
	v_sub_nc_u32_e32 v12, v12, v9
	s_delay_alu instid0(VALU_DEP_1) | instskip(NEXT) | instid1(VALU_DEP_1)
	v_mad_u64_u32 v[9:10], null, s37, v12, v[0:1]
	v_mov_b32_e32 v0, v9
	s_cbranch_scc1 .LBB18_20
.LBB18_21:                              ;   in Loop: Header=BB18_3 Depth=1
	s_set_inst_prefetch_distance 0x2
	s_delay_alu instid0(VALU_DEP_1)
	v_mad_u64_u32 v[9:10], null, s22, v11, v[0:1]
	v_mov_b32_e32 v10, v4
.LBB18_22:                              ;   in Loop: Header=BB18_3 Depth=1
	s_or_b32 exec_lo, exec_lo, s34
	v_mov_b32_e32 v15, 0
	v_mov_b32_e32 v16, 0
	s_delay_alu instid0(VALU_DEP_1)
	v_dual_mov_b32 v11, v15 :: v_dual_mov_b32 v12, v16
	s_and_saveexec_b32 s18, s0
	s_cbranch_execz .LBB18_24
; %bb.23:                               ;   in Loop: Header=BB18_3 Depth=1
	v_mul_hi_u32 v0, v7, v34
	s_delay_alu instid0(VALU_DEP_1) | instskip(NEXT) | instid1(VALU_DEP_1)
	v_mul_lo_u32 v11, v0, s21
	v_sub_nc_u32_e32 v11, v7, v11
	s_delay_alu instid0(VALU_DEP_1) | instskip(SKIP_1) | instid1(VALU_DEP_2)
	v_subrev_nc_u32_e32 v13, s21, v11
	v_cmp_le_u32_e32 vcc_lo, s21, v11
	v_dual_cndmask_b32 v11, v11, v13 :: v_dual_add_nc_u32 v12, 1, v0
	s_delay_alu instid0(VALU_DEP_1) | instskip(NEXT) | instid1(VALU_DEP_2)
	v_cndmask_b32_e32 v0, v0, v12, vcc_lo
	v_cmp_le_u32_e32 vcc_lo, s21, v11
	s_delay_alu instid0(VALU_DEP_2) | instskip(NEXT) | instid1(VALU_DEP_1)
	v_add_nc_u32_e32 v12, 1, v0
	v_cndmask_b32_e32 v13, v0, v12, vcc_lo
	s_delay_alu instid0(VALU_DEP_1) | instskip(NEXT) | instid1(VALU_DEP_1)
	v_mul_lo_u32 v0, v13, s21
	v_sub_nc_u32_e32 v0, v7, v0
	s_delay_alu instid0(VALU_DEP_1) | instskip(NEXT) | instid1(VALU_DEP_1)
	v_mul_lo_u32 v0, v0, s3
	v_mad_u64_u32 v[11:12], null, v13, s2, v[0:1]
	v_mov_b32_e32 v12, v4
.LBB18_24:                              ;   in Loop: Header=BB18_3 Depth=1
	s_or_b32 exec_lo, exec_lo, s18
	v_or_b32_e32 v7, 3, v32
	v_cmp_lt_i32_e64 s0, 3, v35
	s_delay_alu instid0(VALU_DEP_1)
	s_and_saveexec_b32 s34, s0
	s_cbranch_execz .LBB18_29
; %bb.25:                               ;   in Loop: Header=BB18_3 Depth=1
	s_delay_alu instid0(VALU_DEP_2)
	v_dual_mov_b32 v0, 0 :: v_dual_mov_b32 v13, v7
	s_and_not1_b32 vcc_lo, exec_lo, s23
	s_cbranch_vccnz .LBB18_28
; %bb.26:                               ;   in Loop: Header=BB18_3 Depth=1
	v_dual_mov_b32 v0, 0 :: v_dual_mov_b32 v13, v7
	s_mov_b64 s[18:19], s[16:17]
	s_mov_b32 s35, s12
	s_set_inst_prefetch_distance 0x1
	.p2align	6
.LBB18_27:                              ;   Parent Loop BB18_3 Depth=1
                                        ; =>  This Inner Loop Header: Depth=2
	s_clause 0x1
	s_load_b32 s36, s[18:19], 0x0
	s_load_b32 s37, s[18:19], 0x64
	s_add_i32 s35, s35, -1
	s_waitcnt lgkmcnt(0)
	v_cvt_f32_u32_e32 v14, s36
	s_sub_i32 s38, 0, s36
	s_add_u32 s18, s18, -4
	s_addc_u32 s19, s19, -1
	s_cmp_gt_u32 s35, 2
	v_rcp_iflag_f32_e32 v14, v14
	s_waitcnt_depctr 0xfff
	v_mul_f32_e32 v14, 0x4f7ffffe, v14
	s_delay_alu instid0(VALU_DEP_1) | instskip(NEXT) | instid1(VALU_DEP_1)
	v_cvt_u32_f32_e32 v14, v14
	v_mul_lo_u32 v15, s38, v14
	s_delay_alu instid0(VALU_DEP_1) | instskip(NEXT) | instid1(VALU_DEP_1)
	v_mul_hi_u32 v15, v14, v15
	v_dual_mov_b32 v16, v13 :: v_dual_add_nc_u32 v13, v14, v15
	s_delay_alu instid0(VALU_DEP_1) | instskip(NEXT) | instid1(VALU_DEP_1)
	v_mul_hi_u32 v13, v16, v13
	v_mul_lo_u32 v14, v13, s36
	v_add_nc_u32_e32 v15, 1, v13
	s_delay_alu instid0(VALU_DEP_2) | instskip(NEXT) | instid1(VALU_DEP_1)
	v_sub_nc_u32_e32 v14, v16, v14
	v_subrev_nc_u32_e32 v17, s36, v14
	v_cmp_le_u32_e32 vcc_lo, s36, v14
	s_delay_alu instid0(VALU_DEP_2) | instskip(NEXT) | instid1(VALU_DEP_1)
	v_dual_cndmask_b32 v13, v13, v15 :: v_dual_cndmask_b32 v14, v14, v17
	v_add_nc_u32_e32 v15, 1, v13
	s_delay_alu instid0(VALU_DEP_2) | instskip(NEXT) | instid1(VALU_DEP_2)
	v_cmp_le_u32_e32 vcc_lo, s36, v14
	v_cndmask_b32_e32 v13, v13, v15, vcc_lo
	s_delay_alu instid0(VALU_DEP_1) | instskip(NEXT) | instid1(VALU_DEP_1)
	v_mul_lo_u32 v14, v13, s36
	v_sub_nc_u32_e32 v16, v16, v14
	s_delay_alu instid0(VALU_DEP_1) | instskip(NEXT) | instid1(VALU_DEP_1)
	v_mad_u64_u32 v[14:15], null, s37, v16, v[0:1]
	v_mov_b32_e32 v0, v14
	s_cbranch_scc1 .LBB18_27
.LBB18_28:                              ;   in Loop: Header=BB18_3 Depth=1
	s_set_inst_prefetch_distance 0x2
	s_delay_alu instid0(VALU_DEP_1)
	v_mad_u64_u32 v[15:16], null, s22, v13, v[0:1]
	v_mov_b32_e32 v16, v4
.LBB18_29:                              ;   in Loop: Header=BB18_3 Depth=1
	s_or_b32 exec_lo, exec_lo, s34
	v_mov_b32_e32 v13, 0
	v_mov_b32_e32 v14, 0
	s_and_saveexec_b32 s18, s0
	s_cbranch_execz .LBB18_31
; %bb.30:                               ;   in Loop: Header=BB18_3 Depth=1
	v_mul_hi_u32 v0, v7, v34
	s_delay_alu instid0(VALU_DEP_1) | instskip(NEXT) | instid1(VALU_DEP_1)
	v_mul_lo_u32 v13, v0, s21
	v_sub_nc_u32_e32 v13, v7, v13
	s_delay_alu instid0(VALU_DEP_1) | instskip(SKIP_1) | instid1(VALU_DEP_2)
	v_subrev_nc_u32_e32 v17, s21, v13
	v_cmp_le_u32_e32 vcc_lo, s21, v13
	v_dual_cndmask_b32 v13, v13, v17 :: v_dual_add_nc_u32 v14, 1, v0
	s_delay_alu instid0(VALU_DEP_1) | instskip(NEXT) | instid1(VALU_DEP_2)
	v_cndmask_b32_e32 v0, v0, v14, vcc_lo
	v_cmp_le_u32_e32 vcc_lo, s21, v13
	s_delay_alu instid0(VALU_DEP_2) | instskip(NEXT) | instid1(VALU_DEP_1)
	v_add_nc_u32_e32 v14, 1, v0
	v_cndmask_b32_e32 v17, v0, v14, vcc_lo
	s_delay_alu instid0(VALU_DEP_1) | instskip(NEXT) | instid1(VALU_DEP_1)
	v_mul_lo_u32 v0, v17, s21
	v_sub_nc_u32_e32 v0, v7, v0
	s_delay_alu instid0(VALU_DEP_1) | instskip(NEXT) | instid1(VALU_DEP_1)
	v_mul_lo_u32 v0, v0, s3
	v_mad_u64_u32 v[13:14], null, v17, s2, v[0:1]
	v_mov_b32_e32 v14, v4
.LBB18_31:                              ;   in Loop: Header=BB18_3 Depth=1
	s_or_b32 exec_lo, exec_lo, s18
	s_delay_alu instid0(VALU_DEP_1) | instskip(SKIP_3) | instid1(VALU_DEP_3)
	v_lshlrev_b64 v[13:14], 2, v[13:14]
	s_waitcnt lgkmcnt(0)
	v_dual_mov_b32 v20, s7 :: v_dual_mov_b32 v19, s6
	v_dual_mov_b32 v22, s5 :: v_dual_mov_b32 v21, s4
	v_add_co_u32 v13, vcc_lo, s8, v13
	s_delay_alu instid0(VALU_DEP_4)
	v_add_co_ci_u32_e32 v14, vcc_lo, s9, v14, vcc_lo
	s_and_not1_b32 vcc_lo, exec_lo, s24
	global_load_b32 v0, v[13:14], off
	s_cbranch_vccnz .LBB18_33
; %bb.32:                               ;   in Loop: Header=BB18_3 Depth=1
	v_dual_mov_b32 v14, s7 :: v_dual_mov_b32 v13, s6
	v_dual_mov_b32 v18, s5 :: v_dual_mov_b32 v17, s4
	flat_load_b64 v[13:14], v[13:14]
	flat_load_b64 v[21:22], v[17:18]
	s_waitcnt vmcnt(1) lgkmcnt(1)
	v_add_co_u32 v19, vcc_lo, v13, s10
	v_add_co_ci_u32_e32 v20, vcc_lo, s11, v14, vcc_lo
.LBB18_33:                              ;   in Loop: Header=BB18_3 Depth=1
	s_delay_alu instid0(VALU_DEP_1)
	v_alignbit_b32 v7, v20, v19, 2
	v_lshrrev_b32_e32 v17, 2, v20
	s_waitcnt vmcnt(0) lgkmcnt(0)
	v_add_nc_u32_e32 v37, 0xbb67ae85, v22
	v_add_nc_u32_e32 v38, 0x3c6ef372, v21
	;; [unrolled: 1-line block ×3, first 2 shown]
	v_add_co_u32 v18, vcc_lo, v7, 1
	s_delay_alu instid0(VALU_DEP_1) | instskip(SKIP_4) | instid1(VALU_DEP_4)
	v_cndmask_b32_e64 v13, 0, 1, vcc_lo
	v_add_co_ci_u32_e32 v20, vcc_lo, 0, v17, vcc_lo
	v_xor3_b32 v25, v33, v21, v17
	v_add_nc_u32_e32 v41, 0xed9eba14, v22
	v_add_nc_u32_e32 v42, 0x1fd5c5a3, v22
	v_cmp_eq_u32_e32 vcc_lo, 0, v20
	s_mov_b32 s0, exec_lo
	v_dual_cndmask_b32 v23, 0, v13 :: v_dual_add_nc_u32 v40, 0x32370b8f, v22
	v_mad_u64_u32 v[13:14], null, 0xd2511f53, v18, 0
	v_mad_u64_u32 v[17:18], null, 0xd2511f53, v7, 0
	s_delay_alu instid0(VALU_DEP_3) | instskip(NEXT) | instid1(VALU_DEP_3)
	v_add_nc_u32_e32 v27, v23, v1
	v_xor_b32_e32 v14, v14, v22
	s_delay_alu instid0(VALU_DEP_2) | instskip(SKIP_1) | instid1(VALU_DEP_1)
	v_cmp_eq_u32_e32 vcc_lo, 0, v27
	v_dual_cndmask_b32 v23, 0, v23 :: v_dual_add_nc_u32 v36, 0x9e3779b9, v21
	v_xor_b32_e32 v7, v23, v14
	v_mad_u64_u32 v[23:24], null, 0xd2511f53, v25, 0
	v_mad_u64_u32 v[25:26], null, 0xcd9e8d57, v27, 0
	s_delay_alu instid0(VALU_DEP_3) | instskip(SKIP_1) | instid1(VALU_DEP_4)
	v_mad_u64_u32 v[27:28], null, 0xcd9e8d57, v7, 0
	v_xor_b32_e32 v7, v18, v22
	v_xor3_b32 v14, v37, v24, v17
	s_delay_alu instid0(VALU_DEP_2) | instskip(SKIP_2) | instid1(VALU_DEP_4)
	v_mad_u64_u32 v[17:18], null, 0xcd9e8d57, v7, 0
	v_xor3_b32 v7, v26, v21, v20
	v_xor3_b32 v20, v36, v28, v25
	v_mad_u64_u32 v[24:25], null, 0xcd9e8d57, v14, 0
	s_delay_alu instid0(VALU_DEP_3) | instskip(NEXT) | instid1(VALU_DEP_3)
	v_mad_u64_u32 v[28:29], null, 0xd2511f53, v7, 0
	v_mad_u64_u32 v[30:31], null, 0xd2511f53, v20, 0
	v_xor3_b32 v7, v2, v18, v36
	s_delay_alu instid0(VALU_DEP_4) | instskip(SKIP_1) | instid1(VALU_DEP_3)
	v_xor3_b32 v25, v38, v25, v17
	v_add_nc_u32_e32 v20, 0xdaa66d2b, v21
	v_mad_u64_u32 v[17:18], null, 0xd2511f53, v7, 0
	v_xor3_b32 v7, v37, v29, v13
	v_xor3_b32 v31, v39, v31, v28
	v_mad_u64_u32 v[13:14], null, 0xd2511f53, v25, 0
	s_delay_alu instid0(VALU_DEP_3) | instskip(NEXT) | instid1(VALU_DEP_3)
	v_mad_u64_u32 v[25:26], null, 0xcd9e8d57, v7, 0
	v_mad_u64_u32 v[28:29], null, 0xcd9e8d57, v31, 0
	v_xor3_b32 v7, v39, v18, v23
	s_delay_alu instid0(VALU_DEP_4) | instskip(SKIP_1) | instid1(VALU_DEP_3)
	v_xor3_b32 v14, v40, v14, v17
	v_add_nc_u32_e32 v31, 0x78dde6e4, v21
	v_mad_u64_u32 v[17:18], null, 0xcd9e8d57, v7, 0
	v_xor3_b32 v7, v38, v26, v27
	v_xor3_b32 v23, v20, v29, v25
	v_mad_u64_u32 v[25:26], null, 0xcd9e8d57, v14, 0
	v_add_nc_u32_e32 v27, 0xa9066899, v22
	s_delay_alu instid0(VALU_DEP_4) | instskip(NEXT) | instid1(VALU_DEP_4)
	v_mad_u64_u32 v[36:37], null, 0xd2511f53, v7, 0
	v_mad_u64_u32 v[38:39], null, 0xd2511f53, v23, 0
	v_xor3_b32 v7, v20, v18, v24
	v_xor3_b32 v14, v31, v26, v17
	v_add_nc_u32_e32 v20, 0x1715609d, v21
	s_delay_alu instid0(VALU_DEP_3) | instskip(SKIP_4) | instid1(VALU_DEP_4)
	v_mad_u64_u32 v[17:18], null, 0xd2511f53, v7, 0
	v_xor3_b32 v7, v40, v37, v30
	v_xor3_b32 v26, v41, v39, v36
	v_mad_u64_u32 v[29:30], null, 0xd2511f53, v14, 0
	v_add_nc_u32_e32 v37, 0xb54cda56, v21
	v_mad_u64_u32 v[23:24], null, 0xcd9e8d57, v7, 0
	s_delay_alu instid0(VALU_DEP_4) | instskip(SKIP_3) | instid1(VALU_DEP_3)
	v_mad_u64_u32 v[39:40], null, 0xcd9e8d57, v26, 0
	v_xor3_b32 v7, v41, v18, v13
	v_xor3_b32 v26, v27, v30, v17
	v_add_nc_u32_e32 v36, 0x646e171e, v22
	v_mad_u64_u32 v[13:14], null, 0xcd9e8d57, v7, 0
	v_xor3_b32 v7, v31, v24, v28
	v_xor3_b32 v28, v20, v40, v23
	v_mad_u64_u32 v[17:18], null, 0xcd9e8d57, v26, 0
	s_delay_alu instid0(VALU_DEP_3) | instskip(NEXT) | instid1(VALU_DEP_3)
	v_mad_u64_u32 v[23:24], null, 0xd2511f53, v7, 0
	v_mad_u64_u32 v[40:41], null, 0xd2511f53, v28, 0
	v_xor3_b32 v7, v20, v14, v25
	s_delay_alu instid0(VALU_DEP_4) | instskip(SKIP_1) | instid1(VALU_DEP_3)
	v_xor3_b32 v18, v37, v18, v13
	v_add_nc_u32_e32 v20, 0x5384540f, v21
	v_mad_u64_u32 v[13:14], null, 0xd2511f53, v7, 0
	v_xor3_b32 v7, v27, v24, v38
	v_xor3_b32 v25, v36, v41, v23
	v_mad_u64_u32 v[23:24], null, 0xd2511f53, v18, 0
	s_delay_alu instid0(VALU_DEP_3) | instskip(NEXT) | instid1(VALU_DEP_3)
	v_mad_u64_u32 v[30:31], null, 0xcd9e8d57, v7, 0
	v_mad_u64_u32 v[26:27], null, 0xcd9e8d57, v25, 0
	v_xor3_b32 v7, v36, v14, v29
	s_delay_alu instid0(VALU_DEP_4) | instskip(SKIP_1) | instid1(VALU_DEP_3)
	v_xor3_b32 v18, v42, v24, v13
	v_add_co_u32 v36, null, 0xf1bbcdc8, v21
	v_mad_u64_u32 v[13:14], null, 0xcd9e8d57, v7, 0
	v_xor3_b32 v7, v37, v31, v39
	v_xor3_b32 v27, v20, v27, v30
	v_mad_u64_u32 v[24:25], null, 0xcd9e8d57, v18, 0
	v_add_nc_u32_e32 v37, 0xdb3d7428, v22
	s_delay_alu instid0(VALU_DEP_4) | instskip(NEXT) | instid1(VALU_DEP_4)
	v_mad_u64_u32 v[38:39], null, 0xd2511f53, v7, 0
	v_mad_u64_u32 v[29:30], null, 0xd2511f53, v27, 0
	v_xor3_b32 v7, v20, v14, v17
	v_xor3_b32 v17, v36, v25, v13
	v_add_nc_u32_e32 v25, 0x96a522ad, v22
	v_add_nc_u32_e32 v22, 0x8ff34781, v21
	v_and_b32_e32 v21, 3, v19
	v_mad_u64_u32 v[27:28], null, 0xd2511f53, v7, 0
	v_xor3_b32 v7, v42, v39, v40
	v_xor3_b32 v20, v37, v30, v38
	v_mad_u64_u32 v[13:14], null, 0xd2511f53, v17, 0
	s_delay_alu instid0(VALU_DEP_3) | instskip(NEXT) | instid1(VALU_DEP_3)
	v_mad_u64_u32 v[30:31], null, 0xcd9e8d57, v7, 0
	v_mad_u64_u32 v[17:18], null, 0xcd9e8d57, v20, 0
                                        ; implicit-def: $vgpr20
	s_delay_alu instid0(VALU_DEP_3) | instskip(NEXT) | instid1(VALU_DEP_2)
	v_xor3_b32 v14, v14, v27, v25
	v_xor3_b32 v7, v18, v30, v22
	v_cmpx_lt_i32_e32 1, v21
	s_xor_b32 s0, exec_lo, s0
	s_cbranch_execz .LBB18_39
; %bb.34:                               ;   in Loop: Header=BB18_3 Depth=1
	s_mov_b32 s18, exec_lo
                                        ; implicit-def: $vgpr20
	v_cmpx_lt_i32_e32 2, v21
	s_xor_b32 s18, exec_lo, s18
; %bb.35:                               ;   in Loop: Header=BB18_3 Depth=1
	v_xor3_b32 v14, v36, v31, v26
	s_delay_alu instid0(VALU_DEP_1) | instskip(NEXT) | instid1(VALU_DEP_1)
	v_mul_hi_u32 v14, 0xd2511f53, v14
	v_xor3_b32 v20, v14, v29, v25
                                        ; implicit-def: $vgpr14
; %bb.36:                               ;   in Loop: Header=BB18_3 Depth=1
	s_and_not1_saveexec_b32 s18, s18
; %bb.37:                               ;   in Loop: Header=BB18_3 Depth=1
	v_dual_mov_b32 v20, v17 :: v_dual_mov_b32 v17, v7
	v_mov_b32_e32 v7, v13
	v_mov_b32_e32 v13, v14
; %bb.38:                               ;   in Loop: Header=BB18_3 Depth=1
	s_or_b32 exec_lo, exec_lo, s18
                                        ; implicit-def: $vgpr23_vgpr24
                                        ; implicit-def: $vgpr21
                                        ; implicit-def: $vgpr14
                                        ; implicit-def: $vgpr37
                                        ; implicit-def: $vgpr27_vgpr28
                                        ; implicit-def: $vgpr22
                                        ; implicit-def: $vgpr24_vgpr25
.LBB18_39:                              ;   in Loop: Header=BB18_3 Depth=1
	s_and_not1_saveexec_b32 s0, s0
	s_cbranch_execz .LBB18_43
; %bb.40:                               ;   in Loop: Header=BB18_3 Depth=1
	v_xor3_b32 v17, v37, v28, v23
	v_cmp_eq_u32_e32 vcc_lo, 1, v21
	v_mov_b32_e32 v20, v13
	s_delay_alu instid0(VALU_DEP_3) | instskip(SKIP_1) | instid1(VALU_DEP_2)
	v_mad_u64_u32 v[18:19], null, 0xcd9e8d57, v17, 0
	v_mov_b32_e32 v17, v14
	v_xor3_b32 v21, v19, v24, v22
	s_delay_alu instid0(VALU_DEP_3)
	v_mov_b32_e32 v19, v18
	s_and_saveexec_b32 s18, vcc_lo
; %bb.41:                               ;   in Loop: Header=BB18_3 Depth=1
	v_dual_mov_b32 v20, v7 :: v_dual_mov_b32 v17, v13
	v_mov_b32_e32 v19, v14
	v_mov_b32_e32 v21, v18
; %bb.42:                               ;   in Loop: Header=BB18_3 Depth=1
	s_or_b32 exec_lo, exec_lo, s18
	s_delay_alu instid0(VALU_DEP_1) | instskip(NEXT) | instid1(VALU_DEP_3)
	v_mov_b32_e32 v13, v21
	v_mov_b32_e32 v7, v19
.LBB18_43:                              ;   in Loop: Header=BB18_3 Depth=1
	s_or_b32 exec_lo, exec_lo, s0
	v_min_i32_e32 v14, 4, v35
	s_mov_b32 s18, 0
	s_mov_b32 s38, 0
	;; [unrolled: 1-line block ×3, first 2 shown]
                                        ; implicit-def: $sgpr34
                                        ; implicit-def: $sgpr35
                                        ; implicit-def: $sgpr36
	s_mov_b32 s0, exec_lo
	v_cmpx_lt_i32_e32 2, v14
	s_xor_b32 s37, exec_lo, s0
	s_cbranch_execz .LBB18_55
; %bb.44:                               ;   in Loop: Header=BB18_3 Depth=1
	s_mov_b32 s0, -1
	s_mov_b32 s39, 0
	s_mov_b32 s35, exec_lo
                                        ; implicit-def: $sgpr19
                                        ; implicit-def: $sgpr34
	v_cmpx_lt_i32_e32 3, v14
	s_cbranch_execz .LBB18_50
; %bb.45:                               ;   in Loop: Header=BB18_3 Depth=1
	s_mov_b32 s0, 0
	s_mov_b32 s39, -1
	s_mov_b32 s36, exec_lo
                                        ; implicit-def: $sgpr19
                                        ; implicit-def: $sgpr34
	v_cmpx_eq_u32_e32 4, v14
	s_cbranch_execz .LBB18_49
; %bb.46:                               ;   in Loop: Header=BB18_3 Depth=1
	v_cmp_le_f32_e32 vcc_lo, 0, v0
	v_cmp_ge_f32_e64 s0, 1.0, v0
	s_mov_b32 s19, 0
	s_delay_alu instid0(VALU_DEP_1)
	s_and_b32 s39, vcc_lo, s0
	s_mov_b32 s0, 0
	s_and_saveexec_b32 s34, s39
	s_cbranch_execz .LBB18_48
; %bb.47:                               ;   in Loop: Header=BB18_3 Depth=1
	v_cvt_f32_u32_e32 v18, v20
	v_add_co_u32 v15, vcc_lo, s14, v15
	v_add_co_ci_u32_e32 v16, vcc_lo, s15, v16, vcc_lo
	s_delay_alu instid0(VALU_DEP_3) | instskip(SKIP_1) | instid1(VALU_DEP_1)
	v_fmaak_f32 v18, 0x2f800000, v18, 0x2f800000
	s_mov_b32 s0, exec_lo
	v_cmp_le_f32_e32 vcc_lo, v18, v0
	v_cndmask_b32_e64 v0, 0, 1, vcc_lo
	global_store_b8 v[15:16], v0, off
.LBB18_48:                              ;   in Loop: Header=BB18_3 Depth=1
	s_or_b32 exec_lo, exec_lo, s34
	s_mov_b32 s34, -1
	s_xor_b32 s39, exec_lo, -1
	s_and_b32 s0, s0, exec_lo
.LBB18_49:                              ;   in Loop: Header=BB18_3 Depth=1
	s_or_b32 exec_lo, exec_lo, s36
	s_delay_alu instid0(SALU_CYCLE_1)
	s_and_b32 s39, s39, exec_lo
	s_or_not1_b32 s0, s0, exec_lo
.LBB18_50:                              ;   in Loop: Header=BB18_3 Depth=1
	s_or_b32 exec_lo, exec_lo, s35
	s_mov_b32 s36, s19
	s_and_saveexec_b32 s35, s0
	s_cbranch_execz .LBB18_54
; %bb.51:                               ;   in Loop: Header=BB18_3 Depth=1
	v_lshlrev_b64 v[11:12], 2, v[11:12]
	s_delay_alu instid0(VALU_DEP_1) | instskip(NEXT) | instid1(VALU_DEP_2)
	v_add_co_u32 v11, vcc_lo, s8, v11
	v_add_co_ci_u32_e32 v12, vcc_lo, s9, v12, vcc_lo
	global_load_b32 v0, v[11:12], off
	s_waitcnt vmcnt(0)
	v_cmp_le_f32_e32 vcc_lo, 0, v0
	v_cmp_ge_f32_e64 s0, 1.0, v0
	s_delay_alu instid0(VALU_DEP_1) | instskip(SKIP_2) | instid1(SALU_CYCLE_1)
	s_and_b32 s36, vcc_lo, s0
	s_mov_b32 s0, 0
	s_and_saveexec_b32 s38, s36
	s_xor_b32 s36, exec_lo, s38
	s_cbranch_execz .LBB18_53
; %bb.52:                               ;   in Loop: Header=BB18_3 Depth=1
	v_cvt_f32_u32_e32 v11, v17
	v_add_co_u32 v9, vcc_lo, s14, v9
	v_add_co_ci_u32_e32 v10, vcc_lo, s15, v10, vcc_lo
	s_delay_alu instid0(VALU_DEP_3) | instskip(SKIP_1) | instid1(VALU_DEP_1)
	v_fmaak_f32 v11, 0x2f800000, v11, 0x2f800000
	s_mov_b32 s0, exec_lo
	v_cmp_le_f32_e32 vcc_lo, v11, v0
	v_cndmask_b32_e64 v0, 0, 1, vcc_lo
	global_store_b8 v[9:10], v0, off
.LBB18_53:                              ;   in Loop: Header=BB18_3 Depth=1
	s_or_b32 exec_lo, exec_lo, s36
	s_delay_alu instid0(SALU_CYCLE_1)
	s_and_not1_b32 s36, s19, exec_lo
	s_or_b32 s19, s19, exec_lo
	s_and_not1_b32 s34, s34, exec_lo
	s_and_b32 s38, s0, exec_lo
.LBB18_54:                              ;   in Loop: Header=BB18_3 Depth=1
	s_or_b32 exec_lo, exec_lo, s35
	s_delay_alu instid0(SALU_CYCLE_1)
	s_and_b32 s36, s36, exec_lo
	s_and_b32 s35, s19, exec_lo
	;; [unrolled: 1-line block ×5, first 2 shown]
.LBB18_55:                              ;   in Loop: Header=BB18_3 Depth=1
	s_and_not1_saveexec_b32 s0, s37
; %bb.56:                               ;   in Loop: Header=BB18_3 Depth=1
	v_cmp_lt_i32_e32 vcc_lo, 1, v14
	s_and_not1_b32 s37, s38, exec_lo
	s_mov_b32 s18, exec_lo
	s_and_not1_b32 s36, s36, exec_lo
	s_and_not1_b32 s35, s35, exec_lo
	s_and_b32 s38, vcc_lo, exec_lo
	s_and_not1_b32 s34, s34, exec_lo
	s_or_b32 s38, s37, s38
; %bb.57:                               ;   in Loop: Header=BB18_3 Depth=1
	s_or_b32 exec_lo, exec_lo, s0
	s_mov_b32 s0, 0
	s_mov_b32 s37, s36
	s_and_saveexec_b32 s39, s38
	s_cbranch_execnz .LBB18_60
; %bb.58:                               ;   in Loop: Header=BB18_3 Depth=1
	s_or_b32 exec_lo, exec_lo, s39
	s_and_saveexec_b32 s38, s18
	s_cbranch_execnz .LBB18_63
.LBB18_59:                              ;   in Loop: Header=BB18_3 Depth=1
	s_or_b32 exec_lo, exec_lo, s38
	s_and_saveexec_b32 s18, s0
	s_cbranch_execnz .LBB18_64
	s_branch .LBB18_67
.LBB18_60:                              ;   in Loop: Header=BB18_3 Depth=1
	v_lshlrev_b64 v[9:10], 2, v[3:4]
	s_mov_b32 s38, 0
	s_delay_alu instid0(VALU_DEP_1) | instskip(NEXT) | instid1(VALU_DEP_2)
	v_add_co_u32 v9, vcc_lo, s8, v9
	v_add_co_ci_u32_e32 v10, vcc_lo, s9, v10, vcc_lo
	global_load_b32 v0, v[9:10], off
	s_waitcnt vmcnt(0)
	v_cmp_le_f32_e32 vcc_lo, 0, v0
	v_cmp_ge_f32_e64 s0, 1.0, v0
	s_delay_alu instid0(VALU_DEP_1) | instskip(NEXT) | instid1(SALU_CYCLE_1)
	s_and_b32 s0, vcc_lo, s0
	s_and_saveexec_b32 s37, s0
	s_delay_alu instid0(SALU_CYCLE_1)
	s_xor_b32 s0, exec_lo, s37
	s_cbranch_execz .LBB18_62
; %bb.61:                               ;   in Loop: Header=BB18_3 Depth=1
	v_cvt_f32_u32_e32 v3, v7
	s_mov_b32 s38, exec_lo
	s_delay_alu instid0(VALU_DEP_1) | instskip(NEXT) | instid1(VALU_DEP_1)
	v_fmaak_f32 v3, 0x2f800000, v3, 0x2f800000
	v_cmp_le_f32_e32 vcc_lo, v3, v0
	v_cndmask_b32_e64 v0, 0, 1, vcc_lo
	global_store_b8 v8, v0, s[14:15]
.LBB18_62:                              ;   in Loop: Header=BB18_3 Depth=1
	s_or_b32 exec_lo, exec_lo, s0
	s_delay_alu instid0(SALU_CYCLE_1)
	s_and_not1_b32 s37, s36, exec_lo
	s_or_b32 s36, s36, exec_lo
	s_and_not1_b32 s35, s35, exec_lo
	s_and_not1_b32 s34, s34, exec_lo
	s_and_b32 s0, s38, exec_lo
	s_and_not1_b32 s18, s18, exec_lo
	s_or_b32 exec_lo, exec_lo, s39
	s_and_saveexec_b32 s38, s18
	s_cbranch_execz .LBB18_59
.LBB18_63:                              ;   in Loop: Header=BB18_3 Depth=1
	v_cmp_eq_u32_e32 vcc_lo, 1, v14
	s_and_not1_b32 s0, s0, exec_lo
	s_and_not1_b32 s37, s37, exec_lo
	;; [unrolled: 1-line block ×4, first 2 shown]
	s_and_b32 s18, vcc_lo, exec_lo
	s_and_not1_b32 s34, s34, exec_lo
	s_or_b32 s19, s19, exec_lo
	s_or_b32 s0, s0, s18
	s_or_b32 exec_lo, exec_lo, s38
	s_and_saveexec_b32 s18, s0
	s_cbranch_execz .LBB18_67
.LBB18_64:                              ;   in Loop: Header=BB18_3 Depth=1
	v_mov_b32_e32 v7, v4
	s_mov_b32 s38, 0
	s_delay_alu instid0(VALU_DEP_1) | instskip(NEXT) | instid1(VALU_DEP_1)
	v_lshlrev_b64 v[6:7], 2, v[6:7]
	v_add_co_u32 v6, vcc_lo, s8, v6
	s_delay_alu instid0(VALU_DEP_2) | instskip(SKIP_4) | instid1(VALU_DEP_1)
	v_add_co_ci_u32_e32 v7, vcc_lo, s9, v7, vcc_lo
	global_load_b32 v0, v[6:7], off
	s_waitcnt vmcnt(0)
	v_cmp_le_f32_e32 vcc_lo, 0, v0
	v_cmp_ge_f32_e64 s0, 1.0, v0
	s_and_b32 s39, vcc_lo, s0
	s_delay_alu instid0(SALU_CYCLE_1)
	s_and_saveexec_b32 s0, s39
	s_cbranch_execz .LBB18_66
; %bb.65:                               ;   in Loop: Header=BB18_3 Depth=1
	v_cvt_f32_u32_e32 v3, v13
	s_mov_b32 s38, exec_lo
	s_delay_alu instid0(VALU_DEP_1) | instskip(NEXT) | instid1(VALU_DEP_1)
	v_fmaak_f32 v3, 0x2f800000, v3, 0x2f800000
	v_cmp_le_f32_e32 vcc_lo, v3, v0
	v_cndmask_b32_e64 v0, 0, 1, vcc_lo
	global_store_b8 v5, v0, s[14:15]
.LBB18_66:                              ;   in Loop: Header=BB18_3 Depth=1
	s_or_b32 exec_lo, exec_lo, s0
	s_delay_alu instid0(SALU_CYCLE_1)
	s_and_not1_b32 s0, s19, exec_lo
	s_and_b32 s19, s38, exec_lo
	s_or_b32 s37, s37, exec_lo
	s_and_not1_b32 s36, s36, exec_lo
	s_and_not1_b32 s35, s35, exec_lo
	;; [unrolled: 1-line block ×3, first 2 shown]
	s_or_b32 s19, s0, s19
.LBB18_67:                              ;   in Loop: Header=BB18_3 Depth=1
	s_or_b32 exec_lo, exec_lo, s18
	s_delay_alu instid0(SALU_CYCLE_1)
	s_and_not1_b32 s18, s33, exec_lo
	s_and_b32 s33, s37, exec_lo
	s_and_not1_b32 s30, s30, exec_lo
	s_and_b32 s36, s36, exec_lo
	s_or_b32 s33, s18, s33
	s_and_not1_b32 s18, s31, exec_lo
	s_and_b32 s31, s35, exec_lo
	s_and_not1_b32 s29, s29, exec_lo
	s_and_b32 s34, s34, exec_lo
	s_mov_b32 s0, -1
	s_or_b32 s30, s30, s36
	s_or_b32 s31, s18, s31
	;; [unrolled: 1-line block ×3, first 2 shown]
	s_and_saveexec_b32 s18, s19
	s_cbranch_execz .LBB18_2
; %bb.68:                               ;   in Loop: Header=BB18_3 Depth=1
	v_add_nc_u32_e32 v32, s25, v32
	s_and_not1_b32 s33, s33, exec_lo
	s_and_not1_b32 s30, s30, exec_lo
	s_and_not1_b32 s31, s31, exec_lo
	s_and_not1_b32 s29, s29, exec_lo
	v_cmp_le_u32_e32 vcc_lo, s20, v32
	s_or_not1_b32 s0, vcc_lo, exec_lo
	s_branch .LBB18_2
.LBB18_69:
	s_or_b32 exec_lo, exec_lo, s13
	s_xor_b32 s4, s27, -1
	s_xor_b32 s5, s28, -1
	;; [unrolled: 1-line block ×3, first 2 shown]
	s_mov_b32 s2, 0
	s_and_saveexec_b32 s3, s0
	s_delay_alu instid0(SALU_CYCLE_1)
	s_xor_b32 s0, exec_lo, s3
	s_cbranch_execz .LBB18_78
; %bb.70:
	s_mov_b32 s3, 0
	s_and_saveexec_b32 s2, s5
	s_delay_alu instid0(SALU_CYCLE_1)
	s_xor_b32 s2, exec_lo, s2
	s_cbranch_execz .LBB18_76
; %bb.71:
	s_and_saveexec_b32 s5, s4
	s_delay_alu instid0(SALU_CYCLE_1)
	s_xor_b32 s4, exec_lo, s5
	s_cbranch_execz .LBB18_74
; %bb.72:
	s_and_saveexec_b32 s5, s1
	s_delay_alu instid0(SALU_CYCLE_1)
	s_xor_b32 s1, exec_lo, s5
	s_cbranch_execnz .LBB18_92
.LBB18_73:
	s_or_b32 exec_lo, exec_lo, s1
	s_delay_alu instid0(SALU_CYCLE_1)
	s_and_b32 s3, s3, exec_lo
.LBB18_74:
	s_and_not1_saveexec_b32 s1, s4
	s_cbranch_execnz .LBB18_88
.LBB18_75:
	s_or_b32 exec_lo, exec_lo, s1
	s_delay_alu instid0(SALU_CYCLE_1)
	s_and_b32 s3, s3, exec_lo
.LBB18_76:
	s_and_not1_saveexec_b32 s1, s2
	s_cbranch_execnz .LBB18_84
.LBB18_77:
	s_or_b32 exec_lo, exec_lo, s1
	s_delay_alu instid0(SALU_CYCLE_1)
	s_and_b32 s2, s3, exec_lo
.LBB18_78:
	s_and_not1_saveexec_b32 s0, s0
	s_cbranch_execnz .LBB18_82
; %bb.79:
	s_or_b32 exec_lo, exec_lo, s0
	s_delay_alu instid0(SALU_CYCLE_1)
	s_and_b32 exec_lo, exec_lo, s2
.LBB18_80:
	; divergent unreachable
.LBB18_81:
	s_nop 0
	s_sendmsg sendmsg(MSG_DEALLOC_VGPRS)
	s_endpgm
.LBB18_82:
	s_cbranch_execnz .LBB18_86
; %bb.83:
	s_or_b32 s2, s2, exec_lo
	s_or_b32 exec_lo, exec_lo, s0
	s_delay_alu instid0(SALU_CYCLE_1)
	s_and_b32 exec_lo, exec_lo, s2
	s_cbranch_execnz .LBB18_80
	s_branch .LBB18_81
.LBB18_84:
	s_cbranch_execnz .LBB18_90
; %bb.85:
	s_or_b32 s3, s3, exec_lo
	s_branch .LBB18_77
.LBB18_86:
	s_trap 2
	s_sendmsg_rtn_b32 s0, sendmsg(MSG_RTN_GET_DOORBELL)
	s_mov_b32 ttmp2, m0
	s_waitcnt lgkmcnt(0)
	s_and_b32 s0, s0, 0x3ff
	s_delay_alu instid0(SALU_CYCLE_1) | instskip(NEXT) | instid1(SALU_CYCLE_1)
	s_bitset1_b32 s0, 10
	s_mov_b32 m0, s0
	s_sendmsg sendmsg(MSG_INTERRUPT)
	s_mov_b32 m0, ttmp2
.LBB18_87:                              ; =>This Inner Loop Header: Depth=1
	s_sethalt 5
	s_branch .LBB18_87
.LBB18_88:
	s_cbranch_execnz .LBB18_94
; %bb.89:
	s_or_b32 s3, s3, exec_lo
	s_branch .LBB18_75
.LBB18_90:
	s_trap 2
	s_sendmsg_rtn_b32 s0, sendmsg(MSG_RTN_GET_DOORBELL)
	s_mov_b32 ttmp2, m0
	s_waitcnt lgkmcnt(0)
	s_and_b32 s0, s0, 0x3ff
	s_delay_alu instid0(SALU_CYCLE_1) | instskip(NEXT) | instid1(SALU_CYCLE_1)
	s_bitset1_b32 s0, 10
	s_mov_b32 m0, s0
	s_sendmsg sendmsg(MSG_INTERRUPT)
	s_mov_b32 m0, ttmp2
.LBB18_91:                              ; =>This Inner Loop Header: Depth=1
	s_sethalt 5
	s_branch .LBB18_91
.LBB18_92:
	s_cbranch_execnz .LBB18_96
; %bb.93:
	s_mov_b32 s3, exec_lo
	s_branch .LBB18_73
.LBB18_94:
	s_trap 2
	s_sendmsg_rtn_b32 s0, sendmsg(MSG_RTN_GET_DOORBELL)
	s_mov_b32 ttmp2, m0
	s_waitcnt lgkmcnt(0)
	s_and_b32 s0, s0, 0x3ff
	s_delay_alu instid0(SALU_CYCLE_1) | instskip(NEXT) | instid1(SALU_CYCLE_1)
	s_bitset1_b32 s0, 10
	s_mov_b32 m0, s0
	s_sendmsg sendmsg(MSG_INTERRUPT)
	s_mov_b32 m0, ttmp2
.LBB18_95:                              ; =>This Inner Loop Header: Depth=1
	s_sethalt 5
	s_branch .LBB18_95
.LBB18_96:
	s_trap 2
	s_sendmsg_rtn_b32 s0, sendmsg(MSG_RTN_GET_DOORBELL)
	s_mov_b32 ttmp2, m0
	s_waitcnt lgkmcnt(0)
	s_and_b32 s0, s0, 0x3ff
	s_delay_alu instid0(SALU_CYCLE_1) | instskip(NEXT) | instid1(SALU_CYCLE_1)
	s_bitset1_b32 s0, 10
	s_mov_b32 m0, s0
	s_sendmsg sendmsg(MSG_INTERRUPT)
	s_mov_b32 m0, ttmp2
.LBB18_97:                              ; =>This Inner Loop Header: Depth=1
	s_sethalt 5
	s_branch .LBB18_97
	.section	.rodata,"a",@progbits
	.p2align	6, 0x0
	.amdhsa_kernel _ZN2at4cuda12_GLOBAL__N_121kernelPointwiseApply2IZNS_6native9templates4cuda28bernoulli_tensor_cuda_kernelIhfEEvRKNS_10TensorBaseES9_NS_15PhiloxCudaStateEEUliRhSB_SB_SB_RKfSD_SD_SD_E_hSC_jLin1ELi2ELi4ELi512ELi2EEEvNS0_6detail10TensorInfoIT0_T2_EENSG_IT1_SI_EESI_T_
		.amdhsa_group_segment_fixed_size 0
		.amdhsa_private_segment_fixed_size 0
		.amdhsa_kernarg_size 728
		.amdhsa_user_sgpr_count 15
		.amdhsa_user_sgpr_dispatch_ptr 0
		.amdhsa_user_sgpr_queue_ptr 0
		.amdhsa_user_sgpr_kernarg_segment_ptr 1
		.amdhsa_user_sgpr_dispatch_id 0
		.amdhsa_user_sgpr_private_segment_size 0
		.amdhsa_wavefront_size32 1
		.amdhsa_uses_dynamic_stack 0
		.amdhsa_enable_private_segment 0
		.amdhsa_system_sgpr_workgroup_id_x 1
		.amdhsa_system_sgpr_workgroup_id_y 0
		.amdhsa_system_sgpr_workgroup_id_z 0
		.amdhsa_system_sgpr_workgroup_info 0
		.amdhsa_system_vgpr_workitem_id 0
		.amdhsa_next_free_vgpr 43
		.amdhsa_next_free_sgpr 40
		.amdhsa_reserve_vcc 1
		.amdhsa_float_round_mode_32 0
		.amdhsa_float_round_mode_16_64 0
		.amdhsa_float_denorm_mode_32 3
		.amdhsa_float_denorm_mode_16_64 3
		.amdhsa_dx10_clamp 1
		.amdhsa_ieee_mode 1
		.amdhsa_fp16_overflow 0
		.amdhsa_workgroup_processor_mode 1
		.amdhsa_memory_ordered 1
		.amdhsa_forward_progress 0
		.amdhsa_shared_vgpr_count 0
		.amdhsa_exception_fp_ieee_invalid_op 0
		.amdhsa_exception_fp_denorm_src 0
		.amdhsa_exception_fp_ieee_div_zero 0
		.amdhsa_exception_fp_ieee_overflow 0
		.amdhsa_exception_fp_ieee_underflow 0
		.amdhsa_exception_fp_ieee_inexact 0
		.amdhsa_exception_int_div_zero 0
	.end_amdhsa_kernel
	.section	.text._ZN2at4cuda12_GLOBAL__N_121kernelPointwiseApply2IZNS_6native9templates4cuda28bernoulli_tensor_cuda_kernelIhfEEvRKNS_10TensorBaseES9_NS_15PhiloxCudaStateEEUliRhSB_SB_SB_RKfSD_SD_SD_E_hSC_jLin1ELi2ELi4ELi512ELi2EEEvNS0_6detail10TensorInfoIT0_T2_EENSG_IT1_SI_EESI_T_,"axG",@progbits,_ZN2at4cuda12_GLOBAL__N_121kernelPointwiseApply2IZNS_6native9templates4cuda28bernoulli_tensor_cuda_kernelIhfEEvRKNS_10TensorBaseES9_NS_15PhiloxCudaStateEEUliRhSB_SB_SB_RKfSD_SD_SD_E_hSC_jLin1ELi2ELi4ELi512ELi2EEEvNS0_6detail10TensorInfoIT0_T2_EENSG_IT1_SI_EESI_T_,comdat
.Lfunc_end18:
	.size	_ZN2at4cuda12_GLOBAL__N_121kernelPointwiseApply2IZNS_6native9templates4cuda28bernoulli_tensor_cuda_kernelIhfEEvRKNS_10TensorBaseES9_NS_15PhiloxCudaStateEEUliRhSB_SB_SB_RKfSD_SD_SD_E_hSC_jLin1ELi2ELi4ELi512ELi2EEEvNS0_6detail10TensorInfoIT0_T2_EENSG_IT1_SI_EESI_T_, .Lfunc_end18-_ZN2at4cuda12_GLOBAL__N_121kernelPointwiseApply2IZNS_6native9templates4cuda28bernoulli_tensor_cuda_kernelIhfEEvRKNS_10TensorBaseES9_NS_15PhiloxCudaStateEEUliRhSB_SB_SB_RKfSD_SD_SD_E_hSC_jLin1ELi2ELi4ELi512ELi2EEEvNS0_6detail10TensorInfoIT0_T2_EENSG_IT1_SI_EESI_T_
                                        ; -- End function
	.section	.AMDGPU.csdata,"",@progbits
; Kernel info:
; codeLenInByte = 4756
; NumSgprs: 42
; NumVgprs: 43
; ScratchSize: 0
; MemoryBound: 0
; FloatMode: 240
; IeeeMode: 1
; LDSByteSize: 0 bytes/workgroup (compile time only)
; SGPRBlocks: 5
; VGPRBlocks: 5
; NumSGPRsForWavesPerEU: 42
; NumVGPRsForWavesPerEU: 43
; Occupancy: 16
; WaveLimiterHint : 1
; COMPUTE_PGM_RSRC2:SCRATCH_EN: 0
; COMPUTE_PGM_RSRC2:USER_SGPR: 15
; COMPUTE_PGM_RSRC2:TRAP_HANDLER: 0
; COMPUTE_PGM_RSRC2:TGID_X_EN: 1
; COMPUTE_PGM_RSRC2:TGID_Y_EN: 0
; COMPUTE_PGM_RSRC2:TGID_Z_EN: 0
; COMPUTE_PGM_RSRC2:TIDIG_COMP_CNT: 0
	.section	.text._ZN2at4cuda12_GLOBAL__N_121kernelPointwiseApply2IZNS_6native9templates4cuda28bernoulli_tensor_cuda_kernelIhfEEvRKNS_10TensorBaseES9_NS_15PhiloxCudaStateEEUliRhSB_SB_SB_RKfSD_SD_SD_E_hSC_jLin1ELin1ELi4ELi512ELi2EEEvNS0_6detail10TensorInfoIT0_T2_EENSG_IT1_SI_EESI_T_,"axG",@progbits,_ZN2at4cuda12_GLOBAL__N_121kernelPointwiseApply2IZNS_6native9templates4cuda28bernoulli_tensor_cuda_kernelIhfEEvRKNS_10TensorBaseES9_NS_15PhiloxCudaStateEEUliRhSB_SB_SB_RKfSD_SD_SD_E_hSC_jLin1ELin1ELi4ELi512ELi2EEEvNS0_6detail10TensorInfoIT0_T2_EENSG_IT1_SI_EESI_T_,comdat
	.globl	_ZN2at4cuda12_GLOBAL__N_121kernelPointwiseApply2IZNS_6native9templates4cuda28bernoulli_tensor_cuda_kernelIhfEEvRKNS_10TensorBaseES9_NS_15PhiloxCudaStateEEUliRhSB_SB_SB_RKfSD_SD_SD_E_hSC_jLin1ELin1ELi4ELi512ELi2EEEvNS0_6detail10TensorInfoIT0_T2_EENSG_IT1_SI_EESI_T_ ; -- Begin function _ZN2at4cuda12_GLOBAL__N_121kernelPointwiseApply2IZNS_6native9templates4cuda28bernoulli_tensor_cuda_kernelIhfEEvRKNS_10TensorBaseES9_NS_15PhiloxCudaStateEEUliRhSB_SB_SB_RKfSD_SD_SD_E_hSC_jLin1ELin1ELi4ELi512ELi2EEEvNS0_6detail10TensorInfoIT0_T2_EENSG_IT1_SI_EESI_T_
	.p2align	8
	.type	_ZN2at4cuda12_GLOBAL__N_121kernelPointwiseApply2IZNS_6native9templates4cuda28bernoulli_tensor_cuda_kernelIhfEEvRKNS_10TensorBaseES9_NS_15PhiloxCudaStateEEUliRhSB_SB_SB_RKfSD_SD_SD_E_hSC_jLin1ELin1ELi4ELi512ELi2EEEvNS0_6detail10TensorInfoIT0_T2_EENSG_IT1_SI_EESI_T_,@function
_ZN2at4cuda12_GLOBAL__N_121kernelPointwiseApply2IZNS_6native9templates4cuda28bernoulli_tensor_cuda_kernelIhfEEvRKNS_10TensorBaseES9_NS_15PhiloxCudaStateEEUliRhSB_SB_SB_RKfSD_SD_SD_E_hSC_jLin1ELin1ELi4ELi512ELi2EEEvNS0_6detail10TensorInfoIT0_T2_EENSG_IT1_SI_EESI_T_: ; @_ZN2at4cuda12_GLOBAL__N_121kernelPointwiseApply2IZNS_6native9templates4cuda28bernoulli_tensor_cuda_kernelIhfEEvRKNS_10TensorBaseES9_NS_15PhiloxCudaStateEEUliRhSB_SB_SB_RKfSD_SD_SD_E_hSC_jLin1ELin1ELi4ELi512ELi2EEEvNS0_6detail10TensorInfoIT0_T2_EENSG_IT1_SI_EESI_T_
; %bb.0:
	s_clause 0x1
	s_load_b32 s4, s[0:1], 0x1e4
	s_load_b32 s20, s[0:1], 0x1b0
	s_add_u32 s2, s0, 0x1d8
	s_addc_u32 s3, s1, 0
	s_waitcnt lgkmcnt(0)
	s_and_b32 s12, s4, 0xffff
	s_mov_b32 s4, exec_lo
	v_mad_u64_u32 v[1:2], null, s15, s12, v[0:1]
	s_delay_alu instid0(VALU_DEP_1) | instskip(NEXT) | instid1(VALU_DEP_1)
	v_lshlrev_b32_e32 v30, 2, v1
	v_cmpx_gt_u32_e64 s20, v30
	s_cbranch_execz .LBB19_93
; %bb.1:
	s_clause 0x2
	s_load_b32 s16, s[0:1], 0xd0
	s_load_b32 s17, s[0:1], 0x1a8
	;; [unrolled: 1-line block ×4, first 2 shown]
	s_clause 0x1
	s_load_b64 s[2:3], s[0:1], 0x1c8
	s_load_b128 s[4:7], s[0:1], 0x1b8
	s_add_u32 s18, s0, 0xd8
	s_addc_u32 s19, s1, 0
	s_clause 0x3
	s_load_b32 s21, s[0:1], 0x144
	s_load_b64 s[8:9], s[0:1], 0xd8
	s_load_b32 s22, s[0:1], 0x6c
	s_load_b64 s[10:11], s[0:1], 0x0
	s_mov_b32 s13, 0
	v_mad_u64_u32 v[2:3], null, 0xcd9e8d57, v1, 0
	v_mov_b32_e32 v4, 0
                                        ; implicit-def: $sgpr29
                                        ; implicit-def: $sgpr31
                                        ; implicit-def: $sgpr30
                                        ; implicit-def: $sgpr33
                                        ; implicit-def: $sgpr35
                                        ; implicit-def: $sgpr34
                                        ; implicit-def: $sgpr36
	s_delay_alu instid0(VALU_DEP_2)
	v_mov_b32_e32 v31, v3
	s_waitcnt lgkmcnt(0)
	s_cmp_gt_i32 s16, 1
	s_cselect_b32 s23, -1, 0
	s_cmp_gt_i32 s17, 1
	s_mul_i32 s15, s15, s12
	s_cselect_b32 s24, -1, 0
	s_bitcmp1_b32 s14, 0
	s_cselect_b32 s25, -1, 0
	s_add_i32 s12, s16, -1
	s_lshl_b32 s26, s15, 2
	s_lshl_b64 s[14:15], s[12:13], 2
	s_add_i32 s27, s16, 1
	s_add_u32 s0, s14, s0
	s_addc_u32 s1, s15, s1
	s_add_u32 s14, s0, 8
	s_addc_u32 s15, s1, 0
	s_add_i32 s12, s17, -1
	s_add_i32 s28, s17, 1
	s_lshl_b64 s[0:1], s[12:13], 2
                                        ; implicit-def: $sgpr12
	s_delay_alu instid0(SALU_CYCLE_1)
	s_add_u32 s0, s0, s18
	s_addc_u32 s1, s1, s19
	s_add_u32 s16, s0, 8
	s_addc_u32 s17, s1, 0
	s_branch .LBB19_3
.LBB19_2:                               ;   in Loop: Header=BB19_3 Depth=1
	s_or_b32 exec_lo, exec_lo, s1
	s_delay_alu instid0(SALU_CYCLE_1) | instskip(NEXT) | instid1(SALU_CYCLE_1)
	s_and_b32 s0, exec_lo, s0
	s_or_b32 s13, s0, s13
	s_and_not1_b32 s0, s12, exec_lo
	s_and_b32 s1, s36, exec_lo
	s_and_not1_b32 s18, s30, exec_lo
	s_and_b32 s19, s34, exec_lo
	s_or_b32 s12, s0, s1
	s_or_b32 s30, s18, s19
	s_and_not1_b32 s0, s31, exec_lo
	s_and_b32 s1, s35, exec_lo
	s_and_not1_b32 s18, s29, exec_lo
	s_and_b32 s19, s33, exec_lo
	s_or_b32 s31, s0, s1
	s_or_b32 s29, s18, s19
	s_and_not1_b32 exec_lo, exec_lo, s13
	s_cbranch_execz .LBB19_81
.LBB19_3:                               ; =>This Loop Header: Depth=1
                                        ;     Child Loop BB19_6 Depth 2
                                        ;     Child Loop BB19_11 Depth 2
	;; [unrolled: 1-line block ×8, first 2 shown]
	v_sub_nc_u32_e32 v32, s20, v30
	v_mov_b32_e32 v5, 0
	s_delay_alu instid0(VALU_DEP_2) | instskip(NEXT) | instid1(VALU_DEP_1)
	v_cmp_lt_i32_e64 s0, 0, v32
	s_and_saveexec_b32 s1, s0
	s_cbranch_execz .LBB19_8
; %bb.4:                                ;   in Loop: Header=BB19_3 Depth=1
	v_dual_mov_b32 v0, 0 :: v_dual_mov_b32 v3, v30
	s_and_not1_b32 vcc_lo, exec_lo, s23
	s_cbranch_vccnz .LBB19_7
; %bb.5:                                ;   in Loop: Header=BB19_3 Depth=1
	v_dual_mov_b32 v0, 0 :: v_dual_mov_b32 v3, v30
	s_mov_b64 s[18:19], s[14:15]
	s_mov_b32 s37, s27
	s_set_inst_prefetch_distance 0x1
	.p2align	6
.LBB19_6:                               ;   Parent Loop BB19_3 Depth=1
                                        ; =>  This Inner Loop Header: Depth=2
	s_clause 0x1
	s_load_b32 s38, s[18:19], 0x0
	s_load_b32 s39, s[18:19], 0x64
	v_mov_b32_e32 v7, v3
	s_add_i32 s37, s37, -1
	s_waitcnt lgkmcnt(0)
	v_cvt_f32_u32_e32 v5, s38
	s_sub_i32 s40, 0, s38
	s_add_u32 s18, s18, -4
	s_addc_u32 s19, s19, -1
	s_cmp_gt_u32 s37, 2
	v_rcp_iflag_f32_e32 v5, v5
	s_waitcnt_depctr 0xfff
	v_mul_f32_e32 v5, 0x4f7ffffe, v5
	s_delay_alu instid0(VALU_DEP_1) | instskip(NEXT) | instid1(VALU_DEP_1)
	v_cvt_u32_f32_e32 v5, v5
	v_mul_lo_u32 v6, s40, v5
	s_delay_alu instid0(VALU_DEP_1) | instskip(NEXT) | instid1(VALU_DEP_1)
	v_mul_hi_u32 v6, v5, v6
	v_add_nc_u32_e32 v3, v5, v6
	s_delay_alu instid0(VALU_DEP_1) | instskip(NEXT) | instid1(VALU_DEP_1)
	v_mul_hi_u32 v3, v7, v3
	v_add_nc_u32_e32 v6, 1, v3
	v_mul_lo_u32 v5, v3, s38
	s_delay_alu instid0(VALU_DEP_1) | instskip(NEXT) | instid1(VALU_DEP_1)
	v_sub_nc_u32_e32 v5, v7, v5
	v_subrev_nc_u32_e32 v8, s38, v5
	v_cmp_le_u32_e32 vcc_lo, s38, v5
	v_cndmask_b32_e32 v3, v3, v6, vcc_lo
	s_delay_alu instid0(VALU_DEP_1) | instskip(NEXT) | instid1(VALU_DEP_1)
	v_dual_cndmask_b32 v5, v5, v8 :: v_dual_add_nc_u32 v6, 1, v3
	v_cmp_le_u32_e32 vcc_lo, s38, v5
	s_delay_alu instid0(VALU_DEP_2) | instskip(NEXT) | instid1(VALU_DEP_1)
	v_cndmask_b32_e32 v3, v3, v6, vcc_lo
	v_mul_lo_u32 v5, v3, s38
	s_delay_alu instid0(VALU_DEP_1) | instskip(NEXT) | instid1(VALU_DEP_1)
	v_sub_nc_u32_e32 v7, v7, v5
	v_mad_u64_u32 v[5:6], null, s39, v7, v[0:1]
	s_delay_alu instid0(VALU_DEP_1)
	v_mov_b32_e32 v0, v5
	s_cbranch_scc1 .LBB19_6
.LBB19_7:                               ;   in Loop: Header=BB19_3 Depth=1
	s_set_inst_prefetch_distance 0x2
	s_delay_alu instid0(VALU_DEP_1)
	v_mad_u64_u32 v[5:6], null, s22, v3, v[0:1]
.LBB19_8:                               ;   in Loop: Header=BB19_3 Depth=1
	s_or_b32 exec_lo, exec_lo, s1
	v_mov_b32_e32 v6, 0
	s_and_saveexec_b32 s18, s0
	s_cbranch_execz .LBB19_13
; %bb.9:                                ;   in Loop: Header=BB19_3 Depth=1
	v_dual_mov_b32 v0, 0 :: v_dual_mov_b32 v3, v30
	s_and_not1_b32 vcc_lo, exec_lo, s24
	s_cbranch_vccnz .LBB19_12
; %bb.10:                               ;   in Loop: Header=BB19_3 Depth=1
	v_dual_mov_b32 v0, 0 :: v_dual_mov_b32 v3, v30
	s_mov_b64 s[0:1], s[16:17]
	s_mov_b32 s19, s28
	s_set_inst_prefetch_distance 0x1
	.p2align	6
.LBB19_11:                              ;   Parent Loop BB19_3 Depth=1
                                        ; =>  This Inner Loop Header: Depth=2
	s_clause 0x1
	s_load_b32 s37, s[0:1], 0x0
	s_load_b32 s38, s[0:1], 0x64
	s_add_i32 s19, s19, -1
	s_waitcnt lgkmcnt(0)
	v_cvt_f32_u32_e32 v6, s37
	s_sub_i32 s39, 0, s37
	s_add_u32 s0, s0, -4
	s_addc_u32 s1, s1, -1
	s_cmp_gt_u32 s19, 2
	v_rcp_iflag_f32_e32 v6, v6
	s_waitcnt_depctr 0xfff
	v_mul_f32_e32 v6, 0x4f7ffffe, v6
	s_delay_alu instid0(VALU_DEP_1) | instskip(NEXT) | instid1(VALU_DEP_1)
	v_cvt_u32_f32_e32 v6, v6
	v_mul_lo_u32 v7, s39, v6
	s_delay_alu instid0(VALU_DEP_1) | instskip(NEXT) | instid1(VALU_DEP_1)
	v_mul_hi_u32 v7, v6, v7
	v_dual_mov_b32 v8, v3 :: v_dual_add_nc_u32 v3, v6, v7
	s_delay_alu instid0(VALU_DEP_1) | instskip(NEXT) | instid1(VALU_DEP_1)
	v_mul_hi_u32 v3, v8, v3
	v_mul_lo_u32 v6, v3, s37
	v_add_nc_u32_e32 v7, 1, v3
	s_delay_alu instid0(VALU_DEP_2) | instskip(NEXT) | instid1(VALU_DEP_1)
	v_sub_nc_u32_e32 v6, v8, v6
	v_subrev_nc_u32_e32 v9, s37, v6
	v_cmp_le_u32_e32 vcc_lo, s37, v6
	s_delay_alu instid0(VALU_DEP_2) | instskip(NEXT) | instid1(VALU_DEP_1)
	v_dual_cndmask_b32 v3, v3, v7 :: v_dual_cndmask_b32 v6, v6, v9
	v_add_nc_u32_e32 v7, 1, v3
	s_delay_alu instid0(VALU_DEP_2) | instskip(NEXT) | instid1(VALU_DEP_2)
	v_cmp_le_u32_e32 vcc_lo, s37, v6
	v_cndmask_b32_e32 v3, v3, v7, vcc_lo
	s_delay_alu instid0(VALU_DEP_1) | instskip(NEXT) | instid1(VALU_DEP_1)
	v_mul_lo_u32 v6, v3, s37
	v_sub_nc_u32_e32 v8, v8, v6
	s_delay_alu instid0(VALU_DEP_1) | instskip(NEXT) | instid1(VALU_DEP_1)
	v_mad_u64_u32 v[6:7], null, s38, v8, v[0:1]
	v_mov_b32_e32 v0, v6
	s_cbranch_scc1 .LBB19_11
.LBB19_12:                              ;   in Loop: Header=BB19_3 Depth=1
	s_set_inst_prefetch_distance 0x2
	s_delay_alu instid0(VALU_DEP_1)
	v_mad_u64_u32 v[6:7], null, s21, v3, v[0:1]
.LBB19_13:                              ;   in Loop: Header=BB19_3 Depth=1
	s_or_b32 exec_lo, exec_lo, s18
	v_or_b32_e32 v9, 1, v30
	v_cmp_lt_i32_e64 s0, 1, v32
	v_mov_b32_e32 v7, 0
	s_delay_alu instid0(VALU_DEP_2)
	s_and_saveexec_b32 s1, s0
	s_cbranch_execz .LBB19_18
; %bb.14:                               ;   in Loop: Header=BB19_3 Depth=1
	v_dual_mov_b32 v0, 0 :: v_dual_mov_b32 v3, v9
	s_and_not1_b32 vcc_lo, exec_lo, s23
	s_cbranch_vccnz .LBB19_17
; %bb.15:                               ;   in Loop: Header=BB19_3 Depth=1
	v_dual_mov_b32 v0, 0 :: v_dual_mov_b32 v3, v9
	s_mov_b64 s[18:19], s[14:15]
	s_mov_b32 s37, s27
	s_set_inst_prefetch_distance 0x1
	.p2align	6
.LBB19_16:                              ;   Parent Loop BB19_3 Depth=1
                                        ; =>  This Inner Loop Header: Depth=2
	s_clause 0x1
	s_load_b32 s38, s[18:19], 0x0
	s_load_b32 s39, s[18:19], 0x64
	s_add_i32 s37, s37, -1
	v_mov_b32_e32 v10, v3
	s_waitcnt lgkmcnt(0)
	v_cvt_f32_u32_e32 v7, s38
	s_sub_i32 s40, 0, s38
	s_add_u32 s18, s18, -4
	s_addc_u32 s19, s19, -1
	s_cmp_gt_u32 s37, 2
	v_rcp_iflag_f32_e32 v7, v7
	s_waitcnt_depctr 0xfff
	v_mul_f32_e32 v7, 0x4f7ffffe, v7
	s_delay_alu instid0(VALU_DEP_1) | instskip(NEXT) | instid1(VALU_DEP_1)
	v_cvt_u32_f32_e32 v7, v7
	v_mul_lo_u32 v8, s40, v7
	s_delay_alu instid0(VALU_DEP_1) | instskip(NEXT) | instid1(VALU_DEP_1)
	v_mul_hi_u32 v8, v7, v8
	v_add_nc_u32_e32 v3, v7, v8
	s_delay_alu instid0(VALU_DEP_1) | instskip(NEXT) | instid1(VALU_DEP_1)
	v_mul_hi_u32 v3, v10, v3
	v_mul_lo_u32 v7, v3, s38
	v_add_nc_u32_e32 v8, 1, v3
	s_delay_alu instid0(VALU_DEP_2) | instskip(NEXT) | instid1(VALU_DEP_1)
	v_sub_nc_u32_e32 v7, v10, v7
	v_subrev_nc_u32_e32 v11, s38, v7
	v_cmp_le_u32_e32 vcc_lo, s38, v7
	s_delay_alu instid0(VALU_DEP_4) | instskip(NEXT) | instid1(VALU_DEP_3)
	v_cndmask_b32_e32 v3, v3, v8, vcc_lo
	v_cndmask_b32_e32 v7, v7, v11, vcc_lo
	s_delay_alu instid0(VALU_DEP_2) | instskip(NEXT) | instid1(VALU_DEP_2)
	v_add_nc_u32_e32 v8, 1, v3
	v_cmp_le_u32_e32 vcc_lo, s38, v7
	s_delay_alu instid0(VALU_DEP_2) | instskip(NEXT) | instid1(VALU_DEP_1)
	v_cndmask_b32_e32 v3, v3, v8, vcc_lo
	v_mul_lo_u32 v7, v3, s38
	s_delay_alu instid0(VALU_DEP_1) | instskip(NEXT) | instid1(VALU_DEP_1)
	v_sub_nc_u32_e32 v10, v10, v7
	v_mad_u64_u32 v[7:8], null, s39, v10, v[0:1]
	s_delay_alu instid0(VALU_DEP_1)
	v_mov_b32_e32 v0, v7
	s_cbranch_scc1 .LBB19_16
.LBB19_17:                              ;   in Loop: Header=BB19_3 Depth=1
	s_set_inst_prefetch_distance 0x2
	s_delay_alu instid0(VALU_DEP_1)
	v_mad_u64_u32 v[7:8], null, s22, v3, v[0:1]
.LBB19_18:                              ;   in Loop: Header=BB19_3 Depth=1
	s_or_b32 exec_lo, exec_lo, s1
	v_mov_b32_e32 v3, 0
	s_and_saveexec_b32 s18, s0
	s_cbranch_execz .LBB19_23
; %bb.19:                               ;   in Loop: Header=BB19_3 Depth=1
	v_mov_b32_e32 v0, 0
	s_and_not1_b32 vcc_lo, exec_lo, s24
	s_cbranch_vccnz .LBB19_22
; %bb.20:                               ;   in Loop: Header=BB19_3 Depth=1
	v_mov_b32_e32 v0, 0
	s_mov_b64 s[0:1], s[16:17]
	s_mov_b32 s19, s28
	s_set_inst_prefetch_distance 0x1
	.p2align	6
.LBB19_21:                              ;   Parent Loop BB19_3 Depth=1
                                        ; =>  This Inner Loop Header: Depth=2
	s_clause 0x1
	s_load_b32 s37, s[0:1], 0x0
	s_load_b32 s38, s[0:1], 0x64
	s_add_i32 s19, s19, -1
	v_mov_b32_e32 v10, v9
	s_waitcnt lgkmcnt(0)
	v_cvt_f32_u32_e32 v3, s37
	s_sub_i32 s39, 0, s37
	s_add_u32 s0, s0, -4
	s_addc_u32 s1, s1, -1
	s_cmp_gt_u32 s19, 2
	v_rcp_iflag_f32_e32 v3, v3
	s_waitcnt_depctr 0xfff
	v_mul_f32_e32 v3, 0x4f7ffffe, v3
	s_delay_alu instid0(VALU_DEP_1) | instskip(NEXT) | instid1(VALU_DEP_1)
	v_cvt_u32_f32_e32 v3, v3
	v_mul_lo_u32 v8, s39, v3
	s_delay_alu instid0(VALU_DEP_1) | instskip(NEXT) | instid1(VALU_DEP_1)
	v_mul_hi_u32 v8, v3, v8
	v_add_nc_u32_e32 v3, v3, v8
	s_delay_alu instid0(VALU_DEP_1) | instskip(NEXT) | instid1(VALU_DEP_1)
	v_mul_hi_u32 v3, v10, v3
	v_mul_lo_u32 v8, v3, s37
	v_add_nc_u32_e32 v9, 1, v3
	s_delay_alu instid0(VALU_DEP_2) | instskip(NEXT) | instid1(VALU_DEP_1)
	v_sub_nc_u32_e32 v8, v10, v8
	v_subrev_nc_u32_e32 v11, s37, v8
	v_cmp_le_u32_e32 vcc_lo, s37, v8
	s_delay_alu instid0(VALU_DEP_2) | instskip(NEXT) | instid1(VALU_DEP_1)
	v_dual_cndmask_b32 v3, v3, v9 :: v_dual_cndmask_b32 v8, v8, v11
	v_add_nc_u32_e32 v9, 1, v3
	s_delay_alu instid0(VALU_DEP_2) | instskip(NEXT) | instid1(VALU_DEP_2)
	v_cmp_le_u32_e32 vcc_lo, s37, v8
	v_cndmask_b32_e32 v9, v3, v9, vcc_lo
	s_delay_alu instid0(VALU_DEP_1) | instskip(NEXT) | instid1(VALU_DEP_1)
	v_mul_lo_u32 v3, v9, s37
	v_sub_nc_u32_e32 v3, v10, v3
	s_delay_alu instid0(VALU_DEP_1) | instskip(NEXT) | instid1(VALU_DEP_1)
	v_mad_u64_u32 v[10:11], null, s38, v3, v[0:1]
	v_mov_b32_e32 v0, v10
	s_cbranch_scc1 .LBB19_21
.LBB19_22:                              ;   in Loop: Header=BB19_3 Depth=1
	s_set_inst_prefetch_distance 0x2
	s_delay_alu instid0(VALU_DEP_1) | instskip(NEXT) | instid1(VALU_DEP_1)
	v_mad_u64_u32 v[10:11], null, s21, v9, v[0:1]
	v_mov_b32_e32 v3, v10
.LBB19_23:                              ;   in Loop: Header=BB19_3 Depth=1
	s_or_b32 exec_lo, exec_lo, s18
	v_or_b32_e32 v11, 2, v30
	v_cmp_lt_i32_e64 s0, 2, v32
	v_mov_b32_e32 v8, 0
	s_delay_alu instid0(VALU_DEP_2)
	s_and_saveexec_b32 s1, s0
	s_cbranch_execz .LBB19_28
; %bb.24:                               ;   in Loop: Header=BB19_3 Depth=1
	v_mov_b32_e32 v0, 0
	v_mov_b32_e32 v10, v11
	s_and_not1_b32 vcc_lo, exec_lo, s23
	s_cbranch_vccnz .LBB19_27
; %bb.25:                               ;   in Loop: Header=BB19_3 Depth=1
	v_mov_b32_e32 v0, 0
	v_mov_b32_e32 v10, v11
	s_mov_b64 s[18:19], s[14:15]
	s_mov_b32 s37, s27
	s_set_inst_prefetch_distance 0x1
	.p2align	6
.LBB19_26:                              ;   Parent Loop BB19_3 Depth=1
                                        ; =>  This Inner Loop Header: Depth=2
	s_clause 0x1
	s_load_b32 s38, s[18:19], 0x0
	s_load_b32 s39, s[18:19], 0x64
	v_mov_b32_e32 v12, v10
	s_add_i32 s37, s37, -1
	s_waitcnt lgkmcnt(0)
	v_cvt_f32_u32_e32 v8, s38
	s_sub_i32 s40, 0, s38
	s_add_u32 s18, s18, -4
	s_addc_u32 s19, s19, -1
	s_cmp_gt_u32 s37, 2
	v_rcp_iflag_f32_e32 v8, v8
	s_waitcnt_depctr 0xfff
	v_mul_f32_e32 v8, 0x4f7ffffe, v8
	s_delay_alu instid0(VALU_DEP_1) | instskip(NEXT) | instid1(VALU_DEP_1)
	v_cvt_u32_f32_e32 v8, v8
	v_mul_lo_u32 v9, s40, v8
	s_delay_alu instid0(VALU_DEP_1) | instskip(NEXT) | instid1(VALU_DEP_1)
	v_mul_hi_u32 v9, v8, v9
	v_add_nc_u32_e32 v8, v8, v9
	s_delay_alu instid0(VALU_DEP_1) | instskip(NEXT) | instid1(VALU_DEP_1)
	v_mul_hi_u32 v8, v12, v8
	v_mul_lo_u32 v9, v8, s38
	v_add_nc_u32_e32 v10, 1, v8
	s_delay_alu instid0(VALU_DEP_2) | instskip(NEXT) | instid1(VALU_DEP_1)
	v_sub_nc_u32_e32 v9, v12, v9
	v_subrev_nc_u32_e32 v13, s38, v9
	v_cmp_le_u32_e32 vcc_lo, s38, v9
	s_delay_alu instid0(VALU_DEP_2) | instskip(NEXT) | instid1(VALU_DEP_1)
	v_dual_cndmask_b32 v9, v9, v13 :: v_dual_cndmask_b32 v8, v8, v10
	v_cmp_le_u32_e32 vcc_lo, s38, v9
	s_delay_alu instid0(VALU_DEP_2) | instskip(NEXT) | instid1(VALU_DEP_1)
	v_add_nc_u32_e32 v10, 1, v8
	v_cndmask_b32_e32 v10, v8, v10, vcc_lo
	s_delay_alu instid0(VALU_DEP_1) | instskip(NEXT) | instid1(VALU_DEP_1)
	v_mul_lo_u32 v8, v10, s38
	v_sub_nc_u32_e32 v12, v12, v8
	s_delay_alu instid0(VALU_DEP_1) | instskip(NEXT) | instid1(VALU_DEP_1)
	v_mad_u64_u32 v[8:9], null, s39, v12, v[0:1]
	v_mov_b32_e32 v0, v8
	s_cbranch_scc1 .LBB19_26
.LBB19_27:                              ;   in Loop: Header=BB19_3 Depth=1
	s_set_inst_prefetch_distance 0x2
	s_delay_alu instid0(VALU_DEP_1)
	v_mad_u64_u32 v[8:9], null, s22, v10, v[0:1]
.LBB19_28:                              ;   in Loop: Header=BB19_3 Depth=1
	s_or_b32 exec_lo, exec_lo, s1
	v_mov_b32_e32 v9, 0
	v_mov_b32_e32 v10, 0
	s_and_saveexec_b32 s18, s0
	s_cbranch_execz .LBB19_33
; %bb.29:                               ;   in Loop: Header=BB19_3 Depth=1
	v_mov_b32_e32 v0, 0
	s_and_not1_b32 vcc_lo, exec_lo, s24
	s_cbranch_vccnz .LBB19_32
; %bb.30:                               ;   in Loop: Header=BB19_3 Depth=1
	v_mov_b32_e32 v0, 0
	s_mov_b64 s[0:1], s[16:17]
	s_mov_b32 s19, s28
	s_set_inst_prefetch_distance 0x1
	.p2align	6
.LBB19_31:                              ;   Parent Loop BB19_3 Depth=1
                                        ; =>  This Inner Loop Header: Depth=2
	s_clause 0x1
	s_load_b32 s37, s[0:1], 0x0
	s_load_b32 s38, s[0:1], 0x64
	s_add_i32 s19, s19, -1
	v_mov_b32_e32 v12, v11
	s_waitcnt lgkmcnt(0)
	v_cvt_f32_u32_e32 v9, s37
	s_sub_i32 s39, 0, s37
	s_add_u32 s0, s0, -4
	s_addc_u32 s1, s1, -1
	s_cmp_gt_u32 s19, 2
	v_rcp_iflag_f32_e32 v9, v9
	s_waitcnt_depctr 0xfff
	v_mul_f32_e32 v9, 0x4f7ffffe, v9
	s_delay_alu instid0(VALU_DEP_1) | instskip(NEXT) | instid1(VALU_DEP_1)
	v_cvt_u32_f32_e32 v9, v9
	v_mul_lo_u32 v10, s39, v9
	s_delay_alu instid0(VALU_DEP_1) | instskip(NEXT) | instid1(VALU_DEP_1)
	v_mul_hi_u32 v10, v9, v10
	v_add_nc_u32_e32 v9, v9, v10
	s_delay_alu instid0(VALU_DEP_1) | instskip(NEXT) | instid1(VALU_DEP_1)
	v_mul_hi_u32 v9, v12, v9
	v_mul_lo_u32 v10, v9, s37
	v_add_nc_u32_e32 v11, 1, v9
	s_delay_alu instid0(VALU_DEP_2) | instskip(NEXT) | instid1(VALU_DEP_1)
	v_sub_nc_u32_e32 v10, v12, v10
	v_subrev_nc_u32_e32 v13, s37, v10
	v_cmp_le_u32_e32 vcc_lo, s37, v10
	s_delay_alu instid0(VALU_DEP_2) | instskip(NEXT) | instid1(VALU_DEP_1)
	v_dual_cndmask_b32 v9, v9, v11 :: v_dual_cndmask_b32 v10, v10, v13
	v_add_nc_u32_e32 v11, 1, v9
	s_delay_alu instid0(VALU_DEP_2) | instskip(NEXT) | instid1(VALU_DEP_2)
	v_cmp_le_u32_e32 vcc_lo, s37, v10
	v_cndmask_b32_e32 v11, v9, v11, vcc_lo
	s_delay_alu instid0(VALU_DEP_1) | instskip(NEXT) | instid1(VALU_DEP_1)
	v_mul_lo_u32 v9, v11, s37
	v_sub_nc_u32_e32 v12, v12, v9
	s_delay_alu instid0(VALU_DEP_1) | instskip(NEXT) | instid1(VALU_DEP_1)
	v_mad_u64_u32 v[9:10], null, s38, v12, v[0:1]
	v_mov_b32_e32 v0, v9
	s_cbranch_scc1 .LBB19_31
.LBB19_32:                              ;   in Loop: Header=BB19_3 Depth=1
	s_set_inst_prefetch_distance 0x2
	s_delay_alu instid0(VALU_DEP_1)
	v_mad_u64_u32 v[9:10], null, s21, v11, v[0:1]
	v_mov_b32_e32 v10, v4
.LBB19_33:                              ;   in Loop: Header=BB19_3 Depth=1
	s_or_b32 exec_lo, exec_lo, s18
	v_mov_b32_e32 v11, 0
	v_or_b32_e32 v15, 3, v30
	v_mov_b32_e32 v12, 0
	v_cmp_lt_i32_e64 s0, 3, v32
	s_delay_alu instid0(VALU_DEP_1)
	s_and_saveexec_b32 s1, s0
	s_cbranch_execz .LBB19_38
; %bb.34:                               ;   in Loop: Header=BB19_3 Depth=1
	v_dual_mov_b32 v0, 0 :: v_dual_mov_b32 v13, v15
	s_and_not1_b32 vcc_lo, exec_lo, s23
	s_cbranch_vccnz .LBB19_37
; %bb.35:                               ;   in Loop: Header=BB19_3 Depth=1
	v_dual_mov_b32 v0, 0 :: v_dual_mov_b32 v13, v15
	s_mov_b64 s[18:19], s[14:15]
	s_mov_b32 s37, s27
	s_set_inst_prefetch_distance 0x1
	.p2align	6
.LBB19_36:                              ;   Parent Loop BB19_3 Depth=1
                                        ; =>  This Inner Loop Header: Depth=2
	s_clause 0x1
	s_load_b32 s38, s[18:19], 0x0
	s_load_b32 s39, s[18:19], 0x64
	s_add_i32 s37, s37, -1
	v_mov_b32_e32 v14, v13
	s_waitcnt lgkmcnt(0)
	v_cvt_f32_u32_e32 v11, s38
	s_sub_i32 s40, 0, s38
	s_add_u32 s18, s18, -4
	s_addc_u32 s19, s19, -1
	s_cmp_gt_u32 s37, 2
	v_rcp_iflag_f32_e32 v11, v11
	s_waitcnt_depctr 0xfff
	v_mul_f32_e32 v11, 0x4f7ffffe, v11
	s_delay_alu instid0(VALU_DEP_1) | instskip(NEXT) | instid1(VALU_DEP_1)
	v_cvt_u32_f32_e32 v11, v11
	v_mul_lo_u32 v12, s40, v11
	s_delay_alu instid0(VALU_DEP_1) | instskip(NEXT) | instid1(VALU_DEP_1)
	v_mul_hi_u32 v12, v11, v12
	v_add_nc_u32_e32 v11, v11, v12
	s_delay_alu instid0(VALU_DEP_1) | instskip(NEXT) | instid1(VALU_DEP_1)
	v_mul_hi_u32 v11, v14, v11
	v_mul_lo_u32 v12, v11, s38
	s_delay_alu instid0(VALU_DEP_1) | instskip(NEXT) | instid1(VALU_DEP_1)
	v_sub_nc_u32_e32 v12, v14, v12
	v_subrev_nc_u32_e32 v16, s38, v12
	v_cmp_le_u32_e32 vcc_lo, s38, v12
	s_delay_alu instid0(VALU_DEP_2) | instskip(NEXT) | instid1(VALU_DEP_1)
	v_dual_cndmask_b32 v12, v12, v16 :: v_dual_add_nc_u32 v13, 1, v11
	v_cndmask_b32_e32 v11, v11, v13, vcc_lo
	s_delay_alu instid0(VALU_DEP_2) | instskip(NEXT) | instid1(VALU_DEP_2)
	v_cmp_le_u32_e32 vcc_lo, s38, v12
	v_add_nc_u32_e32 v13, 1, v11
	s_delay_alu instid0(VALU_DEP_1) | instskip(NEXT) | instid1(VALU_DEP_1)
	v_cndmask_b32_e32 v13, v11, v13, vcc_lo
	v_mul_lo_u32 v11, v13, s38
	s_delay_alu instid0(VALU_DEP_1) | instskip(NEXT) | instid1(VALU_DEP_1)
	v_sub_nc_u32_e32 v14, v14, v11
	v_mad_u64_u32 v[11:12], null, s39, v14, v[0:1]
	s_delay_alu instid0(VALU_DEP_1)
	v_mov_b32_e32 v0, v11
	s_cbranch_scc1 .LBB19_36
.LBB19_37:                              ;   in Loop: Header=BB19_3 Depth=1
	s_set_inst_prefetch_distance 0x2
	s_delay_alu instid0(VALU_DEP_1)
	v_mad_u64_u32 v[11:12], null, s22, v13, v[0:1]
	v_mov_b32_e32 v12, v4
.LBB19_38:                              ;   in Loop: Header=BB19_3 Depth=1
	s_or_b32 exec_lo, exec_lo, s1
	v_mov_b32_e32 v13, 0
	v_mov_b32_e32 v14, 0
	s_and_saveexec_b32 s18, s0
	s_cbranch_execz .LBB19_43
; %bb.39:                               ;   in Loop: Header=BB19_3 Depth=1
	v_mov_b32_e32 v0, 0
	s_and_not1_b32 vcc_lo, exec_lo, s24
	s_cbranch_vccnz .LBB19_42
; %bb.40:                               ;   in Loop: Header=BB19_3 Depth=1
	v_mov_b32_e32 v0, 0
	s_mov_b64 s[0:1], s[16:17]
	s_mov_b32 s19, s28
	s_set_inst_prefetch_distance 0x1
	.p2align	6
.LBB19_41:                              ;   Parent Loop BB19_3 Depth=1
                                        ; =>  This Inner Loop Header: Depth=2
	s_clause 0x1
	s_load_b32 s37, s[0:1], 0x0
	s_load_b32 s38, s[0:1], 0x64
	s_add_i32 s19, s19, -1
	v_mov_b32_e32 v16, v15
	s_waitcnt lgkmcnt(0)
	v_cvt_f32_u32_e32 v13, s37
	s_sub_i32 s39, 0, s37
	s_add_u32 s0, s0, -4
	s_addc_u32 s1, s1, -1
	s_cmp_gt_u32 s19, 2
	v_rcp_iflag_f32_e32 v13, v13
	s_waitcnt_depctr 0xfff
	v_mul_f32_e32 v13, 0x4f7ffffe, v13
	s_delay_alu instid0(VALU_DEP_1) | instskip(NEXT) | instid1(VALU_DEP_1)
	v_cvt_u32_f32_e32 v13, v13
	v_mul_lo_u32 v14, s39, v13
	s_delay_alu instid0(VALU_DEP_1) | instskip(NEXT) | instid1(VALU_DEP_1)
	v_mul_hi_u32 v14, v13, v14
	v_add_nc_u32_e32 v13, v13, v14
	s_delay_alu instid0(VALU_DEP_1) | instskip(NEXT) | instid1(VALU_DEP_1)
	v_mul_hi_u32 v13, v16, v13
	v_mul_lo_u32 v14, v13, s37
	v_add_nc_u32_e32 v15, 1, v13
	s_delay_alu instid0(VALU_DEP_2) | instskip(NEXT) | instid1(VALU_DEP_1)
	v_sub_nc_u32_e32 v14, v16, v14
	v_subrev_nc_u32_e32 v17, s37, v14
	v_cmp_le_u32_e32 vcc_lo, s37, v14
	s_delay_alu instid0(VALU_DEP_2) | instskip(NEXT) | instid1(VALU_DEP_1)
	v_dual_cndmask_b32 v13, v13, v15 :: v_dual_cndmask_b32 v14, v14, v17
	v_add_nc_u32_e32 v15, 1, v13
	s_delay_alu instid0(VALU_DEP_2) | instskip(NEXT) | instid1(VALU_DEP_2)
	v_cmp_le_u32_e32 vcc_lo, s37, v14
	v_cndmask_b32_e32 v15, v13, v15, vcc_lo
	s_delay_alu instid0(VALU_DEP_1) | instskip(NEXT) | instid1(VALU_DEP_1)
	v_mul_lo_u32 v13, v15, s37
	v_sub_nc_u32_e32 v16, v16, v13
	s_delay_alu instid0(VALU_DEP_1) | instskip(NEXT) | instid1(VALU_DEP_1)
	v_mad_u64_u32 v[13:14], null, s38, v16, v[0:1]
	v_mov_b32_e32 v0, v13
	s_cbranch_scc1 .LBB19_41
.LBB19_42:                              ;   in Loop: Header=BB19_3 Depth=1
	s_set_inst_prefetch_distance 0x2
	s_delay_alu instid0(VALU_DEP_1)
	v_mad_u64_u32 v[13:14], null, s21, v15, v[0:1]
	v_mov_b32_e32 v14, v4
.LBB19_43:                              ;   in Loop: Header=BB19_3 Depth=1
	s_or_b32 exec_lo, exec_lo, s18
	s_delay_alu instid0(VALU_DEP_1) | instskip(SKIP_2) | instid1(VALU_DEP_3)
	v_lshlrev_b64 v[13:14], 2, v[13:14]
	v_dual_mov_b32 v18, s7 :: v_dual_mov_b32 v17, s6
	v_dual_mov_b32 v20, s5 :: v_dual_mov_b32 v19, s4
	v_add_co_u32 v13, vcc_lo, s8, v13
	s_delay_alu instid0(VALU_DEP_4)
	v_add_co_ci_u32_e32 v14, vcc_lo, s9, v14, vcc_lo
	s_and_not1_b32 vcc_lo, exec_lo, s25
	global_load_b32 v0, v[13:14], off
	s_cbranch_vccnz .LBB19_45
; %bb.44:                               ;   in Loop: Header=BB19_3 Depth=1
	v_dual_mov_b32 v14, s7 :: v_dual_mov_b32 v13, s6
	v_dual_mov_b32 v16, s5 :: v_dual_mov_b32 v15, s4
	flat_load_b64 v[13:14], v[13:14]
	flat_load_b64 v[19:20], v[15:16]
	s_waitcnt vmcnt(1) lgkmcnt(1)
	v_add_co_u32 v17, vcc_lo, v13, s2
	v_add_co_ci_u32_e32 v18, vcc_lo, s3, v14, vcc_lo
.LBB19_45:                              ;   in Loop: Header=BB19_3 Depth=1
	s_delay_alu instid0(VALU_DEP_1)
	v_alignbit_b32 v16, v18, v17, 2
	v_lshrrev_b32_e32 v15, 2, v18
	s_waitcnt vmcnt(0) lgkmcnt(0)
	v_add_nc_u32_e32 v33, 0x9e3779b9, v19
	v_add_nc_u32_e32 v35, 0x76cf5d0a, v20
	;; [unrolled: 1-line block ×3, first 2 shown]
	v_add_co_u32 v18, vcc_lo, v16, 1
	s_delay_alu instid0(VALU_DEP_1) | instskip(SKIP_4) | instid1(VALU_DEP_4)
	v_cndmask_b32_e64 v13, 0, 1, vcc_lo
	v_add_co_ci_u32_e32 v27, vcc_lo, 0, v15, vcc_lo
	v_xor3_b32 v23, v31, v19, v15
	v_add_nc_u32_e32 v37, 0x32370b8f, v20
	v_add_nc_u32_e32 v38, 0xed9eba14, v20
	v_cmp_eq_u32_e32 vcc_lo, 0, v27
	v_add_nc_u32_e32 v39, 0x1715609d, v19
	v_add_nc_u32_e32 v40, 0xa9066899, v20
	s_mov_b32 s0, exec_lo
	v_dual_cndmask_b32 v21, 0, v13 :: v_dual_add_nc_u32 v34, 0xbb67ae85, v20
	v_mad_u64_u32 v[13:14], null, 0xd2511f53, v18, 0
	s_delay_alu instid0(VALU_DEP_2) | instskip(NEXT) | instid1(VALU_DEP_2)
	v_add_nc_u32_e32 v18, v21, v1
	v_xor_b32_e32 v22, v14, v20
	s_delay_alu instid0(VALU_DEP_2) | instskip(SKIP_2) | instid1(VALU_DEP_1)
	v_cmp_eq_u32_e32 vcc_lo, 0, v18
	v_mad_u64_u32 v[14:15], null, 0xd2511f53, v16, 0
	v_cndmask_b32_e32 v21, 0, v21, vcc_lo
	v_xor_b32_e32 v16, v21, v22
	v_mad_u64_u32 v[21:22], null, 0xd2511f53, v23, 0
	v_mad_u64_u32 v[23:24], null, 0xcd9e8d57, v18, 0
	v_add_nc_u32_e32 v18, 0x3c6ef372, v19
	s_delay_alu instid0(VALU_DEP_4) | instskip(SKIP_2) | instid1(VALU_DEP_2)
	v_mad_u64_u32 v[25:26], null, 0xcd9e8d57, v16, 0
	v_xor_b32_e32 v16, v15, v20
	v_xor3_b32 v28, v34, v22, v14
	v_mad_u64_u32 v[14:15], null, 0xcd9e8d57, v16, 0
	v_xor3_b32 v16, v24, v19, v27
	v_xor3_b32 v24, v33, v26, v23
	s_delay_alu instid0(VALU_DEP_4) | instskip(NEXT) | instid1(VALU_DEP_3)
	v_mad_u64_u32 v[22:23], null, 0xcd9e8d57, v28, 0
	v_mad_u64_u32 v[26:27], null, 0xd2511f53, v16, 0
	s_delay_alu instid0(VALU_DEP_3) | instskip(SKIP_1) | instid1(VALU_DEP_4)
	v_mad_u64_u32 v[28:29], null, 0xd2511f53, v24, 0
	v_xor3_b32 v16, v2, v15, v33
	v_xor3_b32 v33, v18, v23, v14
	s_delay_alu instid0(VALU_DEP_4) | instskip(NEXT) | instid1(VALU_DEP_3)
	v_xor3_b32 v13, v34, v27, v13
	v_mad_u64_u32 v[14:15], null, 0xd2511f53, v16, 0
	v_xor3_b32 v16, v35, v29, v26
	s_delay_alu instid0(VALU_DEP_4) | instskip(NEXT) | instid1(VALU_DEP_4)
	v_mad_u64_u32 v[23:24], null, 0xd2511f53, v33, 0
	v_mad_u64_u32 v[26:27], null, 0xcd9e8d57, v13, 0
	s_delay_alu instid0(VALU_DEP_3) | instskip(SKIP_4) | instid1(VALU_DEP_4)
	v_mad_u64_u32 v[33:34], null, 0xcd9e8d57, v16, 0
	v_xor3_b32 v15, v35, v15, v21
	v_add_nc_u32_e32 v29, 0x78dde6e4, v19
	v_xor3_b32 v21, v37, v24, v14
	v_xor3_b32 v18, v18, v27, v25
	v_mad_u64_u32 v[13:14], null, 0xcd9e8d57, v15, 0
	v_xor3_b32 v34, v36, v34, v26
	s_delay_alu instid0(VALU_DEP_4) | instskip(NEXT) | instid1(VALU_DEP_4)
	v_mad_u64_u32 v[15:16], null, 0xcd9e8d57, v21, 0
	v_mad_u64_u32 v[24:25], null, 0xd2511f53, v18, 0
	s_delay_alu instid0(VALU_DEP_3) | instskip(SKIP_1) | instid1(VALU_DEP_4)
	v_mad_u64_u32 v[26:27], null, 0xd2511f53, v34, 0
	v_xor3_b32 v18, v36, v14, v22
	v_xor3_b32 v16, v29, v16, v13
	s_delay_alu instid0(VALU_DEP_2) | instskip(SKIP_2) | instid1(VALU_DEP_4)
	v_mad_u64_u32 v[13:14], null, 0xd2511f53, v18, 0
	v_xor3_b32 v18, v37, v25, v28
	v_xor3_b32 v24, v38, v27, v24
	v_mad_u64_u32 v[27:28], null, 0xd2511f53, v16, 0
	s_delay_alu instid0(VALU_DEP_3) | instskip(NEXT) | instid1(VALU_DEP_3)
	v_mad_u64_u32 v[21:22], null, 0xcd9e8d57, v18, 0
	v_mad_u64_u32 v[34:35], null, 0xcd9e8d57, v24, 0
	v_xor3_b32 v16, v38, v14, v23
	s_delay_alu instid0(VALU_DEP_4) | instskip(SKIP_2) | instid1(VALU_DEP_4)
	v_xor3_b32 v24, v40, v28, v13
	v_add_nc_u32_e32 v18, 0xb54cda56, v19
	v_add_nc_u32_e32 v23, 0x646e171e, v20
	v_mad_u64_u32 v[13:14], null, 0xcd9e8d57, v16, 0
	v_xor3_b32 v16, v29, v22, v33
	v_xor3_b32 v25, v39, v35, v21
	v_mad_u64_u32 v[35:36], null, 0xcd9e8d57, v24, 0
	v_add_nc_u32_e32 v29, 0x5384540f, v19
	s_delay_alu instid0(VALU_DEP_4) | instskip(NEXT) | instid1(VALU_DEP_4)
	v_mad_u64_u32 v[21:22], null, 0xd2511f53, v16, 0
	v_mad_u64_u32 v[37:38], null, 0xd2511f53, v25, 0
	v_xor3_b32 v15, v39, v14, v15
	v_xor3_b32 v16, v18, v36, v13
	v_add_nc_u32_e32 v39, 0x1fd5c5a3, v20
	v_add_co_u32 v33, null, 0xf1bbcdc8, v19
	v_xor3_b32 v24, v40, v22, v26
	v_xor3_b32 v26, v23, v38, v21
	v_mad_u64_u32 v[13:14], null, 0xd2511f53, v15, 0
	v_mad_u64_u32 v[21:22], null, 0xd2511f53, v16, 0
	s_delay_alu instid0(VALU_DEP_4) | instskip(NEXT) | instid1(VALU_DEP_4)
	v_mad_u64_u32 v[15:16], null, 0xcd9e8d57, v24, 0
	v_mad_u64_u32 v[24:25], null, 0xcd9e8d57, v26, 0
	s_delay_alu instid0(VALU_DEP_4) | instskip(NEXT) | instid1(VALU_DEP_4)
	v_xor3_b32 v23, v23, v14, v27
	v_xor3_b32 v26, v39, v22, v13
	s_delay_alu instid0(VALU_DEP_4) | instskip(NEXT) | instid1(VALU_DEP_3)
	v_xor3_b32 v18, v18, v16, v34
	v_mad_u64_u32 v[13:14], null, 0xcd9e8d57, v23, 0
	v_xor3_b32 v25, v29, v25, v15
	s_delay_alu instid0(VALU_DEP_4) | instskip(NEXT) | instid1(VALU_DEP_4)
	v_mad_u64_u32 v[22:23], null, 0xcd9e8d57, v26, 0
	v_mad_u64_u32 v[15:16], null, 0xd2511f53, v18, 0
	s_delay_alu instid0(VALU_DEP_3)
	v_mad_u64_u32 v[27:28], null, 0xd2511f53, v25, 0
	v_add_nc_u32_e32 v34, 0xdb3d7428, v20
	v_xor3_b32 v14, v29, v14, v35
	v_xor3_b32 v18, v33, v23, v13
	v_add_nc_u32_e32 v35, 0x96a522ad, v20
	v_xor3_b32 v16, v39, v16, v37
	v_and_b32_e32 v20, 3, v17
	v_xor3_b32 v23, v34, v28, v15
	v_mad_u64_u32 v[25:26], null, 0xd2511f53, v14, 0
	v_mad_u64_u32 v[13:14], null, 0xd2511f53, v18, 0
	;; [unrolled: 1-line block ×3, first 2 shown]
	s_delay_alu instid0(VALU_DEP_4) | instskip(SKIP_1) | instid1(VALU_DEP_4)
	v_mad_u64_u32 v[15:16], null, 0xcd9e8d57, v23, 0
	v_add_nc_u32_e32 v23, 0x8ff34781, v19
                                        ; implicit-def: $vgpr18
	v_xor3_b32 v19, v14, v25, v35
	s_delay_alu instid0(VALU_DEP_2)
	v_xor3_b32 v14, v16, v28, v23
	v_cmpx_lt_i32_e32 1, v20
	s_xor_b32 s0, exec_lo, s0
	s_cbranch_execz .LBB19_51
; %bb.46:                               ;   in Loop: Header=BB19_3 Depth=1
	s_mov_b32 s1, exec_lo
                                        ; implicit-def: $vgpr18
	v_cmpx_lt_i32_e32 2, v20
	s_xor_b32 s1, exec_lo, s1
; %bb.47:                               ;   in Loop: Header=BB19_3 Depth=1
	v_xor3_b32 v16, v33, v29, v24
                                        ; implicit-def: $vgpr19
	s_delay_alu instid0(VALU_DEP_1) | instskip(NEXT) | instid1(VALU_DEP_1)
	v_mul_hi_u32 v16, 0xd2511f53, v16
	v_xor3_b32 v18, v16, v27, v35
; %bb.48:                               ;   in Loop: Header=BB19_3 Depth=1
	s_and_not1_saveexec_b32 s1, s1
; %bb.49:                               ;   in Loop: Header=BB19_3 Depth=1
	v_dual_mov_b32 v18, v15 :: v_dual_mov_b32 v15, v14
	v_dual_mov_b32 v14, v13 :: v_dual_mov_b32 v13, v19
; %bb.50:                               ;   in Loop: Header=BB19_3 Depth=1
	s_or_b32 exec_lo, exec_lo, s1
                                        ; implicit-def: $vgpr21_vgpr22
                                        ; implicit-def: $vgpr20
                                        ; implicit-def: $vgpr19
                                        ; implicit-def: $vgpr34
                                        ; implicit-def: $vgpr25_vgpr26
                                        ; implicit-def: $vgpr22_vgpr23
                                        ; implicit-def: $vgpr23
.LBB19_51:                              ;   in Loop: Header=BB19_3 Depth=1
	s_and_not1_saveexec_b32 s0, s0
	s_cbranch_execz .LBB19_55
; %bb.52:                               ;   in Loop: Header=BB19_3 Depth=1
	v_xor3_b32 v15, v34, v26, v21
	v_cmp_eq_u32_e32 vcc_lo, 1, v20
	v_mov_b32_e32 v18, v13
	s_delay_alu instid0(VALU_DEP_3) | instskip(SKIP_1) | instid1(VALU_DEP_2)
	v_mad_u64_u32 v[16:17], null, 0xcd9e8d57, v15, 0
	v_mov_b32_e32 v15, v19
	v_xor3_b32 v20, v17, v22, v23
	s_delay_alu instid0(VALU_DEP_3)
	v_mov_b32_e32 v17, v16
	s_and_saveexec_b32 s1, vcc_lo
; %bb.53:                               ;   in Loop: Header=BB19_3 Depth=1
	v_dual_mov_b32 v18, v14 :: v_dual_mov_b32 v15, v13
	v_dual_mov_b32 v17, v19 :: v_dual_mov_b32 v20, v16
; %bb.54:                               ;   in Loop: Header=BB19_3 Depth=1
	s_or_b32 exec_lo, exec_lo, s1
	s_delay_alu instid0(VALU_DEP_1)
	v_dual_mov_b32 v13, v20 :: v_dual_mov_b32 v14, v17
.LBB19_55:                              ;   in Loop: Header=BB19_3 Depth=1
	s_or_b32 exec_lo, exec_lo, s0
	v_min_i32_e32 v16, 4, v32
	s_mov_b32 s1, 0
	s_mov_b32 s40, 0
	;; [unrolled: 1-line block ×3, first 2 shown]
                                        ; implicit-def: $sgpr19
                                        ; implicit-def: $sgpr37
                                        ; implicit-def: $sgpr38
	s_mov_b32 s0, exec_lo
	v_cmpx_lt_i32_e32 2, v16
	s_xor_b32 s39, exec_lo, s0
	s_cbranch_execz .LBB19_67
; %bb.56:                               ;   in Loop: Header=BB19_3 Depth=1
	s_mov_b32 s0, -1
	s_mov_b32 s41, 0
	s_mov_b32 s37, exec_lo
                                        ; implicit-def: $sgpr18
                                        ; implicit-def: $sgpr19
	v_cmpx_lt_i32_e32 3, v16
	s_cbranch_execz .LBB19_62
; %bb.57:                               ;   in Loop: Header=BB19_3 Depth=1
	s_mov_b32 s0, 0
	s_mov_b32 s41, -1
	s_mov_b32 s38, exec_lo
                                        ; implicit-def: $sgpr18
                                        ; implicit-def: $sgpr19
	v_cmpx_eq_u32_e32 4, v16
	s_cbranch_execz .LBB19_61
; %bb.58:                               ;   in Loop: Header=BB19_3 Depth=1
	v_cmp_le_f32_e32 vcc_lo, 0, v0
	v_cmp_ge_f32_e64 s0, 1.0, v0
	s_mov_b32 s18, 0
	s_delay_alu instid0(VALU_DEP_1)
	s_and_b32 s41, vcc_lo, s0
	s_mov_b32 s0, 0
	s_and_saveexec_b32 s19, s41
	s_cbranch_execz .LBB19_60
; %bb.59:                               ;   in Loop: Header=BB19_3 Depth=1
	v_cvt_f32_u32_e32 v17, v18
	v_add_co_u32 v11, vcc_lo, s10, v11
	v_add_co_ci_u32_e32 v12, vcc_lo, s11, v12, vcc_lo
	s_delay_alu instid0(VALU_DEP_3) | instskip(SKIP_1) | instid1(VALU_DEP_1)
	v_fmaak_f32 v17, 0x2f800000, v17, 0x2f800000
	s_mov_b32 s0, exec_lo
	v_cmp_le_f32_e32 vcc_lo, v17, v0
	v_cndmask_b32_e64 v0, 0, 1, vcc_lo
	global_store_b8 v[11:12], v0, off
.LBB19_60:                              ;   in Loop: Header=BB19_3 Depth=1
	s_or_b32 exec_lo, exec_lo, s19
	s_mov_b32 s19, -1
	s_xor_b32 s41, exec_lo, -1
	s_and_b32 s0, s0, exec_lo
.LBB19_61:                              ;   in Loop: Header=BB19_3 Depth=1
	s_or_b32 exec_lo, exec_lo, s38
	s_delay_alu instid0(SALU_CYCLE_1)
	s_and_b32 s41, s41, exec_lo
	s_or_not1_b32 s0, s0, exec_lo
.LBB19_62:                              ;   in Loop: Header=BB19_3 Depth=1
	s_or_b32 exec_lo, exec_lo, s37
	s_mov_b32 s38, s18
	s_and_saveexec_b32 s37, s0
	s_cbranch_execz .LBB19_66
; %bb.63:                               ;   in Loop: Header=BB19_3 Depth=1
	v_lshlrev_b64 v[9:10], 2, v[9:10]
	s_delay_alu instid0(VALU_DEP_1) | instskip(NEXT) | instid1(VALU_DEP_2)
	v_add_co_u32 v9, vcc_lo, s8, v9
	v_add_co_ci_u32_e32 v10, vcc_lo, s9, v10, vcc_lo
	global_load_b32 v0, v[9:10], off
	s_waitcnt vmcnt(0)
	v_cmp_le_f32_e32 vcc_lo, 0, v0
	v_cmp_ge_f32_e64 s0, 1.0, v0
	s_delay_alu instid0(VALU_DEP_1) | instskip(SKIP_2) | instid1(SALU_CYCLE_1)
	s_and_b32 s38, vcc_lo, s0
	s_mov_b32 s0, 0
	s_and_saveexec_b32 s40, s38
	s_xor_b32 s38, exec_lo, s40
	s_cbranch_execz .LBB19_65
; %bb.64:                               ;   in Loop: Header=BB19_3 Depth=1
	v_cvt_f32_u32_e32 v9, v15
	s_mov_b32 s0, exec_lo
	s_delay_alu instid0(VALU_DEP_1) | instskip(NEXT) | instid1(VALU_DEP_1)
	v_fmaak_f32 v9, 0x2f800000, v9, 0x2f800000
	v_cmp_le_f32_e32 vcc_lo, v9, v0
	v_cndmask_b32_e64 v0, 0, 1, vcc_lo
	global_store_b8 v8, v0, s[10:11]
.LBB19_65:                              ;   in Loop: Header=BB19_3 Depth=1
	s_or_b32 exec_lo, exec_lo, s38
	s_delay_alu instid0(SALU_CYCLE_1)
	s_and_not1_b32 s38, s18, exec_lo
	s_or_b32 s18, s18, exec_lo
	s_and_not1_b32 s19, s19, exec_lo
	s_and_b32 s40, s0, exec_lo
.LBB19_66:                              ;   in Loop: Header=BB19_3 Depth=1
	s_or_b32 exec_lo, exec_lo, s37
	s_delay_alu instid0(SALU_CYCLE_1)
	s_and_b32 s38, s38, exec_lo
	s_and_b32 s37, s18, exec_lo
	;; [unrolled: 1-line block ×5, first 2 shown]
.LBB19_67:                              ;   in Loop: Header=BB19_3 Depth=1
	s_and_not1_saveexec_b32 s0, s39
; %bb.68:                               ;   in Loop: Header=BB19_3 Depth=1
	v_cmp_lt_i32_e32 vcc_lo, 1, v16
	s_and_not1_b32 s39, s40, exec_lo
	s_mov_b32 s1, exec_lo
	s_and_not1_b32 s38, s38, exec_lo
	s_and_not1_b32 s37, s37, exec_lo
	s_and_b32 s40, vcc_lo, exec_lo
	s_and_not1_b32 s19, s19, exec_lo
	s_or_b32 s40, s39, s40
; %bb.69:                               ;   in Loop: Header=BB19_3 Depth=1
	s_or_b32 exec_lo, exec_lo, s0
	s_mov_b32 s0, 0
	s_mov_b32 s39, s38
	s_and_saveexec_b32 s41, s40
	s_cbranch_execnz .LBB19_72
; %bb.70:                               ;   in Loop: Header=BB19_3 Depth=1
	s_or_b32 exec_lo, exec_lo, s41
	s_and_saveexec_b32 s40, s1
	s_cbranch_execnz .LBB19_75
.LBB19_71:                              ;   in Loop: Header=BB19_3 Depth=1
	s_or_b32 exec_lo, exec_lo, s40
	s_and_saveexec_b32 s1, s0
	s_cbranch_execnz .LBB19_76
	s_branch .LBB19_79
.LBB19_72:                              ;   in Loop: Header=BB19_3 Depth=1
	v_lshlrev_b64 v[8:9], 2, v[3:4]
	s_mov_b32 s40, 0
	s_delay_alu instid0(VALU_DEP_1) | instskip(NEXT) | instid1(VALU_DEP_2)
	v_add_co_u32 v8, vcc_lo, s8, v8
	v_add_co_ci_u32_e32 v9, vcc_lo, s9, v9, vcc_lo
	global_load_b32 v0, v[8:9], off
	s_waitcnt vmcnt(0)
	v_cmp_le_f32_e32 vcc_lo, 0, v0
	v_cmp_ge_f32_e64 s0, 1.0, v0
	s_delay_alu instid0(VALU_DEP_1) | instskip(NEXT) | instid1(SALU_CYCLE_1)
	s_and_b32 s0, vcc_lo, s0
	s_and_saveexec_b32 s39, s0
	s_delay_alu instid0(SALU_CYCLE_1)
	s_xor_b32 s0, exec_lo, s39
	s_cbranch_execz .LBB19_74
; %bb.73:                               ;   in Loop: Header=BB19_3 Depth=1
	v_cvt_f32_u32_e32 v3, v14
	s_mov_b32 s40, exec_lo
	s_delay_alu instid0(VALU_DEP_1) | instskip(NEXT) | instid1(VALU_DEP_1)
	v_fmaak_f32 v3, 0x2f800000, v3, 0x2f800000
	v_cmp_le_f32_e32 vcc_lo, v3, v0
	v_cndmask_b32_e64 v0, 0, 1, vcc_lo
	global_store_b8 v7, v0, s[10:11]
.LBB19_74:                              ;   in Loop: Header=BB19_3 Depth=1
	s_or_b32 exec_lo, exec_lo, s0
	s_delay_alu instid0(SALU_CYCLE_1)
	s_and_not1_b32 s39, s38, exec_lo
	s_or_b32 s38, s38, exec_lo
	s_and_not1_b32 s37, s37, exec_lo
	s_and_not1_b32 s19, s19, exec_lo
	s_and_b32 s0, s40, exec_lo
	s_and_not1_b32 s1, s1, exec_lo
	s_or_b32 exec_lo, exec_lo, s41
	s_and_saveexec_b32 s40, s1
	s_cbranch_execz .LBB19_71
.LBB19_75:                              ;   in Loop: Header=BB19_3 Depth=1
	v_cmp_eq_u32_e32 vcc_lo, 1, v16
	s_and_not1_b32 s0, s0, exec_lo
	s_and_not1_b32 s39, s39, exec_lo
	;; [unrolled: 1-line block ×4, first 2 shown]
	s_and_b32 s1, vcc_lo, exec_lo
	s_and_not1_b32 s19, s19, exec_lo
	s_or_b32 s18, s18, exec_lo
	s_or_b32 s0, s0, s1
	s_or_b32 exec_lo, exec_lo, s40
	s_and_saveexec_b32 s1, s0
	s_cbranch_execz .LBB19_79
.LBB19_76:                              ;   in Loop: Header=BB19_3 Depth=1
	v_mov_b32_e32 v7, v4
	s_mov_b32 s40, 0
	s_delay_alu instid0(VALU_DEP_1) | instskip(NEXT) | instid1(VALU_DEP_1)
	v_lshlrev_b64 v[6:7], 2, v[6:7]
	v_add_co_u32 v6, vcc_lo, s8, v6
	s_delay_alu instid0(VALU_DEP_2) | instskip(SKIP_4) | instid1(VALU_DEP_1)
	v_add_co_ci_u32_e32 v7, vcc_lo, s9, v7, vcc_lo
	global_load_b32 v0, v[6:7], off
	s_waitcnt vmcnt(0)
	v_cmp_le_f32_e32 vcc_lo, 0, v0
	v_cmp_ge_f32_e64 s0, 1.0, v0
	s_and_b32 s41, vcc_lo, s0
	s_delay_alu instid0(SALU_CYCLE_1)
	s_and_saveexec_b32 s0, s41
	s_cbranch_execz .LBB19_78
; %bb.77:                               ;   in Loop: Header=BB19_3 Depth=1
	v_cvt_f32_u32_e32 v3, v13
	s_mov_b32 s40, exec_lo
	s_delay_alu instid0(VALU_DEP_1) | instskip(NEXT) | instid1(VALU_DEP_1)
	v_fmaak_f32 v3, 0x2f800000, v3, 0x2f800000
	v_cmp_le_f32_e32 vcc_lo, v3, v0
	v_cndmask_b32_e64 v0, 0, 1, vcc_lo
	global_store_b8 v5, v0, s[10:11]
.LBB19_78:                              ;   in Loop: Header=BB19_3 Depth=1
	s_or_b32 exec_lo, exec_lo, s0
	s_delay_alu instid0(SALU_CYCLE_1)
	s_and_not1_b32 s0, s18, exec_lo
	s_and_b32 s18, s40, exec_lo
	s_or_b32 s39, s39, exec_lo
	s_and_not1_b32 s38, s38, exec_lo
	s_and_not1_b32 s37, s37, exec_lo
	;; [unrolled: 1-line block ×3, first 2 shown]
	s_or_b32 s18, s0, s18
.LBB19_79:                              ;   in Loop: Header=BB19_3 Depth=1
	s_or_b32 exec_lo, exec_lo, s1
	s_delay_alu instid0(SALU_CYCLE_1)
	s_and_not1_b32 s1, s36, exec_lo
	s_and_b32 s36, s39, exec_lo
	s_and_not1_b32 s34, s34, exec_lo
	s_and_b32 s38, s38, exec_lo
	s_or_b32 s36, s1, s36
	s_and_not1_b32 s1, s35, exec_lo
	s_and_b32 s35, s37, exec_lo
	s_and_not1_b32 s33, s33, exec_lo
	s_and_b32 s19, s19, exec_lo
	s_mov_b32 s0, -1
	s_or_b32 s34, s34, s38
	s_or_b32 s35, s1, s35
	;; [unrolled: 1-line block ×3, first 2 shown]
	s_and_saveexec_b32 s1, s18
	s_cbranch_execz .LBB19_2
; %bb.80:                               ;   in Loop: Header=BB19_3 Depth=1
	v_add_nc_u32_e32 v30, s26, v30
	s_and_not1_b32 s36, s36, exec_lo
	s_and_not1_b32 s34, s34, exec_lo
	;; [unrolled: 1-line block ×4, first 2 shown]
	v_cmp_le_u32_e32 vcc_lo, s20, v30
	s_or_not1_b32 s0, vcc_lo, exec_lo
	s_branch .LBB19_2
.LBB19_81:
	s_or_b32 exec_lo, exec_lo, s13
	s_xor_b32 s3, s30, -1
	s_xor_b32 s4, s31, -1
	;; [unrolled: 1-line block ×3, first 2 shown]
	s_mov_b32 s1, 0
	s_and_saveexec_b32 s2, s0
	s_delay_alu instid0(SALU_CYCLE_1)
	s_xor_b32 s0, exec_lo, s2
	s_cbranch_execz .LBB19_90
; %bb.82:
	s_mov_b32 s2, 0
	s_and_saveexec_b32 s1, s4
	s_delay_alu instid0(SALU_CYCLE_1)
	s_xor_b32 s1, exec_lo, s1
	s_cbranch_execz .LBB19_88
; %bb.83:
	s_and_saveexec_b32 s4, s3
	s_delay_alu instid0(SALU_CYCLE_1)
	s_xor_b32 s3, exec_lo, s4
	s_cbranch_execz .LBB19_86
; %bb.84:
	s_and_saveexec_b32 s4, s12
	s_delay_alu instid0(SALU_CYCLE_1)
	s_xor_b32 s4, exec_lo, s4
	s_cbranch_execnz .LBB19_104
.LBB19_85:
	s_or_b32 exec_lo, exec_lo, s4
	s_delay_alu instid0(SALU_CYCLE_1)
	s_and_b32 s2, s2, exec_lo
.LBB19_86:
	s_and_not1_saveexec_b32 s3, s3
	s_cbranch_execnz .LBB19_100
.LBB19_87:
	s_or_b32 exec_lo, exec_lo, s3
	s_delay_alu instid0(SALU_CYCLE_1)
	s_and_b32 s2, s2, exec_lo
.LBB19_88:
	s_and_not1_saveexec_b32 s1, s1
	s_cbranch_execnz .LBB19_96
.LBB19_89:
	s_or_b32 exec_lo, exec_lo, s1
	s_delay_alu instid0(SALU_CYCLE_1)
	s_and_b32 s1, s2, exec_lo
.LBB19_90:
	s_and_not1_saveexec_b32 s0, s0
	s_cbranch_execnz .LBB19_94
; %bb.91:
	s_or_b32 exec_lo, exec_lo, s0
	s_delay_alu instid0(SALU_CYCLE_1)
	s_and_b32 exec_lo, exec_lo, s1
.LBB19_92:
	; divergent unreachable
.LBB19_93:
	s_nop 0
	s_sendmsg sendmsg(MSG_DEALLOC_VGPRS)
	s_endpgm
.LBB19_94:
	s_cbranch_execnz .LBB19_98
; %bb.95:
	s_or_b32 s1, s1, exec_lo
	s_or_b32 exec_lo, exec_lo, s0
	s_delay_alu instid0(SALU_CYCLE_1)
	s_and_b32 exec_lo, exec_lo, s1
	s_cbranch_execnz .LBB19_92
	s_branch .LBB19_93
.LBB19_96:
	s_cbranch_execnz .LBB19_102
; %bb.97:
	s_or_b32 s2, s2, exec_lo
	s_branch .LBB19_89
.LBB19_98:
	s_trap 2
	s_sendmsg_rtn_b32 s0, sendmsg(MSG_RTN_GET_DOORBELL)
	s_mov_b32 ttmp2, m0
	s_waitcnt lgkmcnt(0)
	s_and_b32 s0, s0, 0x3ff
	s_delay_alu instid0(SALU_CYCLE_1) | instskip(NEXT) | instid1(SALU_CYCLE_1)
	s_bitset1_b32 s0, 10
	s_mov_b32 m0, s0
	s_sendmsg sendmsg(MSG_INTERRUPT)
	s_mov_b32 m0, ttmp2
.LBB19_99:                              ; =>This Inner Loop Header: Depth=1
	s_sethalt 5
	s_branch .LBB19_99
.LBB19_100:
	s_cbranch_execnz .LBB19_106
; %bb.101:
	s_or_b32 s2, s2, exec_lo
	s_branch .LBB19_87
.LBB19_102:
	s_trap 2
	s_sendmsg_rtn_b32 s0, sendmsg(MSG_RTN_GET_DOORBELL)
	s_mov_b32 ttmp2, m0
	s_waitcnt lgkmcnt(0)
	s_and_b32 s0, s0, 0x3ff
	s_delay_alu instid0(SALU_CYCLE_1) | instskip(NEXT) | instid1(SALU_CYCLE_1)
	s_bitset1_b32 s0, 10
	s_mov_b32 m0, s0
	s_sendmsg sendmsg(MSG_INTERRUPT)
	s_mov_b32 m0, ttmp2
.LBB19_103:                             ; =>This Inner Loop Header: Depth=1
	s_sethalt 5
	s_branch .LBB19_103
.LBB19_104:
	s_cbranch_execnz .LBB19_108
; %bb.105:
	s_mov_b32 s2, exec_lo
	s_branch .LBB19_85
.LBB19_106:
	s_trap 2
	s_sendmsg_rtn_b32 s0, sendmsg(MSG_RTN_GET_DOORBELL)
	s_mov_b32 ttmp2, m0
	s_waitcnt lgkmcnt(0)
	s_and_b32 s0, s0, 0x3ff
	s_delay_alu instid0(SALU_CYCLE_1) | instskip(NEXT) | instid1(SALU_CYCLE_1)
	s_bitset1_b32 s0, 10
	s_mov_b32 m0, s0
	s_sendmsg sendmsg(MSG_INTERRUPT)
	s_mov_b32 m0, ttmp2
.LBB19_107:                             ; =>This Inner Loop Header: Depth=1
	s_sethalt 5
	s_branch .LBB19_107
.LBB19_108:
	s_trap 2
	s_sendmsg_rtn_b32 s0, sendmsg(MSG_RTN_GET_DOORBELL)
	s_mov_b32 ttmp2, m0
	s_waitcnt lgkmcnt(0)
	s_and_b32 s0, s0, 0x3ff
	s_delay_alu instid0(SALU_CYCLE_1) | instskip(NEXT) | instid1(SALU_CYCLE_1)
	s_bitset1_b32 s0, 10
	s_mov_b32 m0, s0
	s_sendmsg sendmsg(MSG_INTERRUPT)
	s_mov_b32 m0, ttmp2
.LBB19_109:                             ; =>This Inner Loop Header: Depth=1
	s_sethalt 5
	s_branch .LBB19_109
	.section	.rodata,"a",@progbits
	.p2align	6, 0x0
	.amdhsa_kernel _ZN2at4cuda12_GLOBAL__N_121kernelPointwiseApply2IZNS_6native9templates4cuda28bernoulli_tensor_cuda_kernelIhfEEvRKNS_10TensorBaseES9_NS_15PhiloxCudaStateEEUliRhSB_SB_SB_RKfSD_SD_SD_E_hSC_jLin1ELin1ELi4ELi512ELi2EEEvNS0_6detail10TensorInfoIT0_T2_EENSG_IT1_SI_EESI_T_
		.amdhsa_group_segment_fixed_size 0
		.amdhsa_private_segment_fixed_size 0
		.amdhsa_kernarg_size 728
		.amdhsa_user_sgpr_count 15
		.amdhsa_user_sgpr_dispatch_ptr 0
		.amdhsa_user_sgpr_queue_ptr 0
		.amdhsa_user_sgpr_kernarg_segment_ptr 1
		.amdhsa_user_sgpr_dispatch_id 0
		.amdhsa_user_sgpr_private_segment_size 0
		.amdhsa_wavefront_size32 1
		.amdhsa_uses_dynamic_stack 0
		.amdhsa_enable_private_segment 0
		.amdhsa_system_sgpr_workgroup_id_x 1
		.amdhsa_system_sgpr_workgroup_id_y 0
		.amdhsa_system_sgpr_workgroup_id_z 0
		.amdhsa_system_sgpr_workgroup_info 0
		.amdhsa_system_vgpr_workitem_id 0
		.amdhsa_next_free_vgpr 41
		.amdhsa_next_free_sgpr 42
		.amdhsa_reserve_vcc 1
		.amdhsa_float_round_mode_32 0
		.amdhsa_float_round_mode_16_64 0
		.amdhsa_float_denorm_mode_32 3
		.amdhsa_float_denorm_mode_16_64 3
		.amdhsa_dx10_clamp 1
		.amdhsa_ieee_mode 1
		.amdhsa_fp16_overflow 0
		.amdhsa_workgroup_processor_mode 1
		.amdhsa_memory_ordered 1
		.amdhsa_forward_progress 0
		.amdhsa_shared_vgpr_count 0
		.amdhsa_exception_fp_ieee_invalid_op 0
		.amdhsa_exception_fp_denorm_src 0
		.amdhsa_exception_fp_ieee_div_zero 0
		.amdhsa_exception_fp_ieee_overflow 0
		.amdhsa_exception_fp_ieee_underflow 0
		.amdhsa_exception_fp_ieee_inexact 0
		.amdhsa_exception_int_div_zero 0
	.end_amdhsa_kernel
	.section	.text._ZN2at4cuda12_GLOBAL__N_121kernelPointwiseApply2IZNS_6native9templates4cuda28bernoulli_tensor_cuda_kernelIhfEEvRKNS_10TensorBaseES9_NS_15PhiloxCudaStateEEUliRhSB_SB_SB_RKfSD_SD_SD_E_hSC_jLin1ELin1ELi4ELi512ELi2EEEvNS0_6detail10TensorInfoIT0_T2_EENSG_IT1_SI_EESI_T_,"axG",@progbits,_ZN2at4cuda12_GLOBAL__N_121kernelPointwiseApply2IZNS_6native9templates4cuda28bernoulli_tensor_cuda_kernelIhfEEvRKNS_10TensorBaseES9_NS_15PhiloxCudaStateEEUliRhSB_SB_SB_RKfSD_SD_SD_E_hSC_jLin1ELin1ELi4ELi512ELi2EEEvNS0_6detail10TensorInfoIT0_T2_EENSG_IT1_SI_EESI_T_,comdat
.Lfunc_end19:
	.size	_ZN2at4cuda12_GLOBAL__N_121kernelPointwiseApply2IZNS_6native9templates4cuda28bernoulli_tensor_cuda_kernelIhfEEvRKNS_10TensorBaseES9_NS_15PhiloxCudaStateEEUliRhSB_SB_SB_RKfSD_SD_SD_E_hSC_jLin1ELin1ELi4ELi512ELi2EEEvNS0_6detail10TensorInfoIT0_T2_EENSG_IT1_SI_EESI_T_, .Lfunc_end19-_ZN2at4cuda12_GLOBAL__N_121kernelPointwiseApply2IZNS_6native9templates4cuda28bernoulli_tensor_cuda_kernelIhfEEvRKNS_10TensorBaseES9_NS_15PhiloxCudaStateEEUliRhSB_SB_SB_RKfSD_SD_SD_E_hSC_jLin1ELin1ELi4ELi512ELi2EEEvNS0_6detail10TensorInfoIT0_T2_EENSG_IT1_SI_EESI_T_
                                        ; -- End function
	.section	.AMDGPU.csdata,"",@progbits
; Kernel info:
; codeLenInByte = 5312
; NumSgprs: 44
; NumVgprs: 41
; ScratchSize: 0
; MemoryBound: 0
; FloatMode: 240
; IeeeMode: 1
; LDSByteSize: 0 bytes/workgroup (compile time only)
; SGPRBlocks: 5
; VGPRBlocks: 5
; NumSGPRsForWavesPerEU: 44
; NumVGPRsForWavesPerEU: 41
; Occupancy: 16
; WaveLimiterHint : 1
; COMPUTE_PGM_RSRC2:SCRATCH_EN: 0
; COMPUTE_PGM_RSRC2:USER_SGPR: 15
; COMPUTE_PGM_RSRC2:TRAP_HANDLER: 0
; COMPUTE_PGM_RSRC2:TGID_X_EN: 1
; COMPUTE_PGM_RSRC2:TGID_Y_EN: 0
; COMPUTE_PGM_RSRC2:TGID_Z_EN: 0
; COMPUTE_PGM_RSRC2:TIDIG_COMP_CNT: 0
	.section	.text._ZN2at4cuda12_GLOBAL__N_121kernelPointwiseApply2IZNS_6native9templates4cuda28bernoulli_tensor_cuda_kernelIhfEEvRKNS_10TensorBaseES9_NS_15PhiloxCudaStateEEUliRhSB_SB_SB_RKfSD_SD_SD_E_hSC_mLi1ELi1ELi4ELi512ELi2EEEvNS0_6detail10TensorInfoIT0_T2_EENSG_IT1_SI_EESI_T_,"axG",@progbits,_ZN2at4cuda12_GLOBAL__N_121kernelPointwiseApply2IZNS_6native9templates4cuda28bernoulli_tensor_cuda_kernelIhfEEvRKNS_10TensorBaseES9_NS_15PhiloxCudaStateEEUliRhSB_SB_SB_RKfSD_SD_SD_E_hSC_mLi1ELi1ELi4ELi512ELi2EEEvNS0_6detail10TensorInfoIT0_T2_EENSG_IT1_SI_EESI_T_,comdat
	.globl	_ZN2at4cuda12_GLOBAL__N_121kernelPointwiseApply2IZNS_6native9templates4cuda28bernoulli_tensor_cuda_kernelIhfEEvRKNS_10TensorBaseES9_NS_15PhiloxCudaStateEEUliRhSB_SB_SB_RKfSD_SD_SD_E_hSC_mLi1ELi1ELi4ELi512ELi2EEEvNS0_6detail10TensorInfoIT0_T2_EENSG_IT1_SI_EESI_T_ ; -- Begin function _ZN2at4cuda12_GLOBAL__N_121kernelPointwiseApply2IZNS_6native9templates4cuda28bernoulli_tensor_cuda_kernelIhfEEvRKNS_10TensorBaseES9_NS_15PhiloxCudaStateEEUliRhSB_SB_SB_RKfSD_SD_SD_E_hSC_mLi1ELi1ELi4ELi512ELi2EEEvNS0_6detail10TensorInfoIT0_T2_EENSG_IT1_SI_EESI_T_
	.p2align	8
	.type	_ZN2at4cuda12_GLOBAL__N_121kernelPointwiseApply2IZNS_6native9templates4cuda28bernoulli_tensor_cuda_kernelIhfEEvRKNS_10TensorBaseES9_NS_15PhiloxCudaStateEEUliRhSB_SB_SB_RKfSD_SD_SD_E_hSC_mLi1ELi1ELi4ELi512ELi2EEEvNS0_6detail10TensorInfoIT0_T2_EENSG_IT1_SI_EESI_T_,@function
_ZN2at4cuda12_GLOBAL__N_121kernelPointwiseApply2IZNS_6native9templates4cuda28bernoulli_tensor_cuda_kernelIhfEEvRKNS_10TensorBaseES9_NS_15PhiloxCudaStateEEUliRhSB_SB_SB_RKfSD_SD_SD_E_hSC_mLi1ELi1ELi4ELi512ELi2EEEvNS0_6detail10TensorInfoIT0_T2_EENSG_IT1_SI_EESI_T_: ; @_ZN2at4cuda12_GLOBAL__N_121kernelPointwiseApply2IZNS_6native9templates4cuda28bernoulli_tensor_cuda_kernelIhfEEvRKNS_10TensorBaseES9_NS_15PhiloxCudaStateEEUliRhSB_SB_SB_RKfSD_SD_SD_E_hSC_mLi1ELi1ELi4ELi512ELi2EEEvNS0_6detail10TensorInfoIT0_T2_EENSG_IT1_SI_EESI_T_
; %bb.0:
	s_clause 0x1
	s_load_b32 s12, s[0:1], 0x374
	s_load_b256 s[4:11], s[0:1], 0x340
	s_add_u32 s2, s0, 0x368
	s_addc_u32 s3, s1, 0
	v_mov_b32_e32 v3, 0
	s_waitcnt lgkmcnt(0)
	s_and_b32 s14, s12, 0xffff
	s_mov_b32 s12, exec_lo
	v_mad_u64_u32 v[1:2], null, s15, s14, v[0:1]
	s_delay_alu instid0(VALU_DEP_1) | instskip(NEXT) | instid1(VALU_DEP_1)
	v_lshlrev_b32_e32 v2, 2, v1
	v_cmpx_gt_u64_e64 s[4:5], v[2:3]
	s_cbranch_execz .LBB20_51
; %bb.1:
	s_load_b64 s[16:17], s[0:1], 0xd0
	s_load_b32 s15, s[2:3], 0x0
	s_clause 0x3
	s_load_b32 s19, s[0:1], 0x360
	s_load_b64 s[2:3], s[0:1], 0x0
	s_load_b64 s[12:13], s[0:1], 0x1a0
	;; [unrolled: 1-line block ×3, first 2 shown]
	v_mad_u64_u32 v[4:5], null, 0xcd9e8d57, v1, 0
	v_add_co_u32 v15, s20, v2, 2
	s_delay_alu instid0(VALU_DEP_1) | instskip(SKIP_1) | instid1(VALU_DEP_4)
	v_add_co_ci_u32_e64 v16, null, 0, 0, s20
	v_add_co_u32 v17, s20, v2, 3
	v_mov_b32_e32 v34, v5
	v_add_co_ci_u32_e64 v18, null, 0, 0, s20
	v_sub_nc_u32_e32 v0, s4, v2
	s_mov_b32 s18, 0
                                        ; implicit-def: $sgpr26
                                        ; implicit-def: $sgpr28
                                        ; implicit-def: $sgpr27
                                        ; implicit-def: $sgpr23
                                        ; implicit-def: $sgpr29
                                        ; implicit-def: $sgpr31
                                        ; implicit-def: $sgpr30
                                        ; implicit-def: $sgpr33
	s_waitcnt lgkmcnt(0)
	v_mad_u64_u32 v[5:6], null, s16, v2, 0
	v_mad_u64_u32 v[7:8], null, s16, v15, 0
	;; [unrolled: 1-line block ×4, first 2 shown]
	v_mul_lo_u32 v19, s17, v15
	v_mul_lo_u32 v20, s16, v16
	v_mad_u64_u32 v[13:14], null, s17, v2, v[6:7]
	v_mul_lo_u32 v21, s17, v17
	v_mul_lo_u32 v22, s16, v18
	;; [unrolled: 1-line block ×3, first 2 shown]
	s_mul_i32 s15, s15, s14
	s_bitcmp1_b32 s19, 0
	v_add3_u32 v8, v8, v20, v19
	v_mov_b32_e32 v6, v13
	v_mad_u64_u32 v[13:14], null, s1, v2, v[10:11]
	v_add3_u32 v12, v12, v22, v21
	v_mul_lo_u32 v19, s1, v15
	v_mul_lo_u32 v20, s0, v16
	;; [unrolled: 1-line block ×3, first 2 shown]
	v_add_co_u32 v10, vcc_lo, v5, s16
	v_mov_b32_e32 v36, v13
	v_mad_u64_u32 v[13:14], null, s0, v15, 0
	v_mad_u64_u32 v[15:16], null, s0, v17, 0
	s_cselect_b32 s19, -1, 0
	s_lshl_b32 s20, s15, 2
	v_add_co_ci_u32_e32 v35, vcc_lo, s17, v6, vcc_lo
	v_add_co_u32 v37, vcc_lo, v9, s0
	s_mul_i32 s14, s17, s20
	s_mul_hi_u32 s15, s16, s20
	v_add_co_ci_u32_e32 v38, vcc_lo, s1, v36, vcc_lo
	v_add3_u32 v14, v14, v20, v19
	v_add3_u32 v16, v16, v18, v21
	s_add_i32 s21, s15, s14
	s_mul_i32 s14, s1, s20
	s_mul_hi_u32 s15, s0, s20
	s_mul_i32 s22, s16, s20
	s_add_i32 s24, s15, s14
	s_mul_i32 s25, s0, s20
	s_mov_b64 s[14:15], 0
	s_mov_b64 s[16:17], 0
	s_branch .LBB20_3
.LBB20_2:                               ;   in Loop: Header=BB20_3 Depth=1
	s_or_b32 exec_lo, exec_lo, s1
	s_delay_alu instid0(SALU_CYCLE_1) | instskip(NEXT) | instid1(SALU_CYCLE_1)
	s_and_b32 s0, exec_lo, s0
	s_or_b32 s18, s0, s18
	s_and_not1_b32 s0, s23, exec_lo
	s_and_b32 s1, s33, exec_lo
	s_and_not1_b32 s27, s27, exec_lo
	s_and_b32 s34, s30, exec_lo
	s_or_b32 s23, s0, s1
	s_or_b32 s27, s27, s34
	s_and_not1_b32 s0, s28, exec_lo
	s_and_b32 s1, s31, exec_lo
	s_and_not1_b32 s26, s26, exec_lo
	s_and_b32 s34, s29, exec_lo
	s_or_b32 s28, s0, s1
	s_or_b32 s26, s26, s34
	s_and_not1_b32 exec_lo, exec_lo, s18
	s_cbranch_execz .LBB20_39
.LBB20_3:                               ; =>This Inner Loop Header: Depth=1
	v_add_co_u32 v17, vcc_lo, v15, s14
	v_add_co_ci_u32_e32 v18, vcc_lo, s15, v16, vcc_lo
	v_cmp_lt_i32_e64 s0, 3, v0
	v_dual_mov_b32 v22, s9 :: v_dual_mov_b32 v21, s8
	v_dual_mov_b32 v24, s7 :: v_dual_mov_b32 v23, s6
	s_delay_alu instid0(VALU_DEP_3) | instskip(SKIP_1) | instid1(VALU_DEP_1)
	v_cndmask_b32_e64 v18, 0, v18, s0
	v_cndmask_b32_e64 v17, 0, v17, s0
	v_lshlrev_b64 v[17:18], 2, v[17:18]
	s_delay_alu instid0(VALU_DEP_1) | instskip(NEXT) | instid1(VALU_DEP_2)
	v_add_co_u32 v17, vcc_lo, s12, v17
	v_add_co_ci_u32_e32 v18, vcc_lo, s13, v18, vcc_lo
	s_and_not1_b32 vcc_lo, exec_lo, s19
	global_load_b32 v39, v[17:18], off
	s_cbranch_vccnz .LBB20_5
; %bb.4:                                ;   in Loop: Header=BB20_3 Depth=1
	v_dual_mov_b32 v18, s9 :: v_dual_mov_b32 v17, s8
	v_dual_mov_b32 v20, s7 :: v_dual_mov_b32 v19, s6
	flat_load_b64 v[17:18], v[17:18]
	flat_load_b64 v[23:24], v[19:20]
	s_waitcnt vmcnt(1) lgkmcnt(1)
	v_add_co_u32 v21, vcc_lo, v17, s10
	v_add_co_ci_u32_e32 v22, vcc_lo, s11, v18, vcc_lo
.LBB20_5:                               ;   in Loop: Header=BB20_3 Depth=1
	s_delay_alu instid0(VALU_DEP_1)
	v_alignbit_b32 v20, v22, v21, 2
	v_lshrrev_b32_e32 v19, 2, v22
	s_waitcnt vmcnt(0) lgkmcnt(0)
	v_add_nc_u32_e32 v41, 0xbb67ae85, v24
	v_add_nc_u32_e32 v42, 0x76cf5d0a, v24
	;; [unrolled: 1-line block ×3, first 2 shown]
	v_add_co_u32 v22, vcc_lo, v20, 1
	s_delay_alu instid0(VALU_DEP_1) | instskip(SKIP_4) | instid1(VALU_DEP_4)
	v_cndmask_b32_e64 v17, 0, 1, vcc_lo
	v_add_co_ci_u32_e32 v31, vcc_lo, 0, v19, vcc_lo
	v_xor3_b32 v27, v34, v23, v19
	v_add_nc_u32_e32 v44, 0x32370b8f, v24
	v_add_nc_u32_e32 v45, 0xed9eba14, v24
	v_cmp_eq_u32_e32 vcc_lo, 0, v31
	v_add_nc_u32_e32 v46, 0x1715609d, v23
	v_add_nc_u32_e32 v47, 0xa9066899, v24
	s_mov_b32 s1, exec_lo
	v_dual_cndmask_b32 v25, 0, v17 :: v_dual_add_nc_u32 v40, 0x9e3779b9, v23
	v_mad_u64_u32 v[17:18], null, 0xd2511f53, v22, 0
	s_delay_alu instid0(VALU_DEP_2) | instskip(NEXT) | instid1(VALU_DEP_2)
	v_add_nc_u32_e32 v22, v25, v1
	v_xor_b32_e32 v26, v18, v24
	s_delay_alu instid0(VALU_DEP_2) | instskip(SKIP_2) | instid1(VALU_DEP_1)
	v_cmp_eq_u32_e32 vcc_lo, 0, v22
	v_mad_u64_u32 v[18:19], null, 0xd2511f53, v20, 0
	v_cndmask_b32_e32 v25, 0, v25, vcc_lo
	v_xor_b32_e32 v20, v25, v26
	v_mad_u64_u32 v[25:26], null, 0xd2511f53, v27, 0
	v_mad_u64_u32 v[27:28], null, 0xcd9e8d57, v22, 0
	v_add_nc_u32_e32 v22, 0x3c6ef372, v23
	s_delay_alu instid0(VALU_DEP_4) | instskip(SKIP_2) | instid1(VALU_DEP_2)
	v_mad_u64_u32 v[29:30], null, 0xcd9e8d57, v20, 0
	v_xor_b32_e32 v20, v19, v24
	v_xor3_b32 v32, v41, v26, v18
	v_mad_u64_u32 v[18:19], null, 0xcd9e8d57, v20, 0
	v_xor3_b32 v20, v28, v23, v31
	v_xor3_b32 v28, v40, v30, v27
	s_delay_alu instid0(VALU_DEP_4) | instskip(NEXT) | instid1(VALU_DEP_3)
	v_mad_u64_u32 v[26:27], null, 0xcd9e8d57, v32, 0
	v_mad_u64_u32 v[30:31], null, 0xd2511f53, v20, 0
	s_delay_alu instid0(VALU_DEP_3) | instskip(SKIP_1) | instid1(VALU_DEP_4)
	v_mad_u64_u32 v[32:33], null, 0xd2511f53, v28, 0
	v_xor3_b32 v20, v4, v19, v40
	v_xor3_b32 v40, v22, v27, v18
	s_delay_alu instid0(VALU_DEP_4) | instskip(NEXT) | instid1(VALU_DEP_3)
	v_xor3_b32 v17, v41, v31, v17
	v_mad_u64_u32 v[18:19], null, 0xd2511f53, v20, 0
	v_xor3_b32 v20, v42, v33, v30
	s_delay_alu instid0(VALU_DEP_4) | instskip(NEXT) | instid1(VALU_DEP_4)
	v_mad_u64_u32 v[27:28], null, 0xd2511f53, v40, 0
	v_mad_u64_u32 v[30:31], null, 0xcd9e8d57, v17, 0
	s_delay_alu instid0(VALU_DEP_3) | instskip(SKIP_4) | instid1(VALU_DEP_4)
	v_mad_u64_u32 v[40:41], null, 0xcd9e8d57, v20, 0
	v_xor3_b32 v19, v42, v19, v25
	v_add_nc_u32_e32 v33, 0x78dde6e4, v23
	v_xor3_b32 v25, v44, v28, v18
	v_xor3_b32 v22, v22, v31, v29
	v_mad_u64_u32 v[17:18], null, 0xcd9e8d57, v19, 0
	v_xor3_b32 v41, v43, v41, v30
	s_delay_alu instid0(VALU_DEP_4) | instskip(NEXT) | instid1(VALU_DEP_4)
	v_mad_u64_u32 v[19:20], null, 0xcd9e8d57, v25, 0
	v_mad_u64_u32 v[28:29], null, 0xd2511f53, v22, 0
	s_delay_alu instid0(VALU_DEP_3) | instskip(SKIP_1) | instid1(VALU_DEP_4)
	v_mad_u64_u32 v[30:31], null, 0xd2511f53, v41, 0
	v_xor3_b32 v22, v43, v18, v26
	v_xor3_b32 v20, v33, v20, v17
	s_delay_alu instid0(VALU_DEP_2) | instskip(SKIP_2) | instid1(VALU_DEP_4)
	v_mad_u64_u32 v[17:18], null, 0xd2511f53, v22, 0
	v_xor3_b32 v22, v44, v29, v32
	v_xor3_b32 v28, v45, v31, v28
	v_mad_u64_u32 v[31:32], null, 0xd2511f53, v20, 0
	s_delay_alu instid0(VALU_DEP_3) | instskip(NEXT) | instid1(VALU_DEP_3)
	v_mad_u64_u32 v[25:26], null, 0xcd9e8d57, v22, 0
	v_mad_u64_u32 v[41:42], null, 0xcd9e8d57, v28, 0
	v_xor3_b32 v20, v45, v18, v27
	s_delay_alu instid0(VALU_DEP_4) | instskip(SKIP_2) | instid1(VALU_DEP_4)
	v_xor3_b32 v28, v47, v32, v17
	v_add_nc_u32_e32 v22, 0xb54cda56, v23
	v_add_nc_u32_e32 v27, 0x646e171e, v24
	v_mad_u64_u32 v[17:18], null, 0xcd9e8d57, v20, 0
	v_xor3_b32 v20, v33, v26, v40
	v_xor3_b32 v29, v46, v42, v25
	v_mad_u64_u32 v[42:43], null, 0xcd9e8d57, v28, 0
	v_add_nc_u32_e32 v33, 0x5384540f, v23
	s_delay_alu instid0(VALU_DEP_4) | instskip(NEXT) | instid1(VALU_DEP_4)
	v_mad_u64_u32 v[25:26], null, 0xd2511f53, v20, 0
	v_mad_u64_u32 v[44:45], null, 0xd2511f53, v29, 0
	v_xor3_b32 v19, v46, v18, v19
	v_xor3_b32 v20, v22, v43, v17
	v_add_nc_u32_e32 v46, 0x1fd5c5a3, v24
	v_add_co_u32 v40, null, 0xf1bbcdc8, v23
	v_xor3_b32 v28, v47, v26, v30
	v_xor3_b32 v30, v27, v45, v25
	v_mad_u64_u32 v[17:18], null, 0xd2511f53, v19, 0
	v_mad_u64_u32 v[25:26], null, 0xd2511f53, v20, 0
	s_delay_alu instid0(VALU_DEP_4) | instskip(NEXT) | instid1(VALU_DEP_4)
	v_mad_u64_u32 v[19:20], null, 0xcd9e8d57, v28, 0
	v_mad_u64_u32 v[28:29], null, 0xcd9e8d57, v30, 0
	s_delay_alu instid0(VALU_DEP_4) | instskip(NEXT) | instid1(VALU_DEP_4)
	v_xor3_b32 v27, v27, v18, v31
	v_xor3_b32 v30, v46, v26, v17
	s_delay_alu instid0(VALU_DEP_4) | instskip(NEXT) | instid1(VALU_DEP_3)
	v_xor3_b32 v22, v22, v20, v41
	v_mad_u64_u32 v[17:18], null, 0xcd9e8d57, v27, 0
	v_xor3_b32 v29, v33, v29, v19
	s_delay_alu instid0(VALU_DEP_4) | instskip(NEXT) | instid1(VALU_DEP_4)
	v_mad_u64_u32 v[26:27], null, 0xcd9e8d57, v30, 0
	v_mad_u64_u32 v[19:20], null, 0xd2511f53, v22, 0
	s_delay_alu instid0(VALU_DEP_3)
	v_mad_u64_u32 v[31:32], null, 0xd2511f53, v29, 0
	v_add_nc_u32_e32 v41, 0xdb3d7428, v24
	v_xor3_b32 v18, v33, v18, v42
	v_xor3_b32 v22, v40, v27, v17
	v_add_nc_u32_e32 v42, 0x96a522ad, v24
	v_xor3_b32 v20, v46, v20, v44
	v_and_b32_e32 v24, 3, v21
	v_xor3_b32 v27, v41, v32, v19
	v_mad_u64_u32 v[29:30], null, 0xd2511f53, v18, 0
	v_mad_u64_u32 v[17:18], null, 0xd2511f53, v22, 0
	;; [unrolled: 1-line block ×3, first 2 shown]
	s_delay_alu instid0(VALU_DEP_4) | instskip(SKIP_1) | instid1(VALU_DEP_4)
	v_mad_u64_u32 v[19:20], null, 0xcd9e8d57, v27, 0
	v_add_nc_u32_e32 v27, 0x8ff34781, v23
                                        ; implicit-def: $vgpr22
	v_xor3_b32 v23, v18, v29, v42
	s_delay_alu instid0(VALU_DEP_2)
	v_xor3_b32 v18, v20, v32, v27
	v_cmpx_lt_i32_e32 1, v24
	s_xor_b32 s1, exec_lo, s1
	s_cbranch_execz .LBB20_11
; %bb.6:                                ;   in Loop: Header=BB20_3 Depth=1
	s_mov_b32 s34, exec_lo
                                        ; implicit-def: $vgpr22
	v_cmpx_lt_i32_e32 2, v24
	s_xor_b32 s34, exec_lo, s34
; %bb.7:                                ;   in Loop: Header=BB20_3 Depth=1
	v_xor3_b32 v20, v40, v33, v28
                                        ; implicit-def: $vgpr23
	s_delay_alu instid0(VALU_DEP_1) | instskip(NEXT) | instid1(VALU_DEP_1)
	v_mul_hi_u32 v20, 0xd2511f53, v20
	v_xor3_b32 v22, v20, v31, v42
; %bb.8:                                ;   in Loop: Header=BB20_3 Depth=1
	s_and_not1_saveexec_b32 s34, s34
; %bb.9:                                ;   in Loop: Header=BB20_3 Depth=1
	v_dual_mov_b32 v22, v19 :: v_dual_mov_b32 v19, v18
	v_dual_mov_b32 v18, v17 :: v_dual_mov_b32 v17, v23
; %bb.10:                               ;   in Loop: Header=BB20_3 Depth=1
	s_or_b32 exec_lo, exec_lo, s34
                                        ; implicit-def: $vgpr25_vgpr26
                                        ; implicit-def: $vgpr24
                                        ; implicit-def: $vgpr23
                                        ; implicit-def: $vgpr41
                                        ; implicit-def: $vgpr29_vgpr30
                                        ; implicit-def: $vgpr26_vgpr27
                                        ; implicit-def: $vgpr27
.LBB20_11:                              ;   in Loop: Header=BB20_3 Depth=1
	s_and_not1_saveexec_b32 s1, s1
	s_cbranch_execz .LBB20_15
; %bb.12:                               ;   in Loop: Header=BB20_3 Depth=1
	v_xor3_b32 v19, v41, v30, v25
	v_cmp_eq_u32_e32 vcc_lo, 1, v24
	v_mov_b32_e32 v22, v17
	s_delay_alu instid0(VALU_DEP_3) | instskip(SKIP_1) | instid1(VALU_DEP_2)
	v_mad_u64_u32 v[20:21], null, 0xcd9e8d57, v19, 0
	v_mov_b32_e32 v19, v23
	v_xor3_b32 v24, v21, v26, v27
	s_delay_alu instid0(VALU_DEP_3)
	v_mov_b32_e32 v21, v20
	s_and_saveexec_b32 s34, vcc_lo
; %bb.13:                               ;   in Loop: Header=BB20_3 Depth=1
	v_dual_mov_b32 v22, v18 :: v_dual_mov_b32 v19, v17
	v_dual_mov_b32 v21, v23 :: v_dual_mov_b32 v24, v20
; %bb.14:                               ;   in Loop: Header=BB20_3 Depth=1
	s_or_b32 exec_lo, exec_lo, s34
	s_delay_alu instid0(VALU_DEP_1)
	v_dual_mov_b32 v17, v24 :: v_dual_mov_b32 v18, v21
.LBB20_15:                              ;   in Loop: Header=BB20_3 Depth=1
	s_or_b32 exec_lo, exec_lo, s1
	v_min_i32_e32 v20, 4, v0
	s_mov_b32 s34, 0
	s_mov_b32 s1, 0
	s_mov_b32 s38, exec_lo
                                        ; implicit-def: $sgpr35
                                        ; implicit-def: $sgpr36
                                        ; implicit-def: $sgpr37
	s_delay_alu instid0(VALU_DEP_1)
	v_cmpx_lt_i32_e32 2, v20
	s_xor_b32 s38, exec_lo, s38
	s_cbranch_execz .LBB20_25
; %bb.16:                               ;   in Loop: Header=BB20_3 Depth=1
	s_mov_b32 s1, -1
	s_mov_b32 s36, exec_lo
                                        ; implicit-def: $sgpr35
                                        ; implicit-def: $sgpr39
	v_cmpx_lt_i32_e32 3, v20
	s_cbranch_execz .LBB20_20
; %bb.17:                               ;   in Loop: Header=BB20_3 Depth=1
	v_cmp_le_f32_e32 vcc_lo, 0, v39
	v_cmp_ge_f32_e64 s1, 1.0, v39
	s_mov_b32 s35, 0
	s_delay_alu instid0(VALU_DEP_1)
	s_and_b32 s39, vcc_lo, s1
	s_mov_b32 s1, 0
	s_and_saveexec_b32 s37, s39
	s_cbranch_execz .LBB20_19
; %bb.18:                               ;   in Loop: Header=BB20_3 Depth=1
	v_add_co_u32 v21, vcc_lo, v11, s16
	v_add_co_ci_u32_e32 v23, vcc_lo, s17, v12, vcc_lo
	v_cvt_f32_u32_e32 v22, v22
	s_delay_alu instid0(VALU_DEP_3) | instskip(SKIP_1) | instid1(VALU_DEP_3)
	v_cndmask_b32_e64 v21, 0, v21, s0
	s_mov_b32 s1, exec_lo
	v_cndmask_b32_e64 v23, 0, v23, s0
	s_delay_alu instid0(VALU_DEP_3) | instskip(NEXT) | instid1(VALU_DEP_3)
	v_fmaak_f32 v24, 0x2f800000, v22, 0x2f800000
	v_add_co_u32 v21, vcc_lo, s2, v21
	s_delay_alu instid0(VALU_DEP_3) | instskip(NEXT) | instid1(VALU_DEP_3)
	v_add_co_ci_u32_e32 v22, vcc_lo, s3, v23, vcc_lo
	v_cmp_le_f32_e32 vcc_lo, v24, v39
	v_cndmask_b32_e64 v23, 0, 1, vcc_lo
	global_store_b8 v[21:22], v23, off
.LBB20_19:                              ;   in Loop: Header=BB20_3 Depth=1
	s_or_b32 exec_lo, exec_lo, s37
	s_mov_b32 s39, -1
	s_or_not1_b32 s1, s1, exec_lo
.LBB20_20:                              ;   in Loop: Header=BB20_3 Depth=1
	s_or_b32 exec_lo, exec_lo, s36
	s_mov_b32 s0, 0
	s_mov_b32 s37, s35
	s_and_saveexec_b32 s36, s1
	s_cbranch_execz .LBB20_24
; %bb.21:                               ;   in Loop: Header=BB20_3 Depth=1
	v_add_co_u32 v21, vcc_lo, v13, s14
	v_add_co_ci_u32_e32 v22, vcc_lo, s15, v14, vcc_lo
	v_cmp_lt_i32_e32 vcc_lo, 2, v0
	s_delay_alu instid0(VALU_DEP_2) | instskip(NEXT) | instid1(VALU_DEP_1)
	v_dual_cndmask_b32 v22, 0, v22 :: v_dual_cndmask_b32 v21, 0, v21
	v_lshlrev_b64 v[21:22], 2, v[21:22]
	s_delay_alu instid0(VALU_DEP_1) | instskip(NEXT) | instid1(VALU_DEP_1)
	v_add_co_u32 v21, s0, s12, v21
	v_add_co_ci_u32_e64 v22, s0, s13, v22, s0
	global_load_b32 v21, v[21:22], off
	s_waitcnt vmcnt(0)
	v_cmp_le_f32_e64 s0, 0, v21
	v_cmp_ge_f32_e64 s1, 1.0, v21
	s_delay_alu instid0(VALU_DEP_1) | instskip(SKIP_2) | instid1(SALU_CYCLE_1)
	s_and_b32 s0, s0, s1
	s_mov_b32 s1, 0
	s_and_saveexec_b32 s37, s0
	s_xor_b32 s37, exec_lo, s37
	s_cbranch_execz .LBB20_23
; %bb.22:                               ;   in Loop: Header=BB20_3 Depth=1
	v_add_co_u32 v22, s0, v7, s16
	s_delay_alu instid0(VALU_DEP_1) | instskip(SKIP_1) | instid1(VALU_DEP_3)
	v_add_co_ci_u32_e64 v23, s0, s17, v8, s0
	v_cvt_f32_u32_e32 v19, v19
	v_cndmask_b32_e32 v22, 0, v22, vcc_lo
	s_mov_b32 s1, exec_lo
	s_delay_alu instid0(VALU_DEP_3) | instskip(NEXT) | instid1(VALU_DEP_3)
	v_cndmask_b32_e32 v23, 0, v23, vcc_lo
	v_fmaak_f32 v19, 0x2f800000, v19, 0x2f800000
	s_delay_alu instid0(VALU_DEP_3) | instskip(NEXT) | instid1(VALU_DEP_3)
	v_add_co_u32 v22, vcc_lo, s2, v22
	v_add_co_ci_u32_e32 v23, vcc_lo, s3, v23, vcc_lo
	s_delay_alu instid0(VALU_DEP_3)
	v_cmp_le_f32_e32 vcc_lo, v19, v21
	v_cndmask_b32_e64 v19, 0, 1, vcc_lo
	global_store_b8 v[22:23], v19, off
.LBB20_23:                              ;   in Loop: Header=BB20_3 Depth=1
	s_or_b32 exec_lo, exec_lo, s37
	s_delay_alu instid0(SALU_CYCLE_1)
	s_and_not1_b32 s37, s35, exec_lo
	s_or_b32 s35, s35, exec_lo
	s_and_not1_b32 s39, s39, exec_lo
	s_and_b32 s0, s1, exec_lo
.LBB20_24:                              ;   in Loop: Header=BB20_3 Depth=1
	s_or_b32 exec_lo, exec_lo, s36
	s_delay_alu instid0(SALU_CYCLE_1)
	s_and_b32 s37, s37, exec_lo
	s_and_b32 s36, s35, exec_lo
	s_and_b32 s35, s39, exec_lo
	s_and_b32 s1, s0, exec_lo
.LBB20_25:                              ;   in Loop: Header=BB20_3 Depth=1
	s_and_not1_saveexec_b32 s0, s38
; %bb.26:                               ;   in Loop: Header=BB20_3 Depth=1
	v_cmp_lt_i32_e32 vcc_lo, 1, v20
	s_and_not1_b32 s1, s1, exec_lo
	s_mov_b32 s34, exec_lo
	s_and_not1_b32 s37, s37, exec_lo
	s_and_not1_b32 s36, s36, exec_lo
	s_and_b32 s38, vcc_lo, exec_lo
	s_and_not1_b32 s35, s35, exec_lo
	s_or_b32 s1, s1, s38
; %bb.27:                               ;   in Loop: Header=BB20_3 Depth=1
	s_or_b32 exec_lo, exec_lo, s0
	s_mov_b32 s38, 0
	s_mov_b32 s0, 0
	;; [unrolled: 1-line block ×3, first 2 shown]
	s_and_saveexec_b32 s40, s1
	s_cbranch_execnz .LBB20_30
; %bb.28:                               ;   in Loop: Header=BB20_3 Depth=1
	s_or_b32 exec_lo, exec_lo, s40
	s_and_saveexec_b32 s1, s34
	s_cbranch_execnz .LBB20_33
.LBB20_29:                              ;   in Loop: Header=BB20_3 Depth=1
	s_or_b32 exec_lo, exec_lo, s1
	s_and_saveexec_b32 s34, s0
	s_cbranch_execnz .LBB20_34
	s_branch .LBB20_37
.LBB20_30:                              ;   in Loop: Header=BB20_3 Depth=1
	v_add_co_u32 v19, vcc_lo, v37, s14
	v_add_co_ci_u32_e32 v21, vcc_lo, s15, v38, vcc_lo
	v_cmp_lt_i32_e32 vcc_lo, 1, v0
	s_delay_alu instid0(VALU_DEP_2) | instskip(NEXT) | instid1(VALU_DEP_1)
	v_dual_cndmask_b32 v22, 0, v21 :: v_dual_cndmask_b32 v21, 0, v19
	v_lshlrev_b64 v[21:22], 2, v[21:22]
	s_delay_alu instid0(VALU_DEP_1) | instskip(NEXT) | instid1(VALU_DEP_1)
	v_add_co_u32 v21, s0, s12, v21
	v_add_co_ci_u32_e64 v22, s0, s13, v22, s0
	global_load_b32 v19, v[21:22], off
	s_waitcnt vmcnt(0)
	v_cmp_le_f32_e64 s0, 0, v19
	v_cmp_ge_f32_e64 s1, 1.0, v19
	s_delay_alu instid0(VALU_DEP_1) | instskip(SKIP_2) | instid1(SALU_CYCLE_1)
	s_and_b32 s0, s0, s1
	s_mov_b32 s1, 0
	s_and_saveexec_b32 s39, s0
	s_xor_b32 s39, exec_lo, s39
	s_cbranch_execz .LBB20_32
; %bb.31:                               ;   in Loop: Header=BB20_3 Depth=1
	v_add_co_u32 v21, s0, v10, s16
	s_delay_alu instid0(VALU_DEP_1) | instskip(SKIP_1) | instid1(VALU_DEP_3)
	v_add_co_ci_u32_e64 v22, s0, s17, v35, s0
	v_cvt_f32_u32_e32 v18, v18
	v_cndmask_b32_e32 v21, 0, v21, vcc_lo
	s_mov_b32 s1, exec_lo
	s_delay_alu instid0(VALU_DEP_3) | instskip(NEXT) | instid1(VALU_DEP_3)
	v_cndmask_b32_e32 v22, 0, v22, vcc_lo
	v_fmaak_f32 v18, 0x2f800000, v18, 0x2f800000
	s_delay_alu instid0(VALU_DEP_3) | instskip(NEXT) | instid1(VALU_DEP_3)
	v_add_co_u32 v21, vcc_lo, s2, v21
	v_add_co_ci_u32_e32 v22, vcc_lo, s3, v22, vcc_lo
	s_delay_alu instid0(VALU_DEP_3)
	v_cmp_le_f32_e32 vcc_lo, v18, v19
	v_cndmask_b32_e64 v18, 0, 1, vcc_lo
	global_store_b8 v[21:22], v18, off
.LBB20_32:                              ;   in Loop: Header=BB20_3 Depth=1
	s_or_b32 exec_lo, exec_lo, s39
	s_delay_alu instid0(SALU_CYCLE_1)
	s_and_not1_b32 s39, s37, exec_lo
	s_or_b32 s37, s37, exec_lo
	s_and_not1_b32 s36, s36, exec_lo
	s_and_not1_b32 s35, s35, exec_lo
	s_and_b32 s0, s1, exec_lo
	s_and_not1_b32 s34, s34, exec_lo
	s_or_b32 exec_lo, exec_lo, s40
	s_and_saveexec_b32 s1, s34
	s_cbranch_execz .LBB20_29
.LBB20_33:                              ;   in Loop: Header=BB20_3 Depth=1
	v_cmp_eq_u32_e32 vcc_lo, 1, v20
	s_and_not1_b32 s0, s0, exec_lo
	s_mov_b32 s38, exec_lo
	s_and_not1_b32 s39, s39, exec_lo
	s_and_not1_b32 s37, s37, exec_lo
	s_and_b32 s34, vcc_lo, exec_lo
	s_and_not1_b32 s36, s36, exec_lo
	s_and_not1_b32 s35, s35, exec_lo
	s_or_b32 s0, s0, s34
	s_or_b32 exec_lo, exec_lo, s1
	s_and_saveexec_b32 s34, s0
	s_cbranch_execz .LBB20_37
.LBB20_34:                              ;   in Loop: Header=BB20_3 Depth=1
	v_add_co_u32 v18, vcc_lo, v9, s14
	v_add_co_ci_u32_e32 v19, vcc_lo, s15, v36, vcc_lo
	v_cmp_lt_i32_e32 vcc_lo, 0, v0
	s_delay_alu instid0(VALU_DEP_2) | instskip(NEXT) | instid1(VALU_DEP_1)
	v_dual_cndmask_b32 v19, 0, v19 :: v_dual_cndmask_b32 v18, 0, v18
	v_lshlrev_b64 v[18:19], 2, v[18:19]
	s_delay_alu instid0(VALU_DEP_1) | instskip(NEXT) | instid1(VALU_DEP_1)
	v_add_co_u32 v18, s0, s12, v18
	v_add_co_ci_u32_e64 v19, s0, s13, v19, s0
	global_load_b32 v18, v[18:19], off
	s_waitcnt vmcnt(0)
	v_cmp_le_f32_e64 s0, 0, v18
	v_cmp_ge_f32_e64 s1, 1.0, v18
	s_delay_alu instid0(VALU_DEP_1)
	s_and_b32 s0, s0, s1
	s_mov_b32 s1, 0
	s_and_saveexec_b32 s40, s0
	s_cbranch_execz .LBB20_36
; %bb.35:                               ;   in Loop: Header=BB20_3 Depth=1
	v_add_co_u32 v19, s0, v5, s16
	s_delay_alu instid0(VALU_DEP_1) | instskip(SKIP_1) | instid1(VALU_DEP_3)
	v_add_co_ci_u32_e64 v20, s0, s17, v6, s0
	v_cvt_f32_u32_e32 v17, v17
	v_cndmask_b32_e32 v19, 0, v19, vcc_lo
	s_mov_b32 s1, exec_lo
	s_delay_alu instid0(VALU_DEP_2) | instskip(NEXT) | instid1(VALU_DEP_2)
	v_dual_cndmask_b32 v20, 0, v20 :: v_dual_fmaak_f32 v17, 0x2f800000, v17, 0x2f800000
	v_add_co_u32 v19, vcc_lo, s2, v19
	s_delay_alu instid0(VALU_DEP_2) | instskip(NEXT) | instid1(VALU_DEP_3)
	v_add_co_ci_u32_e32 v20, vcc_lo, s3, v20, vcc_lo
	v_cmp_le_f32_e32 vcc_lo, v17, v18
	v_cndmask_b32_e64 v17, 0, 1, vcc_lo
	global_store_b8 v[19:20], v17, off
.LBB20_36:                              ;   in Loop: Header=BB20_3 Depth=1
	s_or_b32 exec_lo, exec_lo, s40
	s_delay_alu instid0(SALU_CYCLE_1)
	s_and_not1_b32 s0, s38, exec_lo
	s_and_b32 s1, s1, exec_lo
	s_or_b32 s39, s39, exec_lo
	s_and_not1_b32 s37, s37, exec_lo
	s_and_not1_b32 s36, s36, exec_lo
	;; [unrolled: 1-line block ×3, first 2 shown]
	s_or_b32 s38, s0, s1
.LBB20_37:                              ;   in Loop: Header=BB20_3 Depth=1
	s_or_b32 exec_lo, exec_lo, s34
	s_delay_alu instid0(SALU_CYCLE_1)
	s_and_not1_b32 s1, s33, exec_lo
	s_and_b32 s33, s39, exec_lo
	s_and_not1_b32 s30, s30, exec_lo
	s_and_b32 s34, s37, exec_lo
	s_or_b32 s33, s1, s33
	s_or_b32 s30, s30, s34
	s_and_not1_b32 s1, s31, exec_lo
	s_and_b32 s31, s36, exec_lo
	s_and_not1_b32 s29, s29, exec_lo
	s_and_b32 s34, s35, exec_lo
	s_mov_b32 s0, -1
	s_or_b32 s31, s1, s31
	s_or_b32 s29, s29, s34
	s_and_saveexec_b32 s1, s38
	s_cbranch_execz .LBB20_2
; %bb.38:                               ;   in Loop: Header=BB20_3 Depth=1
	v_add_co_u32 v2, vcc_lo, v2, s20
	v_add_co_ci_u32_e32 v3, vcc_lo, 0, v3, vcc_lo
	v_subrev_nc_u32_e32 v0, s20, v0
	s_add_u32 s16, s16, s22
	s_addc_u32 s17, s17, s21
	s_delay_alu instid0(VALU_DEP_2)
	v_cmp_le_u64_e32 vcc_lo, s[4:5], v[2:3]
	s_add_u32 s14, s14, s25
	s_addc_u32 s15, s15, s24
	s_and_not1_b32 s33, s33, exec_lo
	s_and_not1_b32 s30, s30, exec_lo
	;; [unrolled: 1-line block ×4, first 2 shown]
	s_or_not1_b32 s0, vcc_lo, exec_lo
	s_branch .LBB20_2
.LBB20_39:
	s_or_b32 exec_lo, exec_lo, s18
	s_xor_b32 s3, s27, -1
	s_xor_b32 s4, s28, -1
	;; [unrolled: 1-line block ×3, first 2 shown]
	s_mov_b32 s1, 0
	s_and_saveexec_b32 s2, s0
	s_delay_alu instid0(SALU_CYCLE_1)
	s_xor_b32 s0, exec_lo, s2
	s_cbranch_execz .LBB20_48
; %bb.40:
	s_mov_b32 s2, 0
	s_and_saveexec_b32 s1, s4
	s_delay_alu instid0(SALU_CYCLE_1)
	s_xor_b32 s1, exec_lo, s1
	s_cbranch_execz .LBB20_46
; %bb.41:
	s_and_saveexec_b32 s4, s3
	s_delay_alu instid0(SALU_CYCLE_1)
	s_xor_b32 s3, exec_lo, s4
	s_cbranch_execz .LBB20_44
; %bb.42:
	s_and_saveexec_b32 s4, s23
	s_delay_alu instid0(SALU_CYCLE_1)
	s_xor_b32 s4, exec_lo, s4
	s_cbranch_execnz .LBB20_62
.LBB20_43:
	s_or_b32 exec_lo, exec_lo, s4
	s_delay_alu instid0(SALU_CYCLE_1)
	s_and_b32 s2, s2, exec_lo
.LBB20_44:
	s_and_not1_saveexec_b32 s3, s3
	s_cbranch_execnz .LBB20_58
.LBB20_45:
	s_or_b32 exec_lo, exec_lo, s3
	s_delay_alu instid0(SALU_CYCLE_1)
	s_and_b32 s2, s2, exec_lo
.LBB20_46:
	s_and_not1_saveexec_b32 s1, s1
	s_cbranch_execnz .LBB20_54
.LBB20_47:
	s_or_b32 exec_lo, exec_lo, s1
	s_delay_alu instid0(SALU_CYCLE_1)
	s_and_b32 s1, s2, exec_lo
.LBB20_48:
	s_and_not1_saveexec_b32 s0, s0
	s_cbranch_execnz .LBB20_52
; %bb.49:
	s_or_b32 exec_lo, exec_lo, s0
	s_delay_alu instid0(SALU_CYCLE_1)
	s_and_b32 exec_lo, exec_lo, s1
.LBB20_50:
	; divergent unreachable
.LBB20_51:
	s_nop 0
	s_sendmsg sendmsg(MSG_DEALLOC_VGPRS)
	s_endpgm
.LBB20_52:
	s_cbranch_execnz .LBB20_56
; %bb.53:
	s_or_b32 s1, s1, exec_lo
	s_or_b32 exec_lo, exec_lo, s0
	s_delay_alu instid0(SALU_CYCLE_1)
	s_and_b32 exec_lo, exec_lo, s1
	s_cbranch_execnz .LBB20_50
	s_branch .LBB20_51
.LBB20_54:
	s_cbranch_execnz .LBB20_60
; %bb.55:
	s_or_b32 s2, s2, exec_lo
	s_branch .LBB20_47
.LBB20_56:
	s_trap 2
	s_sendmsg_rtn_b32 s0, sendmsg(MSG_RTN_GET_DOORBELL)
	s_mov_b32 ttmp2, m0
	s_waitcnt lgkmcnt(0)
	s_and_b32 s0, s0, 0x3ff
	s_delay_alu instid0(SALU_CYCLE_1) | instskip(NEXT) | instid1(SALU_CYCLE_1)
	s_bitset1_b32 s0, 10
	s_mov_b32 m0, s0
	s_sendmsg sendmsg(MSG_INTERRUPT)
	s_mov_b32 m0, ttmp2
.LBB20_57:                              ; =>This Inner Loop Header: Depth=1
	s_sethalt 5
	s_branch .LBB20_57
.LBB20_58:
	s_cbranch_execnz .LBB20_64
; %bb.59:
	s_or_b32 s2, s2, exec_lo
	s_branch .LBB20_45
.LBB20_60:
	s_trap 2
	s_sendmsg_rtn_b32 s0, sendmsg(MSG_RTN_GET_DOORBELL)
	s_mov_b32 ttmp2, m0
	s_waitcnt lgkmcnt(0)
	s_and_b32 s0, s0, 0x3ff
	s_delay_alu instid0(SALU_CYCLE_1) | instskip(NEXT) | instid1(SALU_CYCLE_1)
	s_bitset1_b32 s0, 10
	s_mov_b32 m0, s0
	s_sendmsg sendmsg(MSG_INTERRUPT)
	s_mov_b32 m0, ttmp2
.LBB20_61:                              ; =>This Inner Loop Header: Depth=1
	s_sethalt 5
	s_branch .LBB20_61
.LBB20_62:
	s_cbranch_execnz .LBB20_66
; %bb.63:
	s_mov_b32 s2, exec_lo
	s_branch .LBB20_43
.LBB20_64:
	s_trap 2
	s_sendmsg_rtn_b32 s0, sendmsg(MSG_RTN_GET_DOORBELL)
	s_mov_b32 ttmp2, m0
	s_waitcnt lgkmcnt(0)
	s_and_b32 s0, s0, 0x3ff
	s_delay_alu instid0(SALU_CYCLE_1) | instskip(NEXT) | instid1(SALU_CYCLE_1)
	s_bitset1_b32 s0, 10
	s_mov_b32 m0, s0
	s_sendmsg sendmsg(MSG_INTERRUPT)
	s_mov_b32 m0, ttmp2
.LBB20_65:                              ; =>This Inner Loop Header: Depth=1
	s_sethalt 5
	s_branch .LBB20_65
.LBB20_66:
	s_trap 2
	s_sendmsg_rtn_b32 s0, sendmsg(MSG_RTN_GET_DOORBELL)
	s_mov_b32 ttmp2, m0
	s_waitcnt lgkmcnt(0)
	s_and_b32 s0, s0, 0x3ff
	s_delay_alu instid0(SALU_CYCLE_1) | instskip(NEXT) | instid1(SALU_CYCLE_1)
	s_bitset1_b32 s0, 10
	s_mov_b32 m0, s0
	s_sendmsg sendmsg(MSG_INTERRUPT)
	s_mov_b32 m0, ttmp2
.LBB20_67:                              ; =>This Inner Loop Header: Depth=1
	s_sethalt 5
	s_branch .LBB20_67
	.section	.rodata,"a",@progbits
	.p2align	6, 0x0
	.amdhsa_kernel _ZN2at4cuda12_GLOBAL__N_121kernelPointwiseApply2IZNS_6native9templates4cuda28bernoulli_tensor_cuda_kernelIhfEEvRKNS_10TensorBaseES9_NS_15PhiloxCudaStateEEUliRhSB_SB_SB_RKfSD_SD_SD_E_hSC_mLi1ELi1ELi4ELi512ELi2EEEvNS0_6detail10TensorInfoIT0_T2_EENSG_IT1_SI_EESI_T_
		.amdhsa_group_segment_fixed_size 0
		.amdhsa_private_segment_fixed_size 0
		.amdhsa_kernarg_size 1128
		.amdhsa_user_sgpr_count 15
		.amdhsa_user_sgpr_dispatch_ptr 0
		.amdhsa_user_sgpr_queue_ptr 0
		.amdhsa_user_sgpr_kernarg_segment_ptr 1
		.amdhsa_user_sgpr_dispatch_id 0
		.amdhsa_user_sgpr_private_segment_size 0
		.amdhsa_wavefront_size32 1
		.amdhsa_uses_dynamic_stack 0
		.amdhsa_enable_private_segment 0
		.amdhsa_system_sgpr_workgroup_id_x 1
		.amdhsa_system_sgpr_workgroup_id_y 0
		.amdhsa_system_sgpr_workgroup_id_z 0
		.amdhsa_system_sgpr_workgroup_info 0
		.amdhsa_system_vgpr_workitem_id 0
		.amdhsa_next_free_vgpr 48
		.amdhsa_next_free_sgpr 41
		.amdhsa_reserve_vcc 1
		.amdhsa_float_round_mode_32 0
		.amdhsa_float_round_mode_16_64 0
		.amdhsa_float_denorm_mode_32 3
		.amdhsa_float_denorm_mode_16_64 3
		.amdhsa_dx10_clamp 1
		.amdhsa_ieee_mode 1
		.amdhsa_fp16_overflow 0
		.amdhsa_workgroup_processor_mode 1
		.amdhsa_memory_ordered 1
		.amdhsa_forward_progress 0
		.amdhsa_shared_vgpr_count 0
		.amdhsa_exception_fp_ieee_invalid_op 0
		.amdhsa_exception_fp_denorm_src 0
		.amdhsa_exception_fp_ieee_div_zero 0
		.amdhsa_exception_fp_ieee_overflow 0
		.amdhsa_exception_fp_ieee_underflow 0
		.amdhsa_exception_fp_ieee_inexact 0
		.amdhsa_exception_int_div_zero 0
	.end_amdhsa_kernel
	.section	.text._ZN2at4cuda12_GLOBAL__N_121kernelPointwiseApply2IZNS_6native9templates4cuda28bernoulli_tensor_cuda_kernelIhfEEvRKNS_10TensorBaseES9_NS_15PhiloxCudaStateEEUliRhSB_SB_SB_RKfSD_SD_SD_E_hSC_mLi1ELi1ELi4ELi512ELi2EEEvNS0_6detail10TensorInfoIT0_T2_EENSG_IT1_SI_EESI_T_,"axG",@progbits,_ZN2at4cuda12_GLOBAL__N_121kernelPointwiseApply2IZNS_6native9templates4cuda28bernoulli_tensor_cuda_kernelIhfEEvRKNS_10TensorBaseES9_NS_15PhiloxCudaStateEEUliRhSB_SB_SB_RKfSD_SD_SD_E_hSC_mLi1ELi1ELi4ELi512ELi2EEEvNS0_6detail10TensorInfoIT0_T2_EENSG_IT1_SI_EESI_T_,comdat
.Lfunc_end20:
	.size	_ZN2at4cuda12_GLOBAL__N_121kernelPointwiseApply2IZNS_6native9templates4cuda28bernoulli_tensor_cuda_kernelIhfEEvRKNS_10TensorBaseES9_NS_15PhiloxCudaStateEEUliRhSB_SB_SB_RKfSD_SD_SD_E_hSC_mLi1ELi1ELi4ELi512ELi2EEEvNS0_6detail10TensorInfoIT0_T2_EENSG_IT1_SI_EESI_T_, .Lfunc_end20-_ZN2at4cuda12_GLOBAL__N_121kernelPointwiseApply2IZNS_6native9templates4cuda28bernoulli_tensor_cuda_kernelIhfEEvRKNS_10TensorBaseES9_NS_15PhiloxCudaStateEEUliRhSB_SB_SB_RKfSD_SD_SD_E_hSC_mLi1ELi1ELi4ELi512ELi2EEEvNS0_6detail10TensorInfoIT0_T2_EENSG_IT1_SI_EESI_T_
                                        ; -- End function
	.section	.AMDGPU.csdata,"",@progbits
; Kernel info:
; codeLenInByte = 3500
; NumSgprs: 43
; NumVgprs: 48
; ScratchSize: 0
; MemoryBound: 0
; FloatMode: 240
; IeeeMode: 1
; LDSByteSize: 0 bytes/workgroup (compile time only)
; SGPRBlocks: 5
; VGPRBlocks: 5
; NumSGPRsForWavesPerEU: 43
; NumVGPRsForWavesPerEU: 48
; Occupancy: 16
; WaveLimiterHint : 1
; COMPUTE_PGM_RSRC2:SCRATCH_EN: 0
; COMPUTE_PGM_RSRC2:USER_SGPR: 15
; COMPUTE_PGM_RSRC2:TRAP_HANDLER: 0
; COMPUTE_PGM_RSRC2:TGID_X_EN: 1
; COMPUTE_PGM_RSRC2:TGID_Y_EN: 0
; COMPUTE_PGM_RSRC2:TGID_Z_EN: 0
; COMPUTE_PGM_RSRC2:TIDIG_COMP_CNT: 0
	.section	.text._ZN2at4cuda12_GLOBAL__N_121kernelPointwiseApply2IZNS_6native9templates4cuda28bernoulli_tensor_cuda_kernelIhfEEvRKNS_10TensorBaseES9_NS_15PhiloxCudaStateEEUliRhSB_SB_SB_RKfSD_SD_SD_E_hSC_mLin1ELin1ELi4ELi512ELi2EEEvNS0_6detail10TensorInfoIT0_T2_EENSG_IT1_SI_EESI_T_,"axG",@progbits,_ZN2at4cuda12_GLOBAL__N_121kernelPointwiseApply2IZNS_6native9templates4cuda28bernoulli_tensor_cuda_kernelIhfEEvRKNS_10TensorBaseES9_NS_15PhiloxCudaStateEEUliRhSB_SB_SB_RKfSD_SD_SD_E_hSC_mLin1ELin1ELi4ELi512ELi2EEEvNS0_6detail10TensorInfoIT0_T2_EENSG_IT1_SI_EESI_T_,comdat
	.globl	_ZN2at4cuda12_GLOBAL__N_121kernelPointwiseApply2IZNS_6native9templates4cuda28bernoulli_tensor_cuda_kernelIhfEEvRKNS_10TensorBaseES9_NS_15PhiloxCudaStateEEUliRhSB_SB_SB_RKfSD_SD_SD_E_hSC_mLin1ELin1ELi4ELi512ELi2EEEvNS0_6detail10TensorInfoIT0_T2_EENSG_IT1_SI_EESI_T_ ; -- Begin function _ZN2at4cuda12_GLOBAL__N_121kernelPointwiseApply2IZNS_6native9templates4cuda28bernoulli_tensor_cuda_kernelIhfEEvRKNS_10TensorBaseES9_NS_15PhiloxCudaStateEEUliRhSB_SB_SB_RKfSD_SD_SD_E_hSC_mLin1ELin1ELi4ELi512ELi2EEEvNS0_6detail10TensorInfoIT0_T2_EENSG_IT1_SI_EESI_T_
	.p2align	8
	.type	_ZN2at4cuda12_GLOBAL__N_121kernelPointwiseApply2IZNS_6native9templates4cuda28bernoulli_tensor_cuda_kernelIhfEEvRKNS_10TensorBaseES9_NS_15PhiloxCudaStateEEUliRhSB_SB_SB_RKfSD_SD_SD_E_hSC_mLin1ELin1ELi4ELi512ELi2EEEvNS0_6detail10TensorInfoIT0_T2_EENSG_IT1_SI_EESI_T_,@function
_ZN2at4cuda12_GLOBAL__N_121kernelPointwiseApply2IZNS_6native9templates4cuda28bernoulli_tensor_cuda_kernelIhfEEvRKNS_10TensorBaseES9_NS_15PhiloxCudaStateEEUliRhSB_SB_SB_RKfSD_SD_SD_E_hSC_mLin1ELin1ELi4ELi512ELi2EEEvNS0_6detail10TensorInfoIT0_T2_EENSG_IT1_SI_EESI_T_: ; @_ZN2at4cuda12_GLOBAL__N_121kernelPointwiseApply2IZNS_6native9templates4cuda28bernoulli_tensor_cuda_kernelIhfEEvRKNS_10TensorBaseES9_NS_15PhiloxCudaStateEEUliRhSB_SB_SB_RKfSD_SD_SD_E_hSC_mLin1ELin1ELi4ELi512ELi2EEEvNS0_6detail10TensorInfoIT0_T2_EENSG_IT1_SI_EESI_T_
; %bb.0:
	s_clause 0x1
	s_load_b32 s12, s[0:1], 0x374
	s_load_b256 s[4:11], s[0:1], 0x340
	s_add_u32 s2, s0, 0x368
	s_addc_u32 s3, s1, 0
	s_waitcnt lgkmcnt(0)
	s_and_b32 s18, s12, 0xffff
	s_mov_b32 s12, exec_lo
	v_mad_u64_u32 v[1:2], null, s15, s18, v[0:1]
	v_mov_b32_e32 v2, 0
	s_delay_alu instid0(VALU_DEP_1) | instskip(NEXT) | instid1(VALU_DEP_1)
	v_dual_mov_b32 v5, v2 :: v_dual_lshlrev_b32 v4, 2, v1
	v_cmpx_gt_u64_e64 s[4:5], v[4:5]
	s_cbranch_execz .LBB21_122
; %bb.1:
	s_clause 0x2
	s_load_b32 s22, s[0:1], 0x198
	s_load_b32 s23, s[0:1], 0x338
	;; [unrolled: 1-line block ×4, first 2 shown]
	s_add_u32 s24, s0, 0x1a0
	s_addc_u32 s25, s1, 0
	s_clause 0x3
	s_load_b64 s[2:3], s[0:1], 0x270
	s_load_b64 s[12:13], s[0:1], 0x1a0
	;; [unrolled: 1-line block ×4, first 2 shown]
	s_mov_b32 s19, 0
	v_mad_u64_u32 v[6:7], null, 0xcd9e8d57, v1, 0
                                        ; implicit-def: $sgpr35
                                        ; implicit-def: $sgpr37
                                        ; implicit-def: $sgpr36
                                        ; implicit-def: $sgpr38
                                        ; implicit-def: $sgpr40
                                        ; implicit-def: $sgpr39
                                        ; implicit-def: $sgpr41
	s_delay_alu instid0(VALU_DEP_1)
	v_mov_b32_e32 v0, v7
	s_waitcnt lgkmcnt(0)
	s_cmp_gt_i32 s22, 1
	s_cselect_b32 s28, -1, 0
	s_cmp_gt_i32 s23, 1
	s_mul_i32 s21, s21, s18
	s_cselect_b32 s29, -1, 0
	s_bitcmp1_b32 s20, 0
	s_cselect_b32 s30, -1, 0
	s_add_i32 s18, s22, -1
	s_lshl_b32 s31, s21, 2
	s_lshl_b64 s[20:21], s[18:19], 3
	s_add_i32 s33, s22, 1
	s_add_u32 s0, s20, s0
	s_addc_u32 s1, s21, s1
	s_add_u32 s20, s0, 8
	s_addc_u32 s21, s1, 0
	s_add_i32 s18, s23, -1
	s_add_i32 s34, s23, 1
	s_lshl_b64 s[0:1], s[18:19], 3
                                        ; implicit-def: $sgpr18
	s_delay_alu instid0(SALU_CYCLE_1)
	s_add_u32 s0, s0, s24
	s_addc_u32 s1, s1, s25
	s_add_u32 s22, s0, 8
	s_addc_u32 s23, s1, 0
	s_branch .LBB21_3
.LBB21_2:                               ;   in Loop: Header=BB21_3 Depth=1
	s_or_b32 exec_lo, exec_lo, s1
	s_delay_alu instid0(SALU_CYCLE_1) | instskip(NEXT) | instid1(SALU_CYCLE_1)
	s_and_b32 s0, exec_lo, s0
	s_or_b32 s19, s0, s19
	s_and_not1_b32 s0, s18, exec_lo
	s_and_b32 s1, s41, exec_lo
	s_and_not1_b32 s24, s36, exec_lo
	s_and_b32 s25, s39, exec_lo
	s_or_b32 s18, s0, s1
	s_or_b32 s36, s24, s25
	s_and_not1_b32 s0, s37, exec_lo
	s_and_b32 s1, s40, exec_lo
	s_and_not1_b32 s24, s35, exec_lo
	s_and_b32 s25, s38, exec_lo
	s_or_b32 s37, s0, s1
	s_or_b32 s35, s24, s25
	s_and_not1_b32 exec_lo, exec_lo, s19
	s_cbranch_execz .LBB21_110
.LBB21_3:                               ; =>This Loop Header: Depth=1
                                        ;     Child Loop BB21_5 Depth 2
                                        ;     Child Loop BB21_14 Depth 2
	;; [unrolled: 1-line block ×8, first 2 shown]
	v_sub_nc_u32_e32 v38, s4, v4
	v_mov_b32_e32 v7, 0
	v_mov_b32_e32 v8, 0
	s_delay_alu instid0(VALU_DEP_3) | instskip(NEXT) | instid1(VALU_DEP_1)
	v_cmp_lt_i32_e64 s0, 0, v38
	s_and_saveexec_b32 s42, s0
	s_cbranch_execz .LBB21_12
; %bb.4:                                ;   in Loop: Header=BB21_3 Depth=1
	v_dual_mov_b32 v9, 0 :: v_dual_mov_b32 v8, v5
	v_dual_mov_b32 v10, 0 :: v_dual_mov_b32 v7, v4
	;; [unrolled: 1-line block ×3, first 2 shown]
	s_and_not1_b32 vcc_lo, exec_lo, s28
	s_mov_b64 s[24:25], s[20:21]
	s_mov_b32 s43, s33
	s_cbranch_vccnz .LBB21_11
.LBB21_5:                               ;   Parent Loop BB21_3 Depth=1
                                        ; =>  This Inner Loop Header: Depth=2
	s_load_b64 s[26:27], s[24:25], 0x0
                                        ; implicit-def: $vgpr11_vgpr12
	s_mov_b32 s1, exec_lo
	s_waitcnt lgkmcnt(0)
	v_or_b32_e32 v3, s27, v8
	s_delay_alu instid0(VALU_DEP_1)
	v_cmpx_ne_u64_e32 0, v[2:3]
	s_xor_b32 s44, exec_lo, s1
	s_cbranch_execz .LBB21_7
; %bb.6:                                ;   in Loop: Header=BB21_5 Depth=2
	v_cvt_f32_u32_e32 v3, s26
	v_cvt_f32_u32_e32 v11, s27
	s_sub_u32 s1, 0, s26
	s_subb_u32 s45, 0, s27
	s_delay_alu instid0(VALU_DEP_1) | instskip(NEXT) | instid1(VALU_DEP_1)
	v_fmac_f32_e32 v3, 0x4f800000, v11
	v_rcp_f32_e32 v3, v3
	s_waitcnt_depctr 0xfff
	v_mul_f32_e32 v3, 0x5f7ffffc, v3
	s_delay_alu instid0(VALU_DEP_1) | instskip(NEXT) | instid1(VALU_DEP_1)
	v_mul_f32_e32 v11, 0x2f800000, v3
	v_trunc_f32_e32 v11, v11
	s_delay_alu instid0(VALU_DEP_1) | instskip(SKIP_1) | instid1(VALU_DEP_2)
	v_fmac_f32_e32 v3, 0xcf800000, v11
	v_cvt_u32_f32_e32 v11, v11
	v_cvt_u32_f32_e32 v3, v3
	s_delay_alu instid0(VALU_DEP_2) | instskip(NEXT) | instid1(VALU_DEP_2)
	v_mul_lo_u32 v12, s1, v11
	v_mul_hi_u32 v13, s1, v3
	v_mul_lo_u32 v14, s45, v3
	s_delay_alu instid0(VALU_DEP_2) | instskip(SKIP_1) | instid1(VALU_DEP_2)
	v_add_nc_u32_e32 v12, v13, v12
	v_mul_lo_u32 v13, s1, v3
	v_add_nc_u32_e32 v12, v12, v14
	s_delay_alu instid0(VALU_DEP_2) | instskip(NEXT) | instid1(VALU_DEP_2)
	v_mul_hi_u32 v14, v3, v13
	v_mul_lo_u32 v15, v3, v12
	v_mul_hi_u32 v16, v3, v12
	v_mul_hi_u32 v17, v11, v13
	v_mul_lo_u32 v13, v11, v13
	v_mul_hi_u32 v18, v11, v12
	v_mul_lo_u32 v12, v11, v12
	v_add_co_u32 v14, vcc_lo, v14, v15
	v_add_co_ci_u32_e32 v15, vcc_lo, 0, v16, vcc_lo
	s_delay_alu instid0(VALU_DEP_2) | instskip(NEXT) | instid1(VALU_DEP_2)
	v_add_co_u32 v13, vcc_lo, v14, v13
	v_add_co_ci_u32_e32 v13, vcc_lo, v15, v17, vcc_lo
	v_add_co_ci_u32_e32 v14, vcc_lo, 0, v18, vcc_lo
	s_delay_alu instid0(VALU_DEP_2) | instskip(NEXT) | instid1(VALU_DEP_2)
	v_add_co_u32 v12, vcc_lo, v13, v12
	v_add_co_ci_u32_e32 v13, vcc_lo, 0, v14, vcc_lo
	s_delay_alu instid0(VALU_DEP_2) | instskip(NEXT) | instid1(VALU_DEP_2)
	v_add_co_u32 v3, vcc_lo, v3, v12
	v_add_co_ci_u32_e32 v11, vcc_lo, v11, v13, vcc_lo
	s_delay_alu instid0(VALU_DEP_2) | instskip(SKIP_1) | instid1(VALU_DEP_3)
	v_mul_hi_u32 v12, s1, v3
	v_mul_lo_u32 v14, s45, v3
	v_mul_lo_u32 v13, s1, v11
	s_delay_alu instid0(VALU_DEP_1) | instskip(SKIP_1) | instid1(VALU_DEP_2)
	v_add_nc_u32_e32 v12, v12, v13
	v_mul_lo_u32 v13, s1, v3
	v_add_nc_u32_e32 v12, v12, v14
	s_delay_alu instid0(VALU_DEP_2) | instskip(NEXT) | instid1(VALU_DEP_2)
	v_mul_hi_u32 v14, v3, v13
	v_mul_lo_u32 v15, v3, v12
	v_mul_hi_u32 v16, v3, v12
	v_mul_hi_u32 v17, v11, v13
	v_mul_lo_u32 v13, v11, v13
	v_mul_hi_u32 v18, v11, v12
	v_mul_lo_u32 v12, v11, v12
	v_add_co_u32 v14, vcc_lo, v14, v15
	v_add_co_ci_u32_e32 v15, vcc_lo, 0, v16, vcc_lo
	s_delay_alu instid0(VALU_DEP_2) | instskip(NEXT) | instid1(VALU_DEP_2)
	v_add_co_u32 v13, vcc_lo, v14, v13
	v_add_co_ci_u32_e32 v13, vcc_lo, v15, v17, vcc_lo
	v_add_co_ci_u32_e32 v14, vcc_lo, 0, v18, vcc_lo
	s_delay_alu instid0(VALU_DEP_2) | instskip(NEXT) | instid1(VALU_DEP_2)
	v_add_co_u32 v12, vcc_lo, v13, v12
	v_add_co_ci_u32_e32 v13, vcc_lo, 0, v14, vcc_lo
	s_delay_alu instid0(VALU_DEP_2) | instskip(NEXT) | instid1(VALU_DEP_2)
	v_add_co_u32 v3, vcc_lo, v3, v12
	v_add_co_ci_u32_e32 v17, vcc_lo, v11, v13, vcc_lo
	s_delay_alu instid0(VALU_DEP_2) | instskip(SKIP_1) | instid1(VALU_DEP_3)
	v_mul_hi_u32 v18, v7, v3
	v_mad_u64_u32 v[13:14], null, v8, v3, 0
	v_mad_u64_u32 v[11:12], null, v7, v17, 0
	;; [unrolled: 1-line block ×3, first 2 shown]
	s_delay_alu instid0(VALU_DEP_2) | instskip(NEXT) | instid1(VALU_DEP_3)
	v_add_co_u32 v3, vcc_lo, v18, v11
	v_add_co_ci_u32_e32 v11, vcc_lo, 0, v12, vcc_lo
	s_delay_alu instid0(VALU_DEP_2) | instskip(NEXT) | instid1(VALU_DEP_2)
	v_add_co_u32 v3, vcc_lo, v3, v13
	v_add_co_ci_u32_e32 v3, vcc_lo, v11, v14, vcc_lo
	v_add_co_ci_u32_e32 v11, vcc_lo, 0, v16, vcc_lo
	s_delay_alu instid0(VALU_DEP_2) | instskip(NEXT) | instid1(VALU_DEP_2)
	v_add_co_u32 v3, vcc_lo, v3, v15
	v_add_co_ci_u32_e32 v13, vcc_lo, 0, v11, vcc_lo
	s_delay_alu instid0(VALU_DEP_2) | instskip(SKIP_1) | instid1(VALU_DEP_3)
	v_mul_lo_u32 v14, s27, v3
	v_mad_u64_u32 v[11:12], null, s26, v3, 0
	v_mul_lo_u32 v15, s26, v13
	s_delay_alu instid0(VALU_DEP_2) | instskip(NEXT) | instid1(VALU_DEP_2)
	v_sub_co_u32 v11, vcc_lo, v7, v11
	v_add3_u32 v12, v12, v15, v14
	s_delay_alu instid0(VALU_DEP_1) | instskip(NEXT) | instid1(VALU_DEP_1)
	v_sub_nc_u32_e32 v14, v8, v12
	v_subrev_co_ci_u32_e64 v14, s1, s27, v14, vcc_lo
	v_add_co_u32 v15, s1, v3, 2
	s_delay_alu instid0(VALU_DEP_1) | instskip(SKIP_3) | instid1(VALU_DEP_3)
	v_add_co_ci_u32_e64 v16, s1, 0, v13, s1
	v_sub_co_u32 v17, s1, v11, s26
	v_sub_co_ci_u32_e32 v12, vcc_lo, v8, v12, vcc_lo
	v_subrev_co_ci_u32_e64 v14, s1, 0, v14, s1
	v_cmp_le_u32_e32 vcc_lo, s26, v17
	s_delay_alu instid0(VALU_DEP_3) | instskip(SKIP_1) | instid1(VALU_DEP_4)
	v_cmp_eq_u32_e64 s1, s27, v12
	v_cndmask_b32_e64 v17, 0, -1, vcc_lo
	v_cmp_le_u32_e32 vcc_lo, s27, v14
	v_cndmask_b32_e64 v18, 0, -1, vcc_lo
	v_cmp_le_u32_e32 vcc_lo, s26, v11
	;; [unrolled: 2-line block ×3, first 2 shown]
	v_cndmask_b32_e64 v19, 0, -1, vcc_lo
	v_cmp_eq_u32_e32 vcc_lo, s27, v14
	s_delay_alu instid0(VALU_DEP_2) | instskip(SKIP_3) | instid1(VALU_DEP_3)
	v_cndmask_b32_e64 v11, v19, v11, s1
	v_cndmask_b32_e32 v14, v18, v17, vcc_lo
	v_add_co_u32 v17, vcc_lo, v3, 1
	v_add_co_ci_u32_e32 v18, vcc_lo, 0, v13, vcc_lo
	v_cmp_ne_u32_e32 vcc_lo, 0, v14
	s_delay_alu instid0(VALU_DEP_3) | instskip(NEXT) | instid1(VALU_DEP_3)
	v_cndmask_b32_e32 v14, v17, v15, vcc_lo
	v_cndmask_b32_e32 v12, v18, v16, vcc_lo
	v_cmp_ne_u32_e32 vcc_lo, 0, v11
	s_delay_alu instid0(VALU_DEP_2)
	v_dual_cndmask_b32 v11, v3, v14 :: v_dual_cndmask_b32 v12, v13, v12
.LBB21_7:                               ;   in Loop: Header=BB21_5 Depth=2
	s_and_not1_saveexec_b32 s1, s44
	s_cbranch_execz .LBB21_9
; %bb.8:                                ;   in Loop: Header=BB21_5 Depth=2
	v_cvt_f32_u32_e32 v3, s26
	s_sub_i32 s44, 0, s26
	s_delay_alu instid0(VALU_DEP_1) | instskip(SKIP_2) | instid1(VALU_DEP_1)
	v_rcp_iflag_f32_e32 v3, v3
	s_waitcnt_depctr 0xfff
	v_mul_f32_e32 v3, 0x4f7ffffe, v3
	v_cvt_u32_f32_e32 v3, v3
	s_delay_alu instid0(VALU_DEP_1) | instskip(NEXT) | instid1(VALU_DEP_1)
	v_mul_lo_u32 v11, s44, v3
	v_mul_hi_u32 v11, v3, v11
	s_delay_alu instid0(VALU_DEP_1) | instskip(NEXT) | instid1(VALU_DEP_1)
	v_add_nc_u32_e32 v3, v3, v11
	v_mul_hi_u32 v3, v7, v3
	s_delay_alu instid0(VALU_DEP_1) | instskip(NEXT) | instid1(VALU_DEP_1)
	v_mul_lo_u32 v11, v3, s26
	v_sub_nc_u32_e32 v11, v7, v11
	s_delay_alu instid0(VALU_DEP_1) | instskip(SKIP_1) | instid1(VALU_DEP_2)
	v_subrev_nc_u32_e32 v13, s26, v11
	v_cmp_le_u32_e32 vcc_lo, s26, v11
	v_dual_cndmask_b32 v11, v11, v13 :: v_dual_add_nc_u32 v12, 1, v3
	s_delay_alu instid0(VALU_DEP_1) | instskip(NEXT) | instid1(VALU_DEP_2)
	v_cndmask_b32_e32 v3, v3, v12, vcc_lo
	v_cmp_le_u32_e32 vcc_lo, s26, v11
	s_delay_alu instid0(VALU_DEP_2) | instskip(NEXT) | instid1(VALU_DEP_1)
	v_add_nc_u32_e32 v12, 1, v3
	v_dual_cndmask_b32 v11, v3, v12 :: v_dual_mov_b32 v12, v2
.LBB21_9:                               ;   in Loop: Header=BB21_5 Depth=2
	s_or_b32 exec_lo, exec_lo, s1
	s_load_b64 s[44:45], s[24:25], 0xc8
	s_delay_alu instid0(VALU_DEP_1) | instskip(NEXT) | instid1(VALU_DEP_2)
	v_mul_lo_u32 v3, v12, s26
	v_mul_lo_u32 v15, v11, s27
	v_mad_u64_u32 v[13:14], null, v11, s26, 0
	s_add_i32 s43, s43, -1
	s_add_u32 s24, s24, -8
	s_addc_u32 s25, s25, -1
	s_cmp_gt_u32 s43, 2
	s_delay_alu instid0(VALU_DEP_1) | instskip(NEXT) | instid1(VALU_DEP_2)
	v_add3_u32 v3, v14, v15, v3
	v_sub_co_u32 v13, vcc_lo, v7, v13
	s_delay_alu instid0(VALU_DEP_2) | instskip(SKIP_1) | instid1(VALU_DEP_2)
	v_sub_co_ci_u32_e32 v3, vcc_lo, v8, v3, vcc_lo
	s_waitcnt lgkmcnt(0)
	v_mul_lo_u32 v14, s45, v13
	s_delay_alu instid0(VALU_DEP_2) | instskip(SKIP_1) | instid1(VALU_DEP_1)
	v_mul_lo_u32 v3, s44, v3
	v_mad_u64_u32 v[7:8], null, s44, v13, v[9:10]
	v_add3_u32 v10, v14, v8, v3
	s_delay_alu instid0(VALU_DEP_2)
	v_mov_b32_e32 v9, v7
	s_cbranch_scc0 .LBB21_11
; %bb.10:                               ;   in Loop: Header=BB21_5 Depth=2
	v_dual_mov_b32 v7, v11 :: v_dual_mov_b32 v8, v12
	s_branch .LBB21_5
.LBB21_11:                              ;   in Loop: Header=BB21_3 Depth=1
	s_delay_alu instid0(VALU_DEP_1) | instskip(SKIP_2) | instid1(VALU_DEP_1)
	v_mad_u64_u32 v[7:8], null, s14, v11, v[9:10]
	v_mul_lo_u32 v3, s14, v12
	v_mul_lo_u32 v9, s15, v11
	v_add3_u32 v8, v9, v8, v3
.LBB21_12:                              ;   in Loop: Header=BB21_3 Depth=1
	s_or_b32 exec_lo, exec_lo, s42
	v_mov_b32_e32 v9, 0
	v_mov_b32_e32 v10, 0
	s_and_saveexec_b32 s1, s0
	s_cbranch_execz .LBB21_21
; %bb.13:                               ;   in Loop: Header=BB21_3 Depth=1
	v_dual_mov_b32 v11, 0 :: v_dual_mov_b32 v10, v5
	v_dual_mov_b32 v12, 0 :: v_dual_mov_b32 v9, v4
	;; [unrolled: 1-line block ×3, first 2 shown]
	s_and_not1_b32 vcc_lo, exec_lo, s29
	s_mov_b64 s[24:25], s[22:23]
	s_mov_b32 s42, s34
	s_cbranch_vccnz .LBB21_20
.LBB21_14:                              ;   Parent Loop BB21_3 Depth=1
                                        ; =>  This Inner Loop Header: Depth=2
	s_load_b64 s[26:27], s[24:25], 0x0
                                        ; implicit-def: $vgpr13_vgpr14
	s_mov_b32 s0, exec_lo
	s_waitcnt lgkmcnt(0)
	v_or_b32_e32 v3, s27, v10
	s_delay_alu instid0(VALU_DEP_1)
	v_cmpx_ne_u64_e32 0, v[2:3]
	s_xor_b32 s43, exec_lo, s0
	s_cbranch_execz .LBB21_16
; %bb.15:                               ;   in Loop: Header=BB21_14 Depth=2
	v_cvt_f32_u32_e32 v3, s26
	v_cvt_f32_u32_e32 v13, s27
	s_sub_u32 s0, 0, s26
	s_subb_u32 s44, 0, s27
	s_delay_alu instid0(VALU_DEP_1) | instskip(NEXT) | instid1(VALU_DEP_1)
	v_fmac_f32_e32 v3, 0x4f800000, v13
	v_rcp_f32_e32 v3, v3
	s_waitcnt_depctr 0xfff
	v_mul_f32_e32 v3, 0x5f7ffffc, v3
	s_delay_alu instid0(VALU_DEP_1) | instskip(NEXT) | instid1(VALU_DEP_1)
	v_mul_f32_e32 v13, 0x2f800000, v3
	v_trunc_f32_e32 v13, v13
	s_delay_alu instid0(VALU_DEP_1) | instskip(SKIP_1) | instid1(VALU_DEP_2)
	v_fmac_f32_e32 v3, 0xcf800000, v13
	v_cvt_u32_f32_e32 v13, v13
	v_cvt_u32_f32_e32 v3, v3
	s_delay_alu instid0(VALU_DEP_2) | instskip(NEXT) | instid1(VALU_DEP_2)
	v_mul_lo_u32 v14, s0, v13
	v_mul_hi_u32 v15, s0, v3
	v_mul_lo_u32 v16, s44, v3
	s_delay_alu instid0(VALU_DEP_2) | instskip(SKIP_1) | instid1(VALU_DEP_2)
	v_add_nc_u32_e32 v14, v15, v14
	v_mul_lo_u32 v15, s0, v3
	v_add_nc_u32_e32 v14, v14, v16
	s_delay_alu instid0(VALU_DEP_2) | instskip(NEXT) | instid1(VALU_DEP_2)
	v_mul_hi_u32 v16, v3, v15
	v_mul_lo_u32 v17, v3, v14
	v_mul_hi_u32 v18, v3, v14
	v_mul_hi_u32 v19, v13, v15
	v_mul_lo_u32 v15, v13, v15
	v_mul_hi_u32 v20, v13, v14
	v_mul_lo_u32 v14, v13, v14
	v_add_co_u32 v16, vcc_lo, v16, v17
	v_add_co_ci_u32_e32 v17, vcc_lo, 0, v18, vcc_lo
	s_delay_alu instid0(VALU_DEP_2) | instskip(NEXT) | instid1(VALU_DEP_2)
	v_add_co_u32 v15, vcc_lo, v16, v15
	v_add_co_ci_u32_e32 v15, vcc_lo, v17, v19, vcc_lo
	v_add_co_ci_u32_e32 v16, vcc_lo, 0, v20, vcc_lo
	s_delay_alu instid0(VALU_DEP_2) | instskip(NEXT) | instid1(VALU_DEP_2)
	v_add_co_u32 v14, vcc_lo, v15, v14
	v_add_co_ci_u32_e32 v15, vcc_lo, 0, v16, vcc_lo
	s_delay_alu instid0(VALU_DEP_2) | instskip(NEXT) | instid1(VALU_DEP_2)
	v_add_co_u32 v3, vcc_lo, v3, v14
	v_add_co_ci_u32_e32 v13, vcc_lo, v13, v15, vcc_lo
	s_delay_alu instid0(VALU_DEP_2) | instskip(SKIP_1) | instid1(VALU_DEP_3)
	v_mul_hi_u32 v14, s0, v3
	v_mul_lo_u32 v16, s44, v3
	v_mul_lo_u32 v15, s0, v13
	s_delay_alu instid0(VALU_DEP_1) | instskip(SKIP_1) | instid1(VALU_DEP_2)
	v_add_nc_u32_e32 v14, v14, v15
	v_mul_lo_u32 v15, s0, v3
	v_add_nc_u32_e32 v14, v14, v16
	s_delay_alu instid0(VALU_DEP_2) | instskip(NEXT) | instid1(VALU_DEP_2)
	v_mul_hi_u32 v16, v3, v15
	v_mul_lo_u32 v17, v3, v14
	v_mul_hi_u32 v18, v3, v14
	v_mul_hi_u32 v19, v13, v15
	v_mul_lo_u32 v15, v13, v15
	v_mul_hi_u32 v20, v13, v14
	v_mul_lo_u32 v14, v13, v14
	v_add_co_u32 v16, vcc_lo, v16, v17
	v_add_co_ci_u32_e32 v17, vcc_lo, 0, v18, vcc_lo
	s_delay_alu instid0(VALU_DEP_2) | instskip(NEXT) | instid1(VALU_DEP_2)
	v_add_co_u32 v15, vcc_lo, v16, v15
	v_add_co_ci_u32_e32 v15, vcc_lo, v17, v19, vcc_lo
	v_add_co_ci_u32_e32 v16, vcc_lo, 0, v20, vcc_lo
	s_delay_alu instid0(VALU_DEP_2) | instskip(NEXT) | instid1(VALU_DEP_2)
	v_add_co_u32 v14, vcc_lo, v15, v14
	v_add_co_ci_u32_e32 v15, vcc_lo, 0, v16, vcc_lo
	s_delay_alu instid0(VALU_DEP_2) | instskip(NEXT) | instid1(VALU_DEP_2)
	v_add_co_u32 v3, vcc_lo, v3, v14
	v_add_co_ci_u32_e32 v19, vcc_lo, v13, v15, vcc_lo
	s_delay_alu instid0(VALU_DEP_2) | instskip(SKIP_1) | instid1(VALU_DEP_3)
	v_mul_hi_u32 v20, v9, v3
	v_mad_u64_u32 v[15:16], null, v10, v3, 0
	v_mad_u64_u32 v[13:14], null, v9, v19, 0
	v_mad_u64_u32 v[17:18], null, v10, v19, 0
	s_delay_alu instid0(VALU_DEP_2) | instskip(NEXT) | instid1(VALU_DEP_3)
	v_add_co_u32 v3, vcc_lo, v20, v13
	v_add_co_ci_u32_e32 v13, vcc_lo, 0, v14, vcc_lo
	s_delay_alu instid0(VALU_DEP_2) | instskip(NEXT) | instid1(VALU_DEP_2)
	v_add_co_u32 v3, vcc_lo, v3, v15
	v_add_co_ci_u32_e32 v3, vcc_lo, v13, v16, vcc_lo
	v_add_co_ci_u32_e32 v13, vcc_lo, 0, v18, vcc_lo
	s_delay_alu instid0(VALU_DEP_2) | instskip(NEXT) | instid1(VALU_DEP_2)
	v_add_co_u32 v3, vcc_lo, v3, v17
	v_add_co_ci_u32_e32 v15, vcc_lo, 0, v13, vcc_lo
	s_delay_alu instid0(VALU_DEP_2) | instskip(SKIP_1) | instid1(VALU_DEP_3)
	v_mul_lo_u32 v16, s27, v3
	v_mad_u64_u32 v[13:14], null, s26, v3, 0
	v_mul_lo_u32 v17, s26, v15
	s_delay_alu instid0(VALU_DEP_2) | instskip(NEXT) | instid1(VALU_DEP_2)
	v_sub_co_u32 v13, vcc_lo, v9, v13
	v_add3_u32 v14, v14, v17, v16
	s_delay_alu instid0(VALU_DEP_1) | instskip(NEXT) | instid1(VALU_DEP_1)
	v_sub_nc_u32_e32 v16, v10, v14
	v_subrev_co_ci_u32_e64 v16, s0, s27, v16, vcc_lo
	v_add_co_u32 v17, s0, v3, 2
	s_delay_alu instid0(VALU_DEP_1) | instskip(SKIP_3) | instid1(VALU_DEP_3)
	v_add_co_ci_u32_e64 v18, s0, 0, v15, s0
	v_sub_co_u32 v19, s0, v13, s26
	v_sub_co_ci_u32_e32 v14, vcc_lo, v10, v14, vcc_lo
	v_subrev_co_ci_u32_e64 v16, s0, 0, v16, s0
	v_cmp_le_u32_e32 vcc_lo, s26, v19
	s_delay_alu instid0(VALU_DEP_3) | instskip(SKIP_1) | instid1(VALU_DEP_4)
	v_cmp_eq_u32_e64 s0, s27, v14
	v_cndmask_b32_e64 v19, 0, -1, vcc_lo
	v_cmp_le_u32_e32 vcc_lo, s27, v16
	v_cndmask_b32_e64 v20, 0, -1, vcc_lo
	v_cmp_le_u32_e32 vcc_lo, s26, v13
	v_cndmask_b32_e64 v13, 0, -1, vcc_lo
	v_cmp_le_u32_e32 vcc_lo, s27, v14
	v_cndmask_b32_e64 v21, 0, -1, vcc_lo
	v_cmp_eq_u32_e32 vcc_lo, s27, v16
	s_delay_alu instid0(VALU_DEP_2) | instskip(SKIP_3) | instid1(VALU_DEP_3)
	v_cndmask_b32_e64 v13, v21, v13, s0
	v_cndmask_b32_e32 v16, v20, v19, vcc_lo
	v_add_co_u32 v19, vcc_lo, v3, 1
	v_add_co_ci_u32_e32 v20, vcc_lo, 0, v15, vcc_lo
	v_cmp_ne_u32_e32 vcc_lo, 0, v16
	s_delay_alu instid0(VALU_DEP_3) | instskip(NEXT) | instid1(VALU_DEP_3)
	v_cndmask_b32_e32 v16, v19, v17, vcc_lo
	v_cndmask_b32_e32 v14, v20, v18, vcc_lo
	v_cmp_ne_u32_e32 vcc_lo, 0, v13
	s_delay_alu instid0(VALU_DEP_3) | instskip(NEXT) | instid1(VALU_DEP_3)
	v_cndmask_b32_e32 v13, v3, v16, vcc_lo
	v_cndmask_b32_e32 v14, v15, v14, vcc_lo
.LBB21_16:                              ;   in Loop: Header=BB21_14 Depth=2
	s_and_not1_saveexec_b32 s0, s43
	s_cbranch_execz .LBB21_18
; %bb.17:                               ;   in Loop: Header=BB21_14 Depth=2
	v_cvt_f32_u32_e32 v3, s26
	s_sub_i32 s43, 0, s26
	s_delay_alu instid0(VALU_DEP_1) | instskip(SKIP_2) | instid1(VALU_DEP_1)
	v_rcp_iflag_f32_e32 v3, v3
	s_waitcnt_depctr 0xfff
	v_mul_f32_e32 v3, 0x4f7ffffe, v3
	v_cvt_u32_f32_e32 v3, v3
	s_delay_alu instid0(VALU_DEP_1) | instskip(NEXT) | instid1(VALU_DEP_1)
	v_mul_lo_u32 v13, s43, v3
	v_mul_hi_u32 v13, v3, v13
	s_delay_alu instid0(VALU_DEP_1) | instskip(NEXT) | instid1(VALU_DEP_1)
	v_add_nc_u32_e32 v3, v3, v13
	v_mul_hi_u32 v3, v9, v3
	s_delay_alu instid0(VALU_DEP_1) | instskip(SKIP_1) | instid1(VALU_DEP_2)
	v_mul_lo_u32 v13, v3, s26
	v_add_nc_u32_e32 v14, 1, v3
	v_sub_nc_u32_e32 v13, v9, v13
	s_delay_alu instid0(VALU_DEP_1) | instskip(SKIP_1) | instid1(VALU_DEP_2)
	v_subrev_nc_u32_e32 v15, s26, v13
	v_cmp_le_u32_e32 vcc_lo, s26, v13
	v_cndmask_b32_e32 v13, v13, v15, vcc_lo
	v_cndmask_b32_e32 v3, v3, v14, vcc_lo
	s_delay_alu instid0(VALU_DEP_2) | instskip(NEXT) | instid1(VALU_DEP_2)
	v_cmp_le_u32_e32 vcc_lo, s26, v13
	v_add_nc_u32_e32 v14, 1, v3
	s_delay_alu instid0(VALU_DEP_1)
	v_dual_cndmask_b32 v13, v3, v14 :: v_dual_mov_b32 v14, v2
.LBB21_18:                              ;   in Loop: Header=BB21_14 Depth=2
	s_or_b32 exec_lo, exec_lo, s0
	s_load_b64 s[44:45], s[24:25], 0xc8
	s_delay_alu instid0(VALU_DEP_1) | instskip(NEXT) | instid1(VALU_DEP_2)
	v_mul_lo_u32 v3, v14, s26
	v_mul_lo_u32 v17, v13, s27
	v_mad_u64_u32 v[15:16], null, v13, s26, 0
	s_add_i32 s42, s42, -1
	s_add_u32 s24, s24, -8
	s_addc_u32 s25, s25, -1
	s_cmp_gt_u32 s42, 2
	s_delay_alu instid0(VALU_DEP_1) | instskip(NEXT) | instid1(VALU_DEP_2)
	v_add3_u32 v3, v16, v17, v3
	v_sub_co_u32 v15, vcc_lo, v9, v15
	s_delay_alu instid0(VALU_DEP_2) | instskip(SKIP_1) | instid1(VALU_DEP_2)
	v_sub_co_ci_u32_e32 v3, vcc_lo, v10, v3, vcc_lo
	s_waitcnt lgkmcnt(0)
	v_mul_lo_u32 v16, s45, v15
	s_delay_alu instid0(VALU_DEP_2) | instskip(SKIP_1) | instid1(VALU_DEP_1)
	v_mul_lo_u32 v3, s44, v3
	v_mad_u64_u32 v[9:10], null, s44, v15, v[11:12]
	v_add3_u32 v12, v16, v10, v3
	s_delay_alu instid0(VALU_DEP_2)
	v_mov_b32_e32 v11, v9
	s_cbranch_scc0 .LBB21_20
; %bb.19:                               ;   in Loop: Header=BB21_14 Depth=2
	v_dual_mov_b32 v9, v13 :: v_dual_mov_b32 v10, v14
	s_branch .LBB21_14
.LBB21_20:                              ;   in Loop: Header=BB21_3 Depth=1
	s_delay_alu instid0(VALU_DEP_1) | instskip(SKIP_2) | instid1(VALU_DEP_1)
	v_mad_u64_u32 v[9:10], null, s2, v13, v[11:12]
	v_mul_lo_u32 v3, s2, v14
	v_mul_lo_u32 v11, s3, v13
	v_add3_u32 v10, v11, v10, v3
.LBB21_21:                              ;   in Loop: Header=BB21_3 Depth=1
	s_or_b32 exec_lo, exec_lo, s1
	v_dual_mov_b32 v16, v5 :: v_dual_mov_b32 v11, 0
	v_or_b32_e32 v15, 1, v4
	v_mov_b32_e32 v12, 0
	v_cmp_lt_i32_e64 s0, 1, v38
	s_delay_alu instid0(VALU_DEP_1)
	s_and_saveexec_b32 s42, s0
	s_cbranch_execz .LBB21_30
; %bb.22:                               ;   in Loop: Header=BB21_3 Depth=1
	v_mov_b32_e32 v13, 0
	v_dual_mov_b32 v14, 0 :: v_dual_mov_b32 v11, v15
	v_mov_b32_e32 v12, v16
	v_dual_mov_b32 v18, v16 :: v_dual_mov_b32 v17, v15
	s_and_not1_b32 vcc_lo, exec_lo, s28
	s_mov_b64 s[24:25], s[20:21]
	s_mov_b32 s43, s33
	s_cbranch_vccnz .LBB21_29
.LBB21_23:                              ;   Parent Loop BB21_3 Depth=1
                                        ; =>  This Inner Loop Header: Depth=2
	s_load_b64 s[26:27], s[24:25], 0x0
                                        ; implicit-def: $vgpr17_vgpr18
	s_mov_b32 s1, exec_lo
	s_waitcnt lgkmcnt(0)
	v_or_b32_e32 v3, s27, v12
	s_delay_alu instid0(VALU_DEP_1)
	v_cmpx_ne_u64_e32 0, v[2:3]
	s_xor_b32 s44, exec_lo, s1
	s_cbranch_execz .LBB21_25
; %bb.24:                               ;   in Loop: Header=BB21_23 Depth=2
	v_cvt_f32_u32_e32 v3, s26
	v_cvt_f32_u32_e32 v17, s27
	s_sub_u32 s1, 0, s26
	s_subb_u32 s45, 0, s27
	s_delay_alu instid0(VALU_DEP_1) | instskip(NEXT) | instid1(VALU_DEP_1)
	v_fmac_f32_e32 v3, 0x4f800000, v17
	v_rcp_f32_e32 v3, v3
	s_waitcnt_depctr 0xfff
	v_mul_f32_e32 v3, 0x5f7ffffc, v3
	s_delay_alu instid0(VALU_DEP_1) | instskip(NEXT) | instid1(VALU_DEP_1)
	v_mul_f32_e32 v17, 0x2f800000, v3
	v_trunc_f32_e32 v17, v17
	s_delay_alu instid0(VALU_DEP_1) | instskip(SKIP_1) | instid1(VALU_DEP_2)
	v_fmac_f32_e32 v3, 0xcf800000, v17
	v_cvt_u32_f32_e32 v17, v17
	v_cvt_u32_f32_e32 v3, v3
	s_delay_alu instid0(VALU_DEP_2) | instskip(NEXT) | instid1(VALU_DEP_2)
	v_mul_lo_u32 v18, s1, v17
	v_mul_hi_u32 v19, s1, v3
	v_mul_lo_u32 v20, s45, v3
	s_delay_alu instid0(VALU_DEP_2) | instskip(SKIP_1) | instid1(VALU_DEP_2)
	v_add_nc_u32_e32 v18, v19, v18
	v_mul_lo_u32 v19, s1, v3
	v_add_nc_u32_e32 v18, v18, v20
	s_delay_alu instid0(VALU_DEP_2) | instskip(NEXT) | instid1(VALU_DEP_2)
	v_mul_hi_u32 v20, v3, v19
	v_mul_lo_u32 v21, v3, v18
	v_mul_hi_u32 v22, v3, v18
	v_mul_hi_u32 v23, v17, v19
	v_mul_lo_u32 v19, v17, v19
	v_mul_hi_u32 v24, v17, v18
	v_mul_lo_u32 v18, v17, v18
	v_add_co_u32 v20, vcc_lo, v20, v21
	v_add_co_ci_u32_e32 v21, vcc_lo, 0, v22, vcc_lo
	s_delay_alu instid0(VALU_DEP_2) | instskip(NEXT) | instid1(VALU_DEP_2)
	v_add_co_u32 v19, vcc_lo, v20, v19
	v_add_co_ci_u32_e32 v19, vcc_lo, v21, v23, vcc_lo
	v_add_co_ci_u32_e32 v20, vcc_lo, 0, v24, vcc_lo
	s_delay_alu instid0(VALU_DEP_2) | instskip(NEXT) | instid1(VALU_DEP_2)
	v_add_co_u32 v18, vcc_lo, v19, v18
	v_add_co_ci_u32_e32 v19, vcc_lo, 0, v20, vcc_lo
	s_delay_alu instid0(VALU_DEP_2) | instskip(NEXT) | instid1(VALU_DEP_2)
	v_add_co_u32 v3, vcc_lo, v3, v18
	v_add_co_ci_u32_e32 v17, vcc_lo, v17, v19, vcc_lo
	s_delay_alu instid0(VALU_DEP_2) | instskip(SKIP_1) | instid1(VALU_DEP_3)
	v_mul_hi_u32 v18, s1, v3
	v_mul_lo_u32 v20, s45, v3
	v_mul_lo_u32 v19, s1, v17
	s_delay_alu instid0(VALU_DEP_1) | instskip(SKIP_1) | instid1(VALU_DEP_2)
	v_add_nc_u32_e32 v18, v18, v19
	v_mul_lo_u32 v19, s1, v3
	v_add_nc_u32_e32 v18, v18, v20
	s_delay_alu instid0(VALU_DEP_2) | instskip(NEXT) | instid1(VALU_DEP_2)
	v_mul_hi_u32 v20, v3, v19
	v_mul_lo_u32 v21, v3, v18
	v_mul_hi_u32 v22, v3, v18
	v_mul_hi_u32 v23, v17, v19
	v_mul_lo_u32 v19, v17, v19
	v_mul_hi_u32 v24, v17, v18
	v_mul_lo_u32 v18, v17, v18
	v_add_co_u32 v20, vcc_lo, v20, v21
	v_add_co_ci_u32_e32 v21, vcc_lo, 0, v22, vcc_lo
	s_delay_alu instid0(VALU_DEP_2) | instskip(NEXT) | instid1(VALU_DEP_2)
	v_add_co_u32 v19, vcc_lo, v20, v19
	v_add_co_ci_u32_e32 v19, vcc_lo, v21, v23, vcc_lo
	v_add_co_ci_u32_e32 v20, vcc_lo, 0, v24, vcc_lo
	s_delay_alu instid0(VALU_DEP_2) | instskip(NEXT) | instid1(VALU_DEP_2)
	v_add_co_u32 v18, vcc_lo, v19, v18
	v_add_co_ci_u32_e32 v19, vcc_lo, 0, v20, vcc_lo
	s_delay_alu instid0(VALU_DEP_2) | instskip(NEXT) | instid1(VALU_DEP_2)
	v_add_co_u32 v3, vcc_lo, v3, v18
	v_add_co_ci_u32_e32 v23, vcc_lo, v17, v19, vcc_lo
	s_delay_alu instid0(VALU_DEP_2) | instskip(SKIP_1) | instid1(VALU_DEP_3)
	v_mul_hi_u32 v24, v11, v3
	v_mad_u64_u32 v[19:20], null, v12, v3, 0
	v_mad_u64_u32 v[17:18], null, v11, v23, 0
	;; [unrolled: 1-line block ×3, first 2 shown]
	s_delay_alu instid0(VALU_DEP_2) | instskip(NEXT) | instid1(VALU_DEP_3)
	v_add_co_u32 v3, vcc_lo, v24, v17
	v_add_co_ci_u32_e32 v17, vcc_lo, 0, v18, vcc_lo
	s_delay_alu instid0(VALU_DEP_2) | instskip(NEXT) | instid1(VALU_DEP_2)
	v_add_co_u32 v3, vcc_lo, v3, v19
	v_add_co_ci_u32_e32 v3, vcc_lo, v17, v20, vcc_lo
	v_add_co_ci_u32_e32 v17, vcc_lo, 0, v22, vcc_lo
	s_delay_alu instid0(VALU_DEP_2) | instskip(NEXT) | instid1(VALU_DEP_2)
	v_add_co_u32 v3, vcc_lo, v3, v21
	v_add_co_ci_u32_e32 v19, vcc_lo, 0, v17, vcc_lo
	s_delay_alu instid0(VALU_DEP_2) | instskip(SKIP_1) | instid1(VALU_DEP_3)
	v_mul_lo_u32 v20, s27, v3
	v_mad_u64_u32 v[17:18], null, s26, v3, 0
	v_mul_lo_u32 v21, s26, v19
	s_delay_alu instid0(VALU_DEP_2) | instskip(NEXT) | instid1(VALU_DEP_2)
	v_sub_co_u32 v17, vcc_lo, v11, v17
	v_add3_u32 v18, v18, v21, v20
	s_delay_alu instid0(VALU_DEP_1) | instskip(NEXT) | instid1(VALU_DEP_1)
	v_sub_nc_u32_e32 v20, v12, v18
	v_subrev_co_ci_u32_e64 v20, s1, s27, v20, vcc_lo
	v_add_co_u32 v21, s1, v3, 2
	s_delay_alu instid0(VALU_DEP_1) | instskip(SKIP_3) | instid1(VALU_DEP_3)
	v_add_co_ci_u32_e64 v22, s1, 0, v19, s1
	v_sub_co_u32 v23, s1, v17, s26
	v_sub_co_ci_u32_e32 v18, vcc_lo, v12, v18, vcc_lo
	v_subrev_co_ci_u32_e64 v20, s1, 0, v20, s1
	v_cmp_le_u32_e32 vcc_lo, s26, v23
	s_delay_alu instid0(VALU_DEP_3) | instskip(SKIP_1) | instid1(VALU_DEP_4)
	v_cmp_eq_u32_e64 s1, s27, v18
	v_cndmask_b32_e64 v23, 0, -1, vcc_lo
	v_cmp_le_u32_e32 vcc_lo, s27, v20
	v_cndmask_b32_e64 v24, 0, -1, vcc_lo
	v_cmp_le_u32_e32 vcc_lo, s26, v17
	;; [unrolled: 2-line block ×3, first 2 shown]
	v_cndmask_b32_e64 v25, 0, -1, vcc_lo
	v_cmp_eq_u32_e32 vcc_lo, s27, v20
	s_delay_alu instid0(VALU_DEP_2) | instskip(SKIP_3) | instid1(VALU_DEP_3)
	v_cndmask_b32_e64 v17, v25, v17, s1
	v_cndmask_b32_e32 v20, v24, v23, vcc_lo
	v_add_co_u32 v23, vcc_lo, v3, 1
	v_add_co_ci_u32_e32 v24, vcc_lo, 0, v19, vcc_lo
	v_cmp_ne_u32_e32 vcc_lo, 0, v20
	s_delay_alu instid0(VALU_DEP_3) | instskip(NEXT) | instid1(VALU_DEP_3)
	v_cndmask_b32_e32 v20, v23, v21, vcc_lo
	v_cndmask_b32_e32 v18, v24, v22, vcc_lo
	v_cmp_ne_u32_e32 vcc_lo, 0, v17
	s_delay_alu instid0(VALU_DEP_3) | instskip(NEXT) | instid1(VALU_DEP_3)
	v_cndmask_b32_e32 v17, v3, v20, vcc_lo
	v_cndmask_b32_e32 v18, v19, v18, vcc_lo
.LBB21_25:                              ;   in Loop: Header=BB21_23 Depth=2
	s_and_not1_saveexec_b32 s1, s44
	s_cbranch_execz .LBB21_27
; %bb.26:                               ;   in Loop: Header=BB21_23 Depth=2
	v_cvt_f32_u32_e32 v3, s26
	s_sub_i32 s44, 0, s26
	s_delay_alu instid0(VALU_DEP_1) | instskip(SKIP_2) | instid1(VALU_DEP_1)
	v_rcp_iflag_f32_e32 v3, v3
	s_waitcnt_depctr 0xfff
	v_mul_f32_e32 v3, 0x4f7ffffe, v3
	v_cvt_u32_f32_e32 v3, v3
	s_delay_alu instid0(VALU_DEP_1) | instskip(NEXT) | instid1(VALU_DEP_1)
	v_mul_lo_u32 v17, s44, v3
	v_mul_hi_u32 v17, v3, v17
	s_delay_alu instid0(VALU_DEP_1) | instskip(NEXT) | instid1(VALU_DEP_1)
	v_add_nc_u32_e32 v3, v3, v17
	v_mul_hi_u32 v3, v11, v3
	s_delay_alu instid0(VALU_DEP_1) | instskip(SKIP_1) | instid1(VALU_DEP_2)
	v_mul_lo_u32 v17, v3, s26
	v_add_nc_u32_e32 v18, 1, v3
	v_sub_nc_u32_e32 v17, v11, v17
	s_delay_alu instid0(VALU_DEP_1) | instskip(SKIP_1) | instid1(VALU_DEP_2)
	v_subrev_nc_u32_e32 v19, s26, v17
	v_cmp_le_u32_e32 vcc_lo, s26, v17
	v_cndmask_b32_e32 v17, v17, v19, vcc_lo
	v_cndmask_b32_e32 v3, v3, v18, vcc_lo
	s_delay_alu instid0(VALU_DEP_2) | instskip(NEXT) | instid1(VALU_DEP_2)
	v_cmp_le_u32_e32 vcc_lo, s26, v17
	v_add_nc_u32_e32 v18, 1, v3
	s_delay_alu instid0(VALU_DEP_1)
	v_dual_cndmask_b32 v17, v3, v18 :: v_dual_mov_b32 v18, v2
.LBB21_27:                              ;   in Loop: Header=BB21_23 Depth=2
	s_or_b32 exec_lo, exec_lo, s1
	s_load_b64 s[44:45], s[24:25], 0xc8
	s_delay_alu instid0(VALU_DEP_1) | instskip(NEXT) | instid1(VALU_DEP_2)
	v_mul_lo_u32 v3, v18, s26
	v_mul_lo_u32 v21, v17, s27
	v_mad_u64_u32 v[19:20], null, v17, s26, 0
	s_add_i32 s43, s43, -1
	s_add_u32 s24, s24, -8
	s_addc_u32 s25, s25, -1
	s_cmp_gt_u32 s43, 2
	s_delay_alu instid0(VALU_DEP_1) | instskip(NEXT) | instid1(VALU_DEP_2)
	v_add3_u32 v3, v20, v21, v3
	v_sub_co_u32 v19, vcc_lo, v11, v19
	s_delay_alu instid0(VALU_DEP_2) | instskip(SKIP_1) | instid1(VALU_DEP_2)
	v_sub_co_ci_u32_e32 v3, vcc_lo, v12, v3, vcc_lo
	s_waitcnt lgkmcnt(0)
	v_mul_lo_u32 v20, s45, v19
	s_delay_alu instid0(VALU_DEP_2) | instskip(SKIP_1) | instid1(VALU_DEP_1)
	v_mul_lo_u32 v3, s44, v3
	v_mad_u64_u32 v[11:12], null, s44, v19, v[13:14]
	v_add3_u32 v14, v20, v12, v3
	s_delay_alu instid0(VALU_DEP_2)
	v_mov_b32_e32 v13, v11
	s_cbranch_scc0 .LBB21_29
; %bb.28:                               ;   in Loop: Header=BB21_23 Depth=2
	v_dual_mov_b32 v11, v17 :: v_dual_mov_b32 v12, v18
	s_branch .LBB21_23
.LBB21_29:                              ;   in Loop: Header=BB21_3 Depth=1
	s_delay_alu instid0(VALU_DEP_1) | instskip(SKIP_2) | instid1(VALU_DEP_1)
	v_mad_u64_u32 v[11:12], null, s14, v17, v[13:14]
	v_mul_lo_u32 v3, s14, v18
	v_mul_lo_u32 v13, s15, v17
	v_add3_u32 v12, v13, v12, v3
.LBB21_30:                              ;   in Loop: Header=BB21_3 Depth=1
	s_or_b32 exec_lo, exec_lo, s42
	v_mov_b32_e32 v13, 0
	v_mov_b32_e32 v14, 0
	s_and_saveexec_b32 s1, s0
	s_cbranch_execz .LBB21_33
; %bb.31:                               ;   in Loop: Header=BB21_3 Depth=1
	v_mov_b32_e32 v17, 0
	v_mov_b32_e32 v18, 0
	s_and_not1_b32 vcc_lo, exec_lo, s29
	s_mov_b64 s[24:25], s[22:23]
	s_mov_b32 s42, s34
	s_cbranch_vccz .LBB21_42
.LBB21_32:                              ;   in Loop: Header=BB21_3 Depth=1
	s_delay_alu instid0(VALU_DEP_1) | instskip(NEXT) | instid1(VALU_DEP_3)
	v_mad_u64_u32 v[13:14], null, s2, v15, v[17:18]
	v_mul_lo_u32 v3, s2, v16
	v_mul_lo_u32 v15, s3, v15
	s_delay_alu instid0(VALU_DEP_1)
	v_add3_u32 v14, v15, v14, v3
.LBB21_33:                              ;   in Loop: Header=BB21_3 Depth=1
	s_or_b32 exec_lo, exec_lo, s1
	v_dual_mov_b32 v20, v5 :: v_dual_mov_b32 v15, 0
	v_or_b32_e32 v19, 2, v4
	v_mov_b32_e32 v16, 0
	v_cmp_lt_i32_e64 s0, 2, v38
	s_delay_alu instid0(VALU_DEP_1)
	s_and_saveexec_b32 s42, s0
	s_cbranch_execz .LBB21_47
; %bb.34:                               ;   in Loop: Header=BB21_3 Depth=1
	v_mov_b32_e32 v17, 0
	v_dual_mov_b32 v18, 0 :: v_dual_mov_b32 v15, v19
	v_mov_b32_e32 v16, v20
	v_dual_mov_b32 v22, v20 :: v_dual_mov_b32 v21, v19
	s_and_not1_b32 vcc_lo, exec_lo, s28
	s_mov_b64 s[24:25], s[20:21]
	s_mov_b32 s43, s33
	s_cbranch_vccnz .LBB21_46
.LBB21_35:                              ;   Parent Loop BB21_3 Depth=1
                                        ; =>  This Inner Loop Header: Depth=2
	s_load_b64 s[26:27], s[24:25], 0x0
                                        ; implicit-def: $vgpr21_vgpr22
	s_mov_b32 s1, exec_lo
	s_waitcnt lgkmcnt(0)
	v_or_b32_e32 v3, s27, v16
	s_delay_alu instid0(VALU_DEP_1)
	v_cmpx_ne_u64_e32 0, v[2:3]
	s_xor_b32 s44, exec_lo, s1
	s_cbranch_execz .LBB21_37
; %bb.36:                               ;   in Loop: Header=BB21_35 Depth=2
	v_cvt_f32_u32_e32 v3, s26
	v_cvt_f32_u32_e32 v21, s27
	s_sub_u32 s1, 0, s26
	s_subb_u32 s45, 0, s27
	s_delay_alu instid0(VALU_DEP_1) | instskip(NEXT) | instid1(VALU_DEP_1)
	v_fmac_f32_e32 v3, 0x4f800000, v21
	v_rcp_f32_e32 v3, v3
	s_waitcnt_depctr 0xfff
	v_mul_f32_e32 v3, 0x5f7ffffc, v3
	s_delay_alu instid0(VALU_DEP_1) | instskip(NEXT) | instid1(VALU_DEP_1)
	v_mul_f32_e32 v21, 0x2f800000, v3
	v_trunc_f32_e32 v21, v21
	s_delay_alu instid0(VALU_DEP_1) | instskip(SKIP_1) | instid1(VALU_DEP_2)
	v_fmac_f32_e32 v3, 0xcf800000, v21
	v_cvt_u32_f32_e32 v21, v21
	v_cvt_u32_f32_e32 v3, v3
	s_delay_alu instid0(VALU_DEP_2) | instskip(NEXT) | instid1(VALU_DEP_2)
	v_mul_lo_u32 v22, s1, v21
	v_mul_hi_u32 v23, s1, v3
	v_mul_lo_u32 v24, s45, v3
	s_delay_alu instid0(VALU_DEP_2) | instskip(SKIP_1) | instid1(VALU_DEP_2)
	v_add_nc_u32_e32 v22, v23, v22
	v_mul_lo_u32 v23, s1, v3
	v_add_nc_u32_e32 v22, v22, v24
	s_delay_alu instid0(VALU_DEP_2) | instskip(NEXT) | instid1(VALU_DEP_2)
	v_mul_hi_u32 v24, v3, v23
	v_mul_lo_u32 v25, v3, v22
	v_mul_hi_u32 v26, v3, v22
	v_mul_hi_u32 v27, v21, v23
	v_mul_lo_u32 v23, v21, v23
	v_mul_hi_u32 v28, v21, v22
	v_mul_lo_u32 v22, v21, v22
	v_add_co_u32 v24, vcc_lo, v24, v25
	v_add_co_ci_u32_e32 v25, vcc_lo, 0, v26, vcc_lo
	s_delay_alu instid0(VALU_DEP_2) | instskip(NEXT) | instid1(VALU_DEP_2)
	v_add_co_u32 v23, vcc_lo, v24, v23
	v_add_co_ci_u32_e32 v23, vcc_lo, v25, v27, vcc_lo
	v_add_co_ci_u32_e32 v24, vcc_lo, 0, v28, vcc_lo
	s_delay_alu instid0(VALU_DEP_2) | instskip(NEXT) | instid1(VALU_DEP_2)
	v_add_co_u32 v22, vcc_lo, v23, v22
	v_add_co_ci_u32_e32 v23, vcc_lo, 0, v24, vcc_lo
	s_delay_alu instid0(VALU_DEP_2) | instskip(NEXT) | instid1(VALU_DEP_2)
	v_add_co_u32 v3, vcc_lo, v3, v22
	v_add_co_ci_u32_e32 v21, vcc_lo, v21, v23, vcc_lo
	s_delay_alu instid0(VALU_DEP_2) | instskip(SKIP_1) | instid1(VALU_DEP_3)
	v_mul_hi_u32 v22, s1, v3
	v_mul_lo_u32 v24, s45, v3
	v_mul_lo_u32 v23, s1, v21
	s_delay_alu instid0(VALU_DEP_1) | instskip(SKIP_1) | instid1(VALU_DEP_2)
	v_add_nc_u32_e32 v22, v22, v23
	v_mul_lo_u32 v23, s1, v3
	v_add_nc_u32_e32 v22, v22, v24
	s_delay_alu instid0(VALU_DEP_2) | instskip(NEXT) | instid1(VALU_DEP_2)
	v_mul_hi_u32 v24, v3, v23
	v_mul_lo_u32 v25, v3, v22
	v_mul_hi_u32 v26, v3, v22
	v_mul_hi_u32 v27, v21, v23
	v_mul_lo_u32 v23, v21, v23
	v_mul_hi_u32 v28, v21, v22
	v_mul_lo_u32 v22, v21, v22
	v_add_co_u32 v24, vcc_lo, v24, v25
	v_add_co_ci_u32_e32 v25, vcc_lo, 0, v26, vcc_lo
	s_delay_alu instid0(VALU_DEP_2) | instskip(NEXT) | instid1(VALU_DEP_2)
	v_add_co_u32 v23, vcc_lo, v24, v23
	v_add_co_ci_u32_e32 v23, vcc_lo, v25, v27, vcc_lo
	v_add_co_ci_u32_e32 v24, vcc_lo, 0, v28, vcc_lo
	s_delay_alu instid0(VALU_DEP_2) | instskip(NEXT) | instid1(VALU_DEP_2)
	v_add_co_u32 v22, vcc_lo, v23, v22
	v_add_co_ci_u32_e32 v23, vcc_lo, 0, v24, vcc_lo
	s_delay_alu instid0(VALU_DEP_2) | instskip(NEXT) | instid1(VALU_DEP_2)
	v_add_co_u32 v3, vcc_lo, v3, v22
	v_add_co_ci_u32_e32 v27, vcc_lo, v21, v23, vcc_lo
	s_delay_alu instid0(VALU_DEP_2) | instskip(SKIP_1) | instid1(VALU_DEP_3)
	v_mul_hi_u32 v28, v15, v3
	v_mad_u64_u32 v[23:24], null, v16, v3, 0
	v_mad_u64_u32 v[21:22], null, v15, v27, 0
	;; [unrolled: 1-line block ×3, first 2 shown]
	s_delay_alu instid0(VALU_DEP_2) | instskip(NEXT) | instid1(VALU_DEP_3)
	v_add_co_u32 v3, vcc_lo, v28, v21
	v_add_co_ci_u32_e32 v21, vcc_lo, 0, v22, vcc_lo
	s_delay_alu instid0(VALU_DEP_2) | instskip(NEXT) | instid1(VALU_DEP_2)
	v_add_co_u32 v3, vcc_lo, v3, v23
	v_add_co_ci_u32_e32 v3, vcc_lo, v21, v24, vcc_lo
	v_add_co_ci_u32_e32 v21, vcc_lo, 0, v26, vcc_lo
	s_delay_alu instid0(VALU_DEP_2) | instskip(NEXT) | instid1(VALU_DEP_2)
	v_add_co_u32 v3, vcc_lo, v3, v25
	v_add_co_ci_u32_e32 v23, vcc_lo, 0, v21, vcc_lo
	s_delay_alu instid0(VALU_DEP_2) | instskip(SKIP_1) | instid1(VALU_DEP_3)
	v_mul_lo_u32 v24, s27, v3
	v_mad_u64_u32 v[21:22], null, s26, v3, 0
	v_mul_lo_u32 v25, s26, v23
	s_delay_alu instid0(VALU_DEP_2) | instskip(NEXT) | instid1(VALU_DEP_2)
	v_sub_co_u32 v21, vcc_lo, v15, v21
	v_add3_u32 v22, v22, v25, v24
	s_delay_alu instid0(VALU_DEP_1) | instskip(NEXT) | instid1(VALU_DEP_1)
	v_sub_nc_u32_e32 v24, v16, v22
	v_subrev_co_ci_u32_e64 v24, s1, s27, v24, vcc_lo
	v_add_co_u32 v25, s1, v3, 2
	s_delay_alu instid0(VALU_DEP_1) | instskip(SKIP_3) | instid1(VALU_DEP_3)
	v_add_co_ci_u32_e64 v26, s1, 0, v23, s1
	v_sub_co_u32 v27, s1, v21, s26
	v_sub_co_ci_u32_e32 v22, vcc_lo, v16, v22, vcc_lo
	v_subrev_co_ci_u32_e64 v24, s1, 0, v24, s1
	v_cmp_le_u32_e32 vcc_lo, s26, v27
	s_delay_alu instid0(VALU_DEP_3) | instskip(SKIP_1) | instid1(VALU_DEP_4)
	v_cmp_eq_u32_e64 s1, s27, v22
	v_cndmask_b32_e64 v27, 0, -1, vcc_lo
	v_cmp_le_u32_e32 vcc_lo, s27, v24
	v_cndmask_b32_e64 v28, 0, -1, vcc_lo
	v_cmp_le_u32_e32 vcc_lo, s26, v21
	;; [unrolled: 2-line block ×3, first 2 shown]
	v_cndmask_b32_e64 v29, 0, -1, vcc_lo
	v_cmp_eq_u32_e32 vcc_lo, s27, v24
	s_delay_alu instid0(VALU_DEP_2) | instskip(SKIP_3) | instid1(VALU_DEP_3)
	v_cndmask_b32_e64 v21, v29, v21, s1
	v_cndmask_b32_e32 v24, v28, v27, vcc_lo
	v_add_co_u32 v27, vcc_lo, v3, 1
	v_add_co_ci_u32_e32 v28, vcc_lo, 0, v23, vcc_lo
	v_cmp_ne_u32_e32 vcc_lo, 0, v24
	s_delay_alu instid0(VALU_DEP_3) | instskip(NEXT) | instid1(VALU_DEP_3)
	v_cndmask_b32_e32 v24, v27, v25, vcc_lo
	v_cndmask_b32_e32 v22, v28, v26, vcc_lo
	v_cmp_ne_u32_e32 vcc_lo, 0, v21
	s_delay_alu instid0(VALU_DEP_3) | instskip(NEXT) | instid1(VALU_DEP_3)
	v_cndmask_b32_e32 v21, v3, v24, vcc_lo
	v_cndmask_b32_e32 v22, v23, v22, vcc_lo
.LBB21_37:                              ;   in Loop: Header=BB21_35 Depth=2
	s_and_not1_saveexec_b32 s1, s44
	s_cbranch_execz .LBB21_39
; %bb.38:                               ;   in Loop: Header=BB21_35 Depth=2
	v_cvt_f32_u32_e32 v3, s26
	s_sub_i32 s44, 0, s26
	s_delay_alu instid0(VALU_DEP_1) | instskip(SKIP_2) | instid1(VALU_DEP_1)
	v_rcp_iflag_f32_e32 v3, v3
	s_waitcnt_depctr 0xfff
	v_mul_f32_e32 v3, 0x4f7ffffe, v3
	v_cvt_u32_f32_e32 v3, v3
	s_delay_alu instid0(VALU_DEP_1) | instskip(NEXT) | instid1(VALU_DEP_1)
	v_mul_lo_u32 v21, s44, v3
	v_mul_hi_u32 v21, v3, v21
	s_delay_alu instid0(VALU_DEP_1) | instskip(NEXT) | instid1(VALU_DEP_1)
	v_add_nc_u32_e32 v3, v3, v21
	v_mul_hi_u32 v3, v15, v3
	s_delay_alu instid0(VALU_DEP_1) | instskip(SKIP_1) | instid1(VALU_DEP_2)
	v_mul_lo_u32 v21, v3, s26
	v_add_nc_u32_e32 v22, 1, v3
	v_sub_nc_u32_e32 v21, v15, v21
	s_delay_alu instid0(VALU_DEP_1) | instskip(SKIP_1) | instid1(VALU_DEP_2)
	v_subrev_nc_u32_e32 v23, s26, v21
	v_cmp_le_u32_e32 vcc_lo, s26, v21
	v_cndmask_b32_e32 v21, v21, v23, vcc_lo
	v_cndmask_b32_e32 v3, v3, v22, vcc_lo
	s_delay_alu instid0(VALU_DEP_2) | instskip(NEXT) | instid1(VALU_DEP_2)
	v_cmp_le_u32_e32 vcc_lo, s26, v21
	v_add_nc_u32_e32 v22, 1, v3
	s_delay_alu instid0(VALU_DEP_1)
	v_dual_cndmask_b32 v21, v3, v22 :: v_dual_mov_b32 v22, v2
.LBB21_39:                              ;   in Loop: Header=BB21_35 Depth=2
	s_or_b32 exec_lo, exec_lo, s1
	s_load_b64 s[44:45], s[24:25], 0xc8
	s_delay_alu instid0(VALU_DEP_1) | instskip(NEXT) | instid1(VALU_DEP_2)
	v_mul_lo_u32 v3, v22, s26
	v_mul_lo_u32 v25, v21, s27
	v_mad_u64_u32 v[23:24], null, v21, s26, 0
	s_add_i32 s43, s43, -1
	s_add_u32 s24, s24, -8
	s_addc_u32 s25, s25, -1
	s_cmp_gt_u32 s43, 2
	s_delay_alu instid0(VALU_DEP_1) | instskip(NEXT) | instid1(VALU_DEP_2)
	v_add3_u32 v3, v24, v25, v3
	v_sub_co_u32 v23, vcc_lo, v15, v23
	s_delay_alu instid0(VALU_DEP_2) | instskip(SKIP_1) | instid1(VALU_DEP_2)
	v_sub_co_ci_u32_e32 v3, vcc_lo, v16, v3, vcc_lo
	s_waitcnt lgkmcnt(0)
	v_mul_lo_u32 v24, s45, v23
	s_delay_alu instid0(VALU_DEP_2) | instskip(SKIP_1) | instid1(VALU_DEP_1)
	v_mul_lo_u32 v3, s44, v3
	v_mad_u64_u32 v[15:16], null, s44, v23, v[17:18]
	v_add3_u32 v18, v24, v16, v3
	s_delay_alu instid0(VALU_DEP_2)
	v_mov_b32_e32 v17, v15
	s_cbranch_scc0 .LBB21_46
; %bb.40:                               ;   in Loop: Header=BB21_35 Depth=2
	v_dual_mov_b32 v15, v21 :: v_dual_mov_b32 v16, v22
	s_branch .LBB21_35
.LBB21_41:                              ;   in Loop: Header=BB21_42 Depth=2
	s_or_b32 exec_lo, exec_lo, s0
	s_load_b64 s[44:45], s[24:25], 0xc8
	s_delay_alu instid0(VALU_DEP_1)
	v_mul_lo_u32 v3, v14, s26
	v_mul_lo_u32 v21, v13, s27
	v_mad_u64_u32 v[19:20], null, v13, s26, 0
	s_add_i32 s42, s42, -1
	s_add_u32 s24, s24, -8
	s_addc_u32 s25, s25, -1
	s_cmp_gt_u32 s42, 2
	s_delay_alu instid0(VALU_DEP_1) | instskip(NEXT) | instid1(VALU_DEP_2)
	v_add3_u32 v3, v20, v21, v3
	v_sub_co_u32 v19, vcc_lo, v15, v19
	s_delay_alu instid0(VALU_DEP_2) | instskip(SKIP_1) | instid1(VALU_DEP_2)
	v_sub_co_ci_u32_e32 v3, vcc_lo, v16, v3, vcc_lo
	s_waitcnt lgkmcnt(0)
	v_mul_lo_u32 v20, s45, v19
	s_delay_alu instid0(VALU_DEP_2) | instskip(SKIP_1) | instid1(VALU_DEP_1)
	v_mul_lo_u32 v3, s44, v3
	v_mad_u64_u32 v[15:16], null, s44, v19, v[17:18]
	v_add3_u32 v18, v20, v16, v3
	s_delay_alu instid0(VALU_DEP_2)
	v_dual_mov_b32 v17, v15 :: v_dual_mov_b32 v16, v14
	v_mov_b32_e32 v15, v13
	s_cbranch_scc0 .LBB21_32
.LBB21_42:                              ;   Parent Loop BB21_3 Depth=1
                                        ; =>  This Inner Loop Header: Depth=2
	s_load_b64 s[26:27], s[24:25], 0x0
                                        ; implicit-def: $vgpr13_vgpr14
	s_mov_b32 s0, exec_lo
	s_waitcnt lgkmcnt(0)
	v_or_b32_e32 v3, s27, v16
	s_delay_alu instid0(VALU_DEP_1)
	v_cmpx_ne_u64_e32 0, v[2:3]
	s_xor_b32 s43, exec_lo, s0
	s_cbranch_execz .LBB21_44
; %bb.43:                               ;   in Loop: Header=BB21_42 Depth=2
	v_cvt_f32_u32_e32 v3, s26
	v_cvt_f32_u32_e32 v13, s27
	s_sub_u32 s0, 0, s26
	s_subb_u32 s44, 0, s27
	s_delay_alu instid0(VALU_DEP_1) | instskip(NEXT) | instid1(VALU_DEP_1)
	v_fmac_f32_e32 v3, 0x4f800000, v13
	v_rcp_f32_e32 v3, v3
	s_waitcnt_depctr 0xfff
	v_mul_f32_e32 v3, 0x5f7ffffc, v3
	s_delay_alu instid0(VALU_DEP_1) | instskip(NEXT) | instid1(VALU_DEP_1)
	v_mul_f32_e32 v13, 0x2f800000, v3
	v_trunc_f32_e32 v13, v13
	s_delay_alu instid0(VALU_DEP_1) | instskip(SKIP_1) | instid1(VALU_DEP_2)
	v_fmac_f32_e32 v3, 0xcf800000, v13
	v_cvt_u32_f32_e32 v13, v13
	v_cvt_u32_f32_e32 v3, v3
	s_delay_alu instid0(VALU_DEP_2) | instskip(NEXT) | instid1(VALU_DEP_2)
	v_mul_lo_u32 v14, s0, v13
	v_mul_hi_u32 v19, s0, v3
	v_mul_lo_u32 v20, s44, v3
	s_delay_alu instid0(VALU_DEP_2) | instskip(SKIP_1) | instid1(VALU_DEP_2)
	v_add_nc_u32_e32 v14, v19, v14
	v_mul_lo_u32 v19, s0, v3
	v_add_nc_u32_e32 v14, v14, v20
	s_delay_alu instid0(VALU_DEP_2) | instskip(NEXT) | instid1(VALU_DEP_2)
	v_mul_hi_u32 v20, v3, v19
	v_mul_lo_u32 v21, v3, v14
	v_mul_hi_u32 v22, v3, v14
	v_mul_hi_u32 v23, v13, v19
	v_mul_lo_u32 v19, v13, v19
	v_mul_hi_u32 v24, v13, v14
	v_mul_lo_u32 v14, v13, v14
	v_add_co_u32 v20, vcc_lo, v20, v21
	v_add_co_ci_u32_e32 v21, vcc_lo, 0, v22, vcc_lo
	s_delay_alu instid0(VALU_DEP_2) | instskip(NEXT) | instid1(VALU_DEP_2)
	v_add_co_u32 v19, vcc_lo, v20, v19
	v_add_co_ci_u32_e32 v19, vcc_lo, v21, v23, vcc_lo
	v_add_co_ci_u32_e32 v20, vcc_lo, 0, v24, vcc_lo
	s_delay_alu instid0(VALU_DEP_2) | instskip(NEXT) | instid1(VALU_DEP_2)
	v_add_co_u32 v14, vcc_lo, v19, v14
	v_add_co_ci_u32_e32 v19, vcc_lo, 0, v20, vcc_lo
	s_delay_alu instid0(VALU_DEP_2) | instskip(NEXT) | instid1(VALU_DEP_2)
	v_add_co_u32 v3, vcc_lo, v3, v14
	v_add_co_ci_u32_e32 v13, vcc_lo, v13, v19, vcc_lo
	s_delay_alu instid0(VALU_DEP_2) | instskip(SKIP_1) | instid1(VALU_DEP_3)
	v_mul_hi_u32 v14, s0, v3
	v_mul_lo_u32 v20, s44, v3
	v_mul_lo_u32 v19, s0, v13
	s_delay_alu instid0(VALU_DEP_1) | instskip(SKIP_1) | instid1(VALU_DEP_2)
	v_add_nc_u32_e32 v14, v14, v19
	v_mul_lo_u32 v19, s0, v3
	v_add_nc_u32_e32 v14, v14, v20
	s_delay_alu instid0(VALU_DEP_2) | instskip(NEXT) | instid1(VALU_DEP_2)
	v_mul_hi_u32 v20, v3, v19
	v_mul_lo_u32 v21, v3, v14
	v_mul_hi_u32 v22, v3, v14
	v_mul_hi_u32 v23, v13, v19
	v_mul_lo_u32 v19, v13, v19
	v_mul_hi_u32 v24, v13, v14
	v_mul_lo_u32 v14, v13, v14
	v_add_co_u32 v20, vcc_lo, v20, v21
	v_add_co_ci_u32_e32 v21, vcc_lo, 0, v22, vcc_lo
	s_delay_alu instid0(VALU_DEP_2) | instskip(NEXT) | instid1(VALU_DEP_2)
	v_add_co_u32 v19, vcc_lo, v20, v19
	v_add_co_ci_u32_e32 v19, vcc_lo, v21, v23, vcc_lo
	v_add_co_ci_u32_e32 v20, vcc_lo, 0, v24, vcc_lo
	s_delay_alu instid0(VALU_DEP_2) | instskip(NEXT) | instid1(VALU_DEP_2)
	v_add_co_u32 v14, vcc_lo, v19, v14
	v_add_co_ci_u32_e32 v19, vcc_lo, 0, v20, vcc_lo
	s_delay_alu instid0(VALU_DEP_2) | instskip(NEXT) | instid1(VALU_DEP_2)
	v_add_co_u32 v3, vcc_lo, v3, v14
	v_add_co_ci_u32_e32 v23, vcc_lo, v13, v19, vcc_lo
	s_delay_alu instid0(VALU_DEP_2) | instskip(SKIP_1) | instid1(VALU_DEP_3)
	v_mul_hi_u32 v24, v15, v3
	v_mad_u64_u32 v[19:20], null, v16, v3, 0
	v_mad_u64_u32 v[13:14], null, v15, v23, 0
	;; [unrolled: 1-line block ×3, first 2 shown]
	s_delay_alu instid0(VALU_DEP_2) | instskip(NEXT) | instid1(VALU_DEP_3)
	v_add_co_u32 v3, vcc_lo, v24, v13
	v_add_co_ci_u32_e32 v13, vcc_lo, 0, v14, vcc_lo
	s_delay_alu instid0(VALU_DEP_2) | instskip(NEXT) | instid1(VALU_DEP_2)
	v_add_co_u32 v3, vcc_lo, v3, v19
	v_add_co_ci_u32_e32 v3, vcc_lo, v13, v20, vcc_lo
	v_add_co_ci_u32_e32 v13, vcc_lo, 0, v22, vcc_lo
	s_delay_alu instid0(VALU_DEP_2) | instskip(NEXT) | instid1(VALU_DEP_2)
	v_add_co_u32 v3, vcc_lo, v3, v21
	v_add_co_ci_u32_e32 v19, vcc_lo, 0, v13, vcc_lo
	s_delay_alu instid0(VALU_DEP_2) | instskip(SKIP_1) | instid1(VALU_DEP_3)
	v_mul_lo_u32 v20, s27, v3
	v_mad_u64_u32 v[13:14], null, s26, v3, 0
	v_mul_lo_u32 v21, s26, v19
	s_delay_alu instid0(VALU_DEP_2) | instskip(NEXT) | instid1(VALU_DEP_2)
	v_sub_co_u32 v13, vcc_lo, v15, v13
	v_add3_u32 v14, v14, v21, v20
	s_delay_alu instid0(VALU_DEP_1) | instskip(NEXT) | instid1(VALU_DEP_1)
	v_sub_nc_u32_e32 v20, v16, v14
	v_subrev_co_ci_u32_e64 v20, s0, s27, v20, vcc_lo
	v_add_co_u32 v21, s0, v3, 2
	s_delay_alu instid0(VALU_DEP_1) | instskip(SKIP_3) | instid1(VALU_DEP_3)
	v_add_co_ci_u32_e64 v22, s0, 0, v19, s0
	v_sub_co_u32 v23, s0, v13, s26
	v_sub_co_ci_u32_e32 v14, vcc_lo, v16, v14, vcc_lo
	v_subrev_co_ci_u32_e64 v20, s0, 0, v20, s0
	v_cmp_le_u32_e32 vcc_lo, s26, v23
	s_delay_alu instid0(VALU_DEP_3) | instskip(SKIP_1) | instid1(VALU_DEP_4)
	v_cmp_eq_u32_e64 s0, s27, v14
	v_cndmask_b32_e64 v23, 0, -1, vcc_lo
	v_cmp_le_u32_e32 vcc_lo, s27, v20
	v_cndmask_b32_e64 v24, 0, -1, vcc_lo
	v_cmp_le_u32_e32 vcc_lo, s26, v13
	;; [unrolled: 2-line block ×3, first 2 shown]
	v_cndmask_b32_e64 v25, 0, -1, vcc_lo
	v_cmp_eq_u32_e32 vcc_lo, s27, v20
	s_delay_alu instid0(VALU_DEP_2) | instskip(SKIP_3) | instid1(VALU_DEP_3)
	v_cndmask_b32_e64 v13, v25, v13, s0
	v_cndmask_b32_e32 v20, v24, v23, vcc_lo
	v_add_co_u32 v23, vcc_lo, v3, 1
	v_add_co_ci_u32_e32 v24, vcc_lo, 0, v19, vcc_lo
	v_cmp_ne_u32_e32 vcc_lo, 0, v20
	s_delay_alu instid0(VALU_DEP_3) | instskip(NEXT) | instid1(VALU_DEP_3)
	v_cndmask_b32_e32 v20, v23, v21, vcc_lo
	v_cndmask_b32_e32 v14, v24, v22, vcc_lo
	v_cmp_ne_u32_e32 vcc_lo, 0, v13
	s_delay_alu instid0(VALU_DEP_3) | instskip(NEXT) | instid1(VALU_DEP_3)
	v_cndmask_b32_e32 v13, v3, v20, vcc_lo
	v_cndmask_b32_e32 v14, v19, v14, vcc_lo
.LBB21_44:                              ;   in Loop: Header=BB21_42 Depth=2
	s_and_not1_saveexec_b32 s0, s43
	s_cbranch_execz .LBB21_41
; %bb.45:                               ;   in Loop: Header=BB21_42 Depth=2
	v_cvt_f32_u32_e32 v3, s26
	s_sub_i32 s43, 0, s26
	s_delay_alu instid0(VALU_DEP_1) | instskip(SKIP_2) | instid1(VALU_DEP_1)
	v_rcp_iflag_f32_e32 v3, v3
	s_waitcnt_depctr 0xfff
	v_mul_f32_e32 v3, 0x4f7ffffe, v3
	v_cvt_u32_f32_e32 v3, v3
	s_delay_alu instid0(VALU_DEP_1) | instskip(NEXT) | instid1(VALU_DEP_1)
	v_mul_lo_u32 v13, s43, v3
	v_mul_hi_u32 v13, v3, v13
	s_delay_alu instid0(VALU_DEP_1) | instskip(NEXT) | instid1(VALU_DEP_1)
	v_add_nc_u32_e32 v3, v3, v13
	v_mul_hi_u32 v3, v15, v3
	s_delay_alu instid0(VALU_DEP_1) | instskip(SKIP_1) | instid1(VALU_DEP_2)
	v_mul_lo_u32 v13, v3, s26
	v_add_nc_u32_e32 v14, 1, v3
	v_sub_nc_u32_e32 v13, v15, v13
	s_delay_alu instid0(VALU_DEP_1) | instskip(SKIP_1) | instid1(VALU_DEP_2)
	v_subrev_nc_u32_e32 v19, s26, v13
	v_cmp_le_u32_e32 vcc_lo, s26, v13
	v_cndmask_b32_e32 v13, v13, v19, vcc_lo
	v_cndmask_b32_e32 v3, v3, v14, vcc_lo
	s_delay_alu instid0(VALU_DEP_2) | instskip(NEXT) | instid1(VALU_DEP_2)
	v_cmp_le_u32_e32 vcc_lo, s26, v13
	v_add_nc_u32_e32 v14, 1, v3
	s_delay_alu instid0(VALU_DEP_1)
	v_dual_cndmask_b32 v13, v3, v14 :: v_dual_mov_b32 v14, v2
	s_branch .LBB21_41
.LBB21_46:                              ;   in Loop: Header=BB21_3 Depth=1
	s_delay_alu instid0(VALU_DEP_1) | instskip(SKIP_2) | instid1(VALU_DEP_1)
	v_mad_u64_u32 v[15:16], null, s14, v21, v[17:18]
	v_mul_lo_u32 v3, s14, v22
	v_mul_lo_u32 v17, s15, v21
	v_add3_u32 v16, v17, v16, v3
.LBB21_47:                              ;   in Loop: Header=BB21_3 Depth=1
	s_or_b32 exec_lo, exec_lo, s42
	v_mov_b32_e32 v17, 0
	v_mov_b32_e32 v18, 0
	s_and_saveexec_b32 s1, s0
	s_cbranch_execz .LBB21_50
; %bb.48:                               ;   in Loop: Header=BB21_3 Depth=1
	v_mov_b32_e32 v21, 0
	v_mov_b32_e32 v22, 0
	s_and_not1_b32 vcc_lo, exec_lo, s29
	s_mov_b64 s[24:25], s[22:23]
	s_mov_b32 s42, s34
	s_cbranch_vccz .LBB21_59
.LBB21_49:                              ;   in Loop: Header=BB21_3 Depth=1
	s_delay_alu instid0(VALU_DEP_1) | instskip(NEXT) | instid1(VALU_DEP_3)
	v_mad_u64_u32 v[17:18], null, s2, v19, v[21:22]
	v_mul_lo_u32 v3, s2, v20
	v_mul_lo_u32 v19, s3, v19
	s_delay_alu instid0(VALU_DEP_1)
	v_add3_u32 v18, v19, v18, v3
.LBB21_50:                              ;   in Loop: Header=BB21_3 Depth=1
	s_or_b32 exec_lo, exec_lo, s1
	v_dual_mov_b32 v22, v5 :: v_dual_mov_b32 v19, 0
	v_or_b32_e32 v21, 3, v4
	v_mov_b32_e32 v20, 0
	v_cmp_lt_i32_e64 s0, 3, v38
	s_delay_alu instid0(VALU_DEP_1)
	s_and_saveexec_b32 s42, s0
	s_cbranch_execz .LBB21_64
; %bb.51:                               ;   in Loop: Header=BB21_3 Depth=1
	v_mov_b32_e32 v23, 0
	v_dual_mov_b32 v24, 0 :: v_dual_mov_b32 v19, v21
	v_mov_b32_e32 v20, v22
	v_dual_mov_b32 v26, v22 :: v_dual_mov_b32 v25, v21
	s_and_not1_b32 vcc_lo, exec_lo, s28
	s_mov_b64 s[24:25], s[20:21]
	s_mov_b32 s43, s33
	s_cbranch_vccnz .LBB21_63
.LBB21_52:                              ;   Parent Loop BB21_3 Depth=1
                                        ; =>  This Inner Loop Header: Depth=2
	s_load_b64 s[26:27], s[24:25], 0x0
                                        ; implicit-def: $vgpr25_vgpr26
	s_mov_b32 s1, exec_lo
	s_waitcnt lgkmcnt(0)
	v_or_b32_e32 v3, s27, v20
	s_delay_alu instid0(VALU_DEP_1)
	v_cmpx_ne_u64_e32 0, v[2:3]
	s_xor_b32 s44, exec_lo, s1
	s_cbranch_execz .LBB21_54
; %bb.53:                               ;   in Loop: Header=BB21_52 Depth=2
	v_cvt_f32_u32_e32 v3, s26
	v_cvt_f32_u32_e32 v25, s27
	s_sub_u32 s1, 0, s26
	s_subb_u32 s45, 0, s27
	s_delay_alu instid0(VALU_DEP_1) | instskip(NEXT) | instid1(VALU_DEP_1)
	v_fmac_f32_e32 v3, 0x4f800000, v25
	v_rcp_f32_e32 v3, v3
	s_waitcnt_depctr 0xfff
	v_mul_f32_e32 v3, 0x5f7ffffc, v3
	s_delay_alu instid0(VALU_DEP_1) | instskip(NEXT) | instid1(VALU_DEP_1)
	v_mul_f32_e32 v25, 0x2f800000, v3
	v_trunc_f32_e32 v25, v25
	s_delay_alu instid0(VALU_DEP_1) | instskip(SKIP_1) | instid1(VALU_DEP_2)
	v_fmac_f32_e32 v3, 0xcf800000, v25
	v_cvt_u32_f32_e32 v25, v25
	v_cvt_u32_f32_e32 v3, v3
	s_delay_alu instid0(VALU_DEP_2) | instskip(NEXT) | instid1(VALU_DEP_2)
	v_mul_lo_u32 v26, s1, v25
	v_mul_hi_u32 v27, s1, v3
	v_mul_lo_u32 v28, s45, v3
	s_delay_alu instid0(VALU_DEP_2) | instskip(SKIP_1) | instid1(VALU_DEP_2)
	v_add_nc_u32_e32 v26, v27, v26
	v_mul_lo_u32 v27, s1, v3
	v_add_nc_u32_e32 v26, v26, v28
	s_delay_alu instid0(VALU_DEP_2) | instskip(NEXT) | instid1(VALU_DEP_2)
	v_mul_hi_u32 v28, v3, v27
	v_mul_lo_u32 v29, v3, v26
	v_mul_hi_u32 v30, v3, v26
	v_mul_hi_u32 v31, v25, v27
	v_mul_lo_u32 v27, v25, v27
	v_mul_hi_u32 v32, v25, v26
	v_mul_lo_u32 v26, v25, v26
	v_add_co_u32 v28, vcc_lo, v28, v29
	v_add_co_ci_u32_e32 v29, vcc_lo, 0, v30, vcc_lo
	s_delay_alu instid0(VALU_DEP_2) | instskip(NEXT) | instid1(VALU_DEP_2)
	v_add_co_u32 v27, vcc_lo, v28, v27
	v_add_co_ci_u32_e32 v27, vcc_lo, v29, v31, vcc_lo
	v_add_co_ci_u32_e32 v28, vcc_lo, 0, v32, vcc_lo
	s_delay_alu instid0(VALU_DEP_2) | instskip(NEXT) | instid1(VALU_DEP_2)
	v_add_co_u32 v26, vcc_lo, v27, v26
	v_add_co_ci_u32_e32 v27, vcc_lo, 0, v28, vcc_lo
	s_delay_alu instid0(VALU_DEP_2) | instskip(NEXT) | instid1(VALU_DEP_2)
	v_add_co_u32 v3, vcc_lo, v3, v26
	v_add_co_ci_u32_e32 v25, vcc_lo, v25, v27, vcc_lo
	s_delay_alu instid0(VALU_DEP_2) | instskip(SKIP_1) | instid1(VALU_DEP_3)
	v_mul_hi_u32 v26, s1, v3
	v_mul_lo_u32 v28, s45, v3
	v_mul_lo_u32 v27, s1, v25
	s_delay_alu instid0(VALU_DEP_1) | instskip(SKIP_1) | instid1(VALU_DEP_2)
	v_add_nc_u32_e32 v26, v26, v27
	v_mul_lo_u32 v27, s1, v3
	v_add_nc_u32_e32 v26, v26, v28
	s_delay_alu instid0(VALU_DEP_2) | instskip(NEXT) | instid1(VALU_DEP_2)
	v_mul_hi_u32 v28, v3, v27
	v_mul_lo_u32 v29, v3, v26
	v_mul_hi_u32 v30, v3, v26
	v_mul_hi_u32 v31, v25, v27
	v_mul_lo_u32 v27, v25, v27
	v_mul_hi_u32 v32, v25, v26
	v_mul_lo_u32 v26, v25, v26
	v_add_co_u32 v28, vcc_lo, v28, v29
	v_add_co_ci_u32_e32 v29, vcc_lo, 0, v30, vcc_lo
	s_delay_alu instid0(VALU_DEP_2) | instskip(NEXT) | instid1(VALU_DEP_2)
	v_add_co_u32 v27, vcc_lo, v28, v27
	v_add_co_ci_u32_e32 v27, vcc_lo, v29, v31, vcc_lo
	v_add_co_ci_u32_e32 v28, vcc_lo, 0, v32, vcc_lo
	s_delay_alu instid0(VALU_DEP_2) | instskip(NEXT) | instid1(VALU_DEP_2)
	v_add_co_u32 v26, vcc_lo, v27, v26
	v_add_co_ci_u32_e32 v27, vcc_lo, 0, v28, vcc_lo
	s_delay_alu instid0(VALU_DEP_2) | instskip(NEXT) | instid1(VALU_DEP_2)
	v_add_co_u32 v3, vcc_lo, v3, v26
	v_add_co_ci_u32_e32 v31, vcc_lo, v25, v27, vcc_lo
	s_delay_alu instid0(VALU_DEP_2) | instskip(SKIP_1) | instid1(VALU_DEP_3)
	v_mul_hi_u32 v32, v19, v3
	v_mad_u64_u32 v[27:28], null, v20, v3, 0
	v_mad_u64_u32 v[25:26], null, v19, v31, 0
	;; [unrolled: 1-line block ×3, first 2 shown]
	s_delay_alu instid0(VALU_DEP_2) | instskip(NEXT) | instid1(VALU_DEP_3)
	v_add_co_u32 v3, vcc_lo, v32, v25
	v_add_co_ci_u32_e32 v25, vcc_lo, 0, v26, vcc_lo
	s_delay_alu instid0(VALU_DEP_2) | instskip(NEXT) | instid1(VALU_DEP_2)
	v_add_co_u32 v3, vcc_lo, v3, v27
	v_add_co_ci_u32_e32 v3, vcc_lo, v25, v28, vcc_lo
	v_add_co_ci_u32_e32 v25, vcc_lo, 0, v30, vcc_lo
	s_delay_alu instid0(VALU_DEP_2) | instskip(NEXT) | instid1(VALU_DEP_2)
	v_add_co_u32 v3, vcc_lo, v3, v29
	v_add_co_ci_u32_e32 v27, vcc_lo, 0, v25, vcc_lo
	s_delay_alu instid0(VALU_DEP_2) | instskip(SKIP_1) | instid1(VALU_DEP_3)
	v_mul_lo_u32 v28, s27, v3
	v_mad_u64_u32 v[25:26], null, s26, v3, 0
	v_mul_lo_u32 v29, s26, v27
	s_delay_alu instid0(VALU_DEP_2) | instskip(NEXT) | instid1(VALU_DEP_2)
	v_sub_co_u32 v25, vcc_lo, v19, v25
	v_add3_u32 v26, v26, v29, v28
	s_delay_alu instid0(VALU_DEP_1) | instskip(NEXT) | instid1(VALU_DEP_1)
	v_sub_nc_u32_e32 v28, v20, v26
	v_subrev_co_ci_u32_e64 v28, s1, s27, v28, vcc_lo
	v_add_co_u32 v29, s1, v3, 2
	s_delay_alu instid0(VALU_DEP_1) | instskip(SKIP_3) | instid1(VALU_DEP_3)
	v_add_co_ci_u32_e64 v30, s1, 0, v27, s1
	v_sub_co_u32 v31, s1, v25, s26
	v_sub_co_ci_u32_e32 v26, vcc_lo, v20, v26, vcc_lo
	v_subrev_co_ci_u32_e64 v28, s1, 0, v28, s1
	v_cmp_le_u32_e32 vcc_lo, s26, v31
	s_delay_alu instid0(VALU_DEP_3) | instskip(SKIP_1) | instid1(VALU_DEP_4)
	v_cmp_eq_u32_e64 s1, s27, v26
	v_cndmask_b32_e64 v31, 0, -1, vcc_lo
	v_cmp_le_u32_e32 vcc_lo, s27, v28
	v_cndmask_b32_e64 v32, 0, -1, vcc_lo
	v_cmp_le_u32_e32 vcc_lo, s26, v25
	;; [unrolled: 2-line block ×3, first 2 shown]
	v_cndmask_b32_e64 v33, 0, -1, vcc_lo
	v_cmp_eq_u32_e32 vcc_lo, s27, v28
	s_delay_alu instid0(VALU_DEP_2) | instskip(SKIP_3) | instid1(VALU_DEP_3)
	v_cndmask_b32_e64 v25, v33, v25, s1
	v_cndmask_b32_e32 v28, v32, v31, vcc_lo
	v_add_co_u32 v31, vcc_lo, v3, 1
	v_add_co_ci_u32_e32 v32, vcc_lo, 0, v27, vcc_lo
	v_cmp_ne_u32_e32 vcc_lo, 0, v28
	s_delay_alu instid0(VALU_DEP_3) | instskip(NEXT) | instid1(VALU_DEP_3)
	v_cndmask_b32_e32 v28, v31, v29, vcc_lo
	v_cndmask_b32_e32 v26, v32, v30, vcc_lo
	v_cmp_ne_u32_e32 vcc_lo, 0, v25
	s_delay_alu instid0(VALU_DEP_3) | instskip(NEXT) | instid1(VALU_DEP_3)
	v_cndmask_b32_e32 v25, v3, v28, vcc_lo
	v_cndmask_b32_e32 v26, v27, v26, vcc_lo
.LBB21_54:                              ;   in Loop: Header=BB21_52 Depth=2
	s_and_not1_saveexec_b32 s1, s44
	s_cbranch_execz .LBB21_56
; %bb.55:                               ;   in Loop: Header=BB21_52 Depth=2
	v_cvt_f32_u32_e32 v3, s26
	s_sub_i32 s44, 0, s26
	s_delay_alu instid0(VALU_DEP_1) | instskip(SKIP_2) | instid1(VALU_DEP_1)
	v_rcp_iflag_f32_e32 v3, v3
	s_waitcnt_depctr 0xfff
	v_mul_f32_e32 v3, 0x4f7ffffe, v3
	v_cvt_u32_f32_e32 v3, v3
	s_delay_alu instid0(VALU_DEP_1) | instskip(NEXT) | instid1(VALU_DEP_1)
	v_mul_lo_u32 v25, s44, v3
	v_mul_hi_u32 v25, v3, v25
	s_delay_alu instid0(VALU_DEP_1) | instskip(NEXT) | instid1(VALU_DEP_1)
	v_add_nc_u32_e32 v3, v3, v25
	v_mul_hi_u32 v3, v19, v3
	s_delay_alu instid0(VALU_DEP_1) | instskip(SKIP_1) | instid1(VALU_DEP_2)
	v_mul_lo_u32 v25, v3, s26
	v_add_nc_u32_e32 v26, 1, v3
	v_sub_nc_u32_e32 v25, v19, v25
	s_delay_alu instid0(VALU_DEP_1) | instskip(SKIP_1) | instid1(VALU_DEP_2)
	v_subrev_nc_u32_e32 v27, s26, v25
	v_cmp_le_u32_e32 vcc_lo, s26, v25
	v_cndmask_b32_e32 v25, v25, v27, vcc_lo
	v_cndmask_b32_e32 v3, v3, v26, vcc_lo
	s_delay_alu instid0(VALU_DEP_2) | instskip(NEXT) | instid1(VALU_DEP_2)
	v_cmp_le_u32_e32 vcc_lo, s26, v25
	v_add_nc_u32_e32 v26, 1, v3
	s_delay_alu instid0(VALU_DEP_1)
	v_dual_cndmask_b32 v25, v3, v26 :: v_dual_mov_b32 v26, v2
.LBB21_56:                              ;   in Loop: Header=BB21_52 Depth=2
	s_or_b32 exec_lo, exec_lo, s1
	s_load_b64 s[44:45], s[24:25], 0xc8
	s_delay_alu instid0(VALU_DEP_1) | instskip(NEXT) | instid1(VALU_DEP_2)
	v_mul_lo_u32 v3, v26, s26
	v_mul_lo_u32 v29, v25, s27
	v_mad_u64_u32 v[27:28], null, v25, s26, 0
	s_add_i32 s43, s43, -1
	s_add_u32 s24, s24, -8
	s_addc_u32 s25, s25, -1
	s_cmp_gt_u32 s43, 2
	s_delay_alu instid0(VALU_DEP_1) | instskip(NEXT) | instid1(VALU_DEP_2)
	v_add3_u32 v3, v28, v29, v3
	v_sub_co_u32 v27, vcc_lo, v19, v27
	s_delay_alu instid0(VALU_DEP_2) | instskip(SKIP_1) | instid1(VALU_DEP_2)
	v_sub_co_ci_u32_e32 v3, vcc_lo, v20, v3, vcc_lo
	s_waitcnt lgkmcnt(0)
	v_mul_lo_u32 v28, s45, v27
	s_delay_alu instid0(VALU_DEP_2) | instskip(SKIP_1) | instid1(VALU_DEP_1)
	v_mul_lo_u32 v3, s44, v3
	v_mad_u64_u32 v[19:20], null, s44, v27, v[23:24]
	v_add3_u32 v24, v28, v20, v3
	s_delay_alu instid0(VALU_DEP_2)
	v_mov_b32_e32 v23, v19
	s_cbranch_scc0 .LBB21_63
; %bb.57:                               ;   in Loop: Header=BB21_52 Depth=2
	v_dual_mov_b32 v19, v25 :: v_dual_mov_b32 v20, v26
	s_branch .LBB21_52
.LBB21_58:                              ;   in Loop: Header=BB21_59 Depth=2
	s_or_b32 exec_lo, exec_lo, s0
	s_load_b64 s[44:45], s[24:25], 0xc8
	s_delay_alu instid0(VALU_DEP_1)
	v_mul_lo_u32 v3, v18, s26
	v_mul_lo_u32 v25, v17, s27
	v_mad_u64_u32 v[23:24], null, v17, s26, 0
	s_add_i32 s42, s42, -1
	s_add_u32 s24, s24, -8
	s_addc_u32 s25, s25, -1
	s_cmp_gt_u32 s42, 2
	s_delay_alu instid0(VALU_DEP_1) | instskip(NEXT) | instid1(VALU_DEP_2)
	v_add3_u32 v3, v24, v25, v3
	v_sub_co_u32 v23, vcc_lo, v19, v23
	s_delay_alu instid0(VALU_DEP_2) | instskip(SKIP_1) | instid1(VALU_DEP_2)
	v_sub_co_ci_u32_e32 v3, vcc_lo, v20, v3, vcc_lo
	s_waitcnt lgkmcnt(0)
	v_mul_lo_u32 v24, s45, v23
	s_delay_alu instid0(VALU_DEP_2) | instskip(SKIP_1) | instid1(VALU_DEP_1)
	v_mul_lo_u32 v3, s44, v3
	v_mad_u64_u32 v[19:20], null, s44, v23, v[21:22]
	v_add3_u32 v22, v24, v20, v3
	s_delay_alu instid0(VALU_DEP_2)
	v_dual_mov_b32 v21, v19 :: v_dual_mov_b32 v20, v18
	v_mov_b32_e32 v19, v17
	s_cbranch_scc0 .LBB21_49
.LBB21_59:                              ;   Parent Loop BB21_3 Depth=1
                                        ; =>  This Inner Loop Header: Depth=2
	s_load_b64 s[26:27], s[24:25], 0x0
                                        ; implicit-def: $vgpr17_vgpr18
	s_mov_b32 s0, exec_lo
	s_waitcnt lgkmcnt(0)
	v_or_b32_e32 v3, s27, v20
	s_delay_alu instid0(VALU_DEP_1)
	v_cmpx_ne_u64_e32 0, v[2:3]
	s_xor_b32 s43, exec_lo, s0
	s_cbranch_execz .LBB21_61
; %bb.60:                               ;   in Loop: Header=BB21_59 Depth=2
	v_cvt_f32_u32_e32 v3, s26
	v_cvt_f32_u32_e32 v17, s27
	s_sub_u32 s0, 0, s26
	s_subb_u32 s44, 0, s27
	s_delay_alu instid0(VALU_DEP_1) | instskip(NEXT) | instid1(VALU_DEP_1)
	v_fmac_f32_e32 v3, 0x4f800000, v17
	v_rcp_f32_e32 v3, v3
	s_waitcnt_depctr 0xfff
	v_mul_f32_e32 v3, 0x5f7ffffc, v3
	s_delay_alu instid0(VALU_DEP_1) | instskip(NEXT) | instid1(VALU_DEP_1)
	v_mul_f32_e32 v17, 0x2f800000, v3
	v_trunc_f32_e32 v17, v17
	s_delay_alu instid0(VALU_DEP_1) | instskip(SKIP_1) | instid1(VALU_DEP_2)
	v_fmac_f32_e32 v3, 0xcf800000, v17
	v_cvt_u32_f32_e32 v17, v17
	v_cvt_u32_f32_e32 v3, v3
	s_delay_alu instid0(VALU_DEP_2) | instskip(NEXT) | instid1(VALU_DEP_2)
	v_mul_lo_u32 v18, s0, v17
	v_mul_hi_u32 v23, s0, v3
	v_mul_lo_u32 v24, s44, v3
	s_delay_alu instid0(VALU_DEP_2) | instskip(SKIP_1) | instid1(VALU_DEP_2)
	v_add_nc_u32_e32 v18, v23, v18
	v_mul_lo_u32 v23, s0, v3
	v_add_nc_u32_e32 v18, v18, v24
	s_delay_alu instid0(VALU_DEP_2) | instskip(NEXT) | instid1(VALU_DEP_2)
	v_mul_hi_u32 v24, v3, v23
	v_mul_lo_u32 v25, v3, v18
	v_mul_hi_u32 v26, v3, v18
	v_mul_hi_u32 v27, v17, v23
	v_mul_lo_u32 v23, v17, v23
	v_mul_hi_u32 v28, v17, v18
	v_mul_lo_u32 v18, v17, v18
	v_add_co_u32 v24, vcc_lo, v24, v25
	v_add_co_ci_u32_e32 v25, vcc_lo, 0, v26, vcc_lo
	s_delay_alu instid0(VALU_DEP_2) | instskip(NEXT) | instid1(VALU_DEP_2)
	v_add_co_u32 v23, vcc_lo, v24, v23
	v_add_co_ci_u32_e32 v23, vcc_lo, v25, v27, vcc_lo
	v_add_co_ci_u32_e32 v24, vcc_lo, 0, v28, vcc_lo
	s_delay_alu instid0(VALU_DEP_2) | instskip(NEXT) | instid1(VALU_DEP_2)
	v_add_co_u32 v18, vcc_lo, v23, v18
	v_add_co_ci_u32_e32 v23, vcc_lo, 0, v24, vcc_lo
	s_delay_alu instid0(VALU_DEP_2) | instskip(NEXT) | instid1(VALU_DEP_2)
	v_add_co_u32 v3, vcc_lo, v3, v18
	v_add_co_ci_u32_e32 v17, vcc_lo, v17, v23, vcc_lo
	s_delay_alu instid0(VALU_DEP_2) | instskip(SKIP_1) | instid1(VALU_DEP_3)
	v_mul_hi_u32 v18, s0, v3
	v_mul_lo_u32 v24, s44, v3
	v_mul_lo_u32 v23, s0, v17
	s_delay_alu instid0(VALU_DEP_1) | instskip(SKIP_1) | instid1(VALU_DEP_2)
	v_add_nc_u32_e32 v18, v18, v23
	v_mul_lo_u32 v23, s0, v3
	v_add_nc_u32_e32 v18, v18, v24
	s_delay_alu instid0(VALU_DEP_2) | instskip(NEXT) | instid1(VALU_DEP_2)
	v_mul_hi_u32 v24, v3, v23
	v_mul_lo_u32 v25, v3, v18
	v_mul_hi_u32 v26, v3, v18
	v_mul_hi_u32 v27, v17, v23
	v_mul_lo_u32 v23, v17, v23
	v_mul_hi_u32 v28, v17, v18
	v_mul_lo_u32 v18, v17, v18
	v_add_co_u32 v24, vcc_lo, v24, v25
	v_add_co_ci_u32_e32 v25, vcc_lo, 0, v26, vcc_lo
	s_delay_alu instid0(VALU_DEP_2) | instskip(NEXT) | instid1(VALU_DEP_2)
	v_add_co_u32 v23, vcc_lo, v24, v23
	v_add_co_ci_u32_e32 v23, vcc_lo, v25, v27, vcc_lo
	v_add_co_ci_u32_e32 v24, vcc_lo, 0, v28, vcc_lo
	s_delay_alu instid0(VALU_DEP_2) | instskip(NEXT) | instid1(VALU_DEP_2)
	v_add_co_u32 v18, vcc_lo, v23, v18
	v_add_co_ci_u32_e32 v23, vcc_lo, 0, v24, vcc_lo
	s_delay_alu instid0(VALU_DEP_2) | instskip(NEXT) | instid1(VALU_DEP_2)
	v_add_co_u32 v3, vcc_lo, v3, v18
	v_add_co_ci_u32_e32 v27, vcc_lo, v17, v23, vcc_lo
	s_delay_alu instid0(VALU_DEP_2) | instskip(SKIP_1) | instid1(VALU_DEP_3)
	v_mul_hi_u32 v28, v19, v3
	v_mad_u64_u32 v[23:24], null, v20, v3, 0
	v_mad_u64_u32 v[17:18], null, v19, v27, 0
	;; [unrolled: 1-line block ×3, first 2 shown]
	s_delay_alu instid0(VALU_DEP_2) | instskip(NEXT) | instid1(VALU_DEP_3)
	v_add_co_u32 v3, vcc_lo, v28, v17
	v_add_co_ci_u32_e32 v17, vcc_lo, 0, v18, vcc_lo
	s_delay_alu instid0(VALU_DEP_2) | instskip(NEXT) | instid1(VALU_DEP_2)
	v_add_co_u32 v3, vcc_lo, v3, v23
	v_add_co_ci_u32_e32 v3, vcc_lo, v17, v24, vcc_lo
	v_add_co_ci_u32_e32 v17, vcc_lo, 0, v26, vcc_lo
	s_delay_alu instid0(VALU_DEP_2) | instskip(NEXT) | instid1(VALU_DEP_2)
	v_add_co_u32 v3, vcc_lo, v3, v25
	v_add_co_ci_u32_e32 v23, vcc_lo, 0, v17, vcc_lo
	s_delay_alu instid0(VALU_DEP_2) | instskip(SKIP_1) | instid1(VALU_DEP_3)
	v_mul_lo_u32 v24, s27, v3
	v_mad_u64_u32 v[17:18], null, s26, v3, 0
	v_mul_lo_u32 v25, s26, v23
	s_delay_alu instid0(VALU_DEP_2) | instskip(NEXT) | instid1(VALU_DEP_2)
	v_sub_co_u32 v17, vcc_lo, v19, v17
	v_add3_u32 v18, v18, v25, v24
	s_delay_alu instid0(VALU_DEP_1) | instskip(NEXT) | instid1(VALU_DEP_1)
	v_sub_nc_u32_e32 v24, v20, v18
	v_subrev_co_ci_u32_e64 v24, s0, s27, v24, vcc_lo
	v_add_co_u32 v25, s0, v3, 2
	s_delay_alu instid0(VALU_DEP_1) | instskip(SKIP_3) | instid1(VALU_DEP_3)
	v_add_co_ci_u32_e64 v26, s0, 0, v23, s0
	v_sub_co_u32 v27, s0, v17, s26
	v_sub_co_ci_u32_e32 v18, vcc_lo, v20, v18, vcc_lo
	v_subrev_co_ci_u32_e64 v24, s0, 0, v24, s0
	v_cmp_le_u32_e32 vcc_lo, s26, v27
	s_delay_alu instid0(VALU_DEP_3) | instskip(SKIP_1) | instid1(VALU_DEP_4)
	v_cmp_eq_u32_e64 s0, s27, v18
	v_cndmask_b32_e64 v27, 0, -1, vcc_lo
	v_cmp_le_u32_e32 vcc_lo, s27, v24
	v_cndmask_b32_e64 v28, 0, -1, vcc_lo
	v_cmp_le_u32_e32 vcc_lo, s26, v17
	;; [unrolled: 2-line block ×3, first 2 shown]
	v_cndmask_b32_e64 v29, 0, -1, vcc_lo
	v_cmp_eq_u32_e32 vcc_lo, s27, v24
	s_delay_alu instid0(VALU_DEP_2) | instskip(SKIP_3) | instid1(VALU_DEP_3)
	v_cndmask_b32_e64 v17, v29, v17, s0
	v_cndmask_b32_e32 v24, v28, v27, vcc_lo
	v_add_co_u32 v27, vcc_lo, v3, 1
	v_add_co_ci_u32_e32 v28, vcc_lo, 0, v23, vcc_lo
	v_cmp_ne_u32_e32 vcc_lo, 0, v24
	s_delay_alu instid0(VALU_DEP_3) | instskip(NEXT) | instid1(VALU_DEP_3)
	v_cndmask_b32_e32 v24, v27, v25, vcc_lo
	v_cndmask_b32_e32 v18, v28, v26, vcc_lo
	v_cmp_ne_u32_e32 vcc_lo, 0, v17
	s_delay_alu instid0(VALU_DEP_3) | instskip(NEXT) | instid1(VALU_DEP_3)
	v_cndmask_b32_e32 v17, v3, v24, vcc_lo
	v_cndmask_b32_e32 v18, v23, v18, vcc_lo
.LBB21_61:                              ;   in Loop: Header=BB21_59 Depth=2
	s_and_not1_saveexec_b32 s0, s43
	s_cbranch_execz .LBB21_58
; %bb.62:                               ;   in Loop: Header=BB21_59 Depth=2
	v_cvt_f32_u32_e32 v3, s26
	s_sub_i32 s43, 0, s26
	s_delay_alu instid0(VALU_DEP_1) | instskip(SKIP_2) | instid1(VALU_DEP_1)
	v_rcp_iflag_f32_e32 v3, v3
	s_waitcnt_depctr 0xfff
	v_mul_f32_e32 v3, 0x4f7ffffe, v3
	v_cvt_u32_f32_e32 v3, v3
	s_delay_alu instid0(VALU_DEP_1) | instskip(NEXT) | instid1(VALU_DEP_1)
	v_mul_lo_u32 v17, s43, v3
	v_mul_hi_u32 v17, v3, v17
	s_delay_alu instid0(VALU_DEP_1) | instskip(NEXT) | instid1(VALU_DEP_1)
	v_add_nc_u32_e32 v3, v3, v17
	v_mul_hi_u32 v3, v19, v3
	s_delay_alu instid0(VALU_DEP_1) | instskip(SKIP_1) | instid1(VALU_DEP_2)
	v_mul_lo_u32 v17, v3, s26
	v_add_nc_u32_e32 v18, 1, v3
	v_sub_nc_u32_e32 v17, v19, v17
	s_delay_alu instid0(VALU_DEP_1) | instskip(SKIP_1) | instid1(VALU_DEP_2)
	v_subrev_nc_u32_e32 v23, s26, v17
	v_cmp_le_u32_e32 vcc_lo, s26, v17
	v_cndmask_b32_e32 v17, v17, v23, vcc_lo
	v_cndmask_b32_e32 v3, v3, v18, vcc_lo
	s_delay_alu instid0(VALU_DEP_2) | instskip(NEXT) | instid1(VALU_DEP_2)
	v_cmp_le_u32_e32 vcc_lo, s26, v17
	v_add_nc_u32_e32 v18, 1, v3
	s_delay_alu instid0(VALU_DEP_1)
	v_dual_cndmask_b32 v17, v3, v18 :: v_dual_mov_b32 v18, v2
	s_branch .LBB21_58
.LBB21_63:                              ;   in Loop: Header=BB21_3 Depth=1
	s_delay_alu instid0(VALU_DEP_1) | instskip(SKIP_2) | instid1(VALU_DEP_1)
	v_mad_u64_u32 v[19:20], null, s14, v25, v[23:24]
	v_mul_lo_u32 v3, s14, v26
	v_mul_lo_u32 v23, s15, v25
	v_add3_u32 v20, v23, v20, v3
.LBB21_64:                              ;   in Loop: Header=BB21_3 Depth=1
	s_or_b32 exec_lo, exec_lo, s42
	v_mov_b32_e32 v25, 0
	v_mov_b32_e32 v26, 0
	s_and_saveexec_b32 s1, s0
	s_cbranch_execz .LBB21_67
; %bb.65:                               ;   in Loop: Header=BB21_3 Depth=1
	v_mov_b32_e32 v23, 0
	v_mov_b32_e32 v24, 0
	s_and_not1_b32 vcc_lo, exec_lo, s29
	s_mov_b64 s[24:25], s[22:23]
	s_mov_b32 s42, s34
	s_cbranch_vccz .LBB21_97
.LBB21_66:                              ;   in Loop: Header=BB21_3 Depth=1
	s_delay_alu instid0(VALU_DEP_1) | instskip(NEXT) | instid1(VALU_DEP_2)
	v_mad_u64_u32 v[25:26], null, s2, v21, v[23:24]
	v_mul_lo_u32 v3, s2, v22
	v_mul_lo_u32 v21, s3, v21
	s_delay_alu instid0(VALU_DEP_1)
	v_add3_u32 v26, v21, v26, v3
.LBB21_67:                              ;   in Loop: Header=BB21_3 Depth=1
	s_or_b32 exec_lo, exec_lo, s1
	s_delay_alu instid0(VALU_DEP_1) | instskip(SKIP_2) | instid1(VALU_DEP_3)
	v_lshlrev_b64 v[21:22], 2, v[25:26]
	v_dual_mov_b32 v26, s9 :: v_dual_mov_b32 v25, s8
	v_dual_mov_b32 v28, s7 :: v_dual_mov_b32 v27, s6
	v_add_co_u32 v21, vcc_lo, s12, v21
	s_delay_alu instid0(VALU_DEP_4)
	v_add_co_ci_u32_e32 v22, vcc_lo, s13, v22, vcc_lo
	s_and_not1_b32 vcc_lo, exec_lo, s30
	global_load_b32 v3, v[21:22], off
	s_cbranch_vccnz .LBB21_69
; %bb.68:                               ;   in Loop: Header=BB21_3 Depth=1
	v_dual_mov_b32 v22, s9 :: v_dual_mov_b32 v21, s8
	v_dual_mov_b32 v24, s7 :: v_dual_mov_b32 v23, s6
	flat_load_b64 v[21:22], v[21:22]
	flat_load_b64 v[27:28], v[23:24]
	s_waitcnt vmcnt(1) lgkmcnt(1)
	v_add_co_u32 v25, vcc_lo, v21, s10
	v_add_co_ci_u32_e32 v26, vcc_lo, s11, v22, vcc_lo
.LBB21_69:                              ;   in Loop: Header=BB21_3 Depth=1
	s_delay_alu instid0(VALU_DEP_1)
	v_alignbit_b32 v24, v26, v25, 2
	v_lshrrev_b32_e32 v23, 2, v26
	s_waitcnt vmcnt(0) lgkmcnt(0)
	v_add_nc_u32_e32 v39, 0x9e3779b9, v27
	v_add_nc_u32_e32 v41, 0x76cf5d0a, v28
	;; [unrolled: 1-line block ×3, first 2 shown]
	v_add_co_u32 v26, vcc_lo, v24, 1
	s_delay_alu instid0(VALU_DEP_1) | instskip(SKIP_4) | instid1(VALU_DEP_4)
	v_cndmask_b32_e64 v21, 0, 1, vcc_lo
	v_add_co_ci_u32_e32 v35, vcc_lo, 0, v23, vcc_lo
	v_xor3_b32 v31, v0, v27, v23
	v_add_nc_u32_e32 v43, 0x32370b8f, v28
	v_add_nc_u32_e32 v44, 0xed9eba14, v28
	v_cmp_eq_u32_e32 vcc_lo, 0, v35
	v_add_nc_u32_e32 v45, 0x1715609d, v27
	v_add_nc_u32_e32 v46, 0xa9066899, v28
	s_mov_b32 s0, exec_lo
	v_dual_cndmask_b32 v29, 0, v21 :: v_dual_add_nc_u32 v40, 0xbb67ae85, v28
	v_mad_u64_u32 v[21:22], null, 0xd2511f53, v26, 0
	s_delay_alu instid0(VALU_DEP_2) | instskip(NEXT) | instid1(VALU_DEP_2)
	v_add_nc_u32_e32 v26, v29, v1
	v_xor_b32_e32 v30, v22, v28
	s_delay_alu instid0(VALU_DEP_2) | instskip(SKIP_2) | instid1(VALU_DEP_1)
	v_cmp_eq_u32_e32 vcc_lo, 0, v26
	v_mad_u64_u32 v[22:23], null, 0xd2511f53, v24, 0
	v_cndmask_b32_e32 v29, 0, v29, vcc_lo
	v_xor_b32_e32 v24, v29, v30
	v_mad_u64_u32 v[29:30], null, 0xd2511f53, v31, 0
	v_mad_u64_u32 v[31:32], null, 0xcd9e8d57, v26, 0
	v_add_nc_u32_e32 v26, 0x3c6ef372, v27
	s_delay_alu instid0(VALU_DEP_4) | instskip(SKIP_2) | instid1(VALU_DEP_2)
	v_mad_u64_u32 v[33:34], null, 0xcd9e8d57, v24, 0
	v_xor_b32_e32 v24, v23, v28
	v_xor3_b32 v36, v40, v30, v22
	v_mad_u64_u32 v[22:23], null, 0xcd9e8d57, v24, 0
	v_xor3_b32 v24, v32, v27, v35
	v_xor3_b32 v32, v39, v34, v31
	s_delay_alu instid0(VALU_DEP_4) | instskip(NEXT) | instid1(VALU_DEP_3)
	v_mad_u64_u32 v[30:31], null, 0xcd9e8d57, v36, 0
	v_mad_u64_u32 v[34:35], null, 0xd2511f53, v24, 0
	s_delay_alu instid0(VALU_DEP_3) | instskip(SKIP_1) | instid1(VALU_DEP_4)
	v_mad_u64_u32 v[36:37], null, 0xd2511f53, v32, 0
	v_xor3_b32 v24, v6, v23, v39
	v_xor3_b32 v39, v26, v31, v22
	s_delay_alu instid0(VALU_DEP_4) | instskip(NEXT) | instid1(VALU_DEP_3)
	v_xor3_b32 v21, v40, v35, v21
	v_mad_u64_u32 v[22:23], null, 0xd2511f53, v24, 0
	v_xor3_b32 v24, v41, v37, v34
	s_delay_alu instid0(VALU_DEP_4) | instskip(NEXT) | instid1(VALU_DEP_4)
	v_mad_u64_u32 v[31:32], null, 0xd2511f53, v39, 0
	v_mad_u64_u32 v[34:35], null, 0xcd9e8d57, v21, 0
	s_delay_alu instid0(VALU_DEP_3) | instskip(SKIP_4) | instid1(VALU_DEP_4)
	v_mad_u64_u32 v[39:40], null, 0xcd9e8d57, v24, 0
	v_xor3_b32 v23, v41, v23, v29
	v_add_nc_u32_e32 v37, 0x78dde6e4, v27
	v_xor3_b32 v29, v43, v32, v22
	v_xor3_b32 v26, v26, v35, v33
	v_mad_u64_u32 v[21:22], null, 0xcd9e8d57, v23, 0
	v_xor3_b32 v40, v42, v40, v34
	s_delay_alu instid0(VALU_DEP_4) | instskip(NEXT) | instid1(VALU_DEP_4)
	v_mad_u64_u32 v[23:24], null, 0xcd9e8d57, v29, 0
	v_mad_u64_u32 v[32:33], null, 0xd2511f53, v26, 0
	s_delay_alu instid0(VALU_DEP_3) | instskip(SKIP_1) | instid1(VALU_DEP_4)
	v_mad_u64_u32 v[34:35], null, 0xd2511f53, v40, 0
	v_xor3_b32 v26, v42, v22, v30
	v_xor3_b32 v24, v37, v24, v21
	s_delay_alu instid0(VALU_DEP_2) | instskip(SKIP_2) | instid1(VALU_DEP_4)
	v_mad_u64_u32 v[21:22], null, 0xd2511f53, v26, 0
	v_xor3_b32 v26, v43, v33, v36
	v_xor3_b32 v32, v44, v35, v32
	v_mad_u64_u32 v[35:36], null, 0xd2511f53, v24, 0
	s_delay_alu instid0(VALU_DEP_3) | instskip(NEXT) | instid1(VALU_DEP_3)
	v_mad_u64_u32 v[29:30], null, 0xcd9e8d57, v26, 0
	v_mad_u64_u32 v[40:41], null, 0xcd9e8d57, v32, 0
	v_xor3_b32 v24, v44, v22, v31
	s_delay_alu instid0(VALU_DEP_4) | instskip(SKIP_2) | instid1(VALU_DEP_4)
	v_xor3_b32 v32, v46, v36, v21
	v_add_nc_u32_e32 v26, 0xb54cda56, v27
	v_add_nc_u32_e32 v31, 0x646e171e, v28
	v_mad_u64_u32 v[21:22], null, 0xcd9e8d57, v24, 0
	v_xor3_b32 v24, v37, v30, v39
	v_xor3_b32 v33, v45, v41, v29
	v_mad_u64_u32 v[41:42], null, 0xcd9e8d57, v32, 0
	v_add_nc_u32_e32 v37, 0x5384540f, v27
	s_delay_alu instid0(VALU_DEP_4) | instskip(NEXT) | instid1(VALU_DEP_4)
	v_mad_u64_u32 v[29:30], null, 0xd2511f53, v24, 0
	v_mad_u64_u32 v[43:44], null, 0xd2511f53, v33, 0
	v_xor3_b32 v23, v45, v22, v23
	v_xor3_b32 v24, v26, v42, v21
	v_add_nc_u32_e32 v45, 0x1fd5c5a3, v28
	v_add_co_u32 v39, null, 0xf1bbcdc8, v27
	v_xor3_b32 v32, v46, v30, v34
	v_xor3_b32 v34, v31, v44, v29
	v_mad_u64_u32 v[21:22], null, 0xd2511f53, v23, 0
	v_mad_u64_u32 v[29:30], null, 0xd2511f53, v24, 0
	s_delay_alu instid0(VALU_DEP_4) | instskip(NEXT) | instid1(VALU_DEP_4)
	v_mad_u64_u32 v[23:24], null, 0xcd9e8d57, v32, 0
	v_mad_u64_u32 v[32:33], null, 0xcd9e8d57, v34, 0
	s_delay_alu instid0(VALU_DEP_4) | instskip(NEXT) | instid1(VALU_DEP_4)
	v_xor3_b32 v31, v31, v22, v35
	v_xor3_b32 v34, v45, v30, v21
	s_delay_alu instid0(VALU_DEP_4) | instskip(NEXT) | instid1(VALU_DEP_3)
	v_xor3_b32 v26, v26, v24, v40
	v_mad_u64_u32 v[21:22], null, 0xcd9e8d57, v31, 0
	v_xor3_b32 v33, v37, v33, v23
	s_delay_alu instid0(VALU_DEP_4) | instskip(NEXT) | instid1(VALU_DEP_4)
	v_mad_u64_u32 v[30:31], null, 0xcd9e8d57, v34, 0
	v_mad_u64_u32 v[23:24], null, 0xd2511f53, v26, 0
	s_delay_alu instid0(VALU_DEP_3)
	v_mad_u64_u32 v[35:36], null, 0xd2511f53, v33, 0
	v_add_nc_u32_e32 v40, 0xdb3d7428, v28
	v_xor3_b32 v22, v37, v22, v41
	v_xor3_b32 v26, v39, v31, v21
	v_add_nc_u32_e32 v41, 0x96a522ad, v28
	v_xor3_b32 v24, v45, v24, v43
	v_and_b32_e32 v28, 3, v25
	v_xor3_b32 v31, v40, v36, v23
	v_mad_u64_u32 v[33:34], null, 0xd2511f53, v22, 0
	v_mad_u64_u32 v[21:22], null, 0xd2511f53, v26, 0
	v_mad_u64_u32 v[36:37], null, 0xcd9e8d57, v24, 0
	s_delay_alu instid0(VALU_DEP_4) | instskip(SKIP_1) | instid1(VALU_DEP_4)
	v_mad_u64_u32 v[23:24], null, 0xcd9e8d57, v31, 0
	v_add_nc_u32_e32 v31, 0x8ff34781, v27
                                        ; implicit-def: $vgpr26
	v_xor3_b32 v27, v22, v33, v41
	s_delay_alu instid0(VALU_DEP_2)
	v_xor3_b32 v22, v24, v36, v31
	v_cmpx_lt_i32_e32 1, v28
	s_xor_b32 s0, exec_lo, s0
	s_cbranch_execz .LBB21_75
; %bb.70:                               ;   in Loop: Header=BB21_3 Depth=1
	s_mov_b32 s1, exec_lo
                                        ; implicit-def: $vgpr26
	v_cmpx_lt_i32_e32 2, v28
	s_xor_b32 s1, exec_lo, s1
; %bb.71:                               ;   in Loop: Header=BB21_3 Depth=1
	v_xor3_b32 v24, v39, v37, v32
                                        ; implicit-def: $vgpr27
	s_delay_alu instid0(VALU_DEP_1) | instskip(NEXT) | instid1(VALU_DEP_1)
	v_mul_hi_u32 v24, 0xd2511f53, v24
	v_xor3_b32 v26, v24, v35, v41
; %bb.72:                               ;   in Loop: Header=BB21_3 Depth=1
	s_and_not1_saveexec_b32 s1, s1
; %bb.73:                               ;   in Loop: Header=BB21_3 Depth=1
	v_dual_mov_b32 v26, v23 :: v_dual_mov_b32 v23, v22
	v_dual_mov_b32 v22, v21 :: v_dual_mov_b32 v21, v27
; %bb.74:                               ;   in Loop: Header=BB21_3 Depth=1
	s_or_b32 exec_lo, exec_lo, s1
                                        ; implicit-def: $vgpr29_vgpr30
                                        ; implicit-def: $vgpr28
                                        ; implicit-def: $vgpr27
                                        ; implicit-def: $vgpr40
                                        ; implicit-def: $vgpr33_vgpr34
                                        ; implicit-def: $vgpr30_vgpr31
                                        ; implicit-def: $vgpr31
.LBB21_75:                              ;   in Loop: Header=BB21_3 Depth=1
	s_and_not1_saveexec_b32 s0, s0
	s_cbranch_execz .LBB21_79
; %bb.76:                               ;   in Loop: Header=BB21_3 Depth=1
	v_xor3_b32 v23, v40, v34, v29
	v_cmp_eq_u32_e32 vcc_lo, 1, v28
	v_mov_b32_e32 v26, v21
	s_delay_alu instid0(VALU_DEP_3) | instskip(SKIP_1) | instid1(VALU_DEP_2)
	v_mad_u64_u32 v[24:25], null, 0xcd9e8d57, v23, 0
	v_mov_b32_e32 v23, v27
	v_xor3_b32 v28, v25, v30, v31
	s_delay_alu instid0(VALU_DEP_3)
	v_mov_b32_e32 v25, v24
	s_and_saveexec_b32 s1, vcc_lo
; %bb.77:                               ;   in Loop: Header=BB21_3 Depth=1
	v_dual_mov_b32 v26, v22 :: v_dual_mov_b32 v23, v21
	v_dual_mov_b32 v25, v27 :: v_dual_mov_b32 v28, v24
; %bb.78:                               ;   in Loop: Header=BB21_3 Depth=1
	s_or_b32 exec_lo, exec_lo, s1
	s_delay_alu instid0(VALU_DEP_1)
	v_dual_mov_b32 v21, v28 :: v_dual_mov_b32 v22, v25
.LBB21_79:                              ;   in Loop: Header=BB21_3 Depth=1
	s_or_b32 exec_lo, exec_lo, s0
	v_min_i32_e32 v24, 4, v38
	s_mov_b32 s1, 0
	s_mov_b32 s43, 0
	;; [unrolled: 1-line block ×3, first 2 shown]
                                        ; implicit-def: $sgpr25
                                        ; implicit-def: $sgpr26
                                        ; implicit-def: $sgpr27
	s_mov_b32 s0, exec_lo
	v_cmpx_lt_i32_e32 2, v24
	s_xor_b32 s42, exec_lo, s0
	s_cbranch_execz .LBB21_91
; %bb.80:                               ;   in Loop: Header=BB21_3 Depth=1
	s_mov_b32 s0, -1
	s_mov_b32 s44, 0
	s_mov_b32 s26, exec_lo
                                        ; implicit-def: $sgpr24
                                        ; implicit-def: $sgpr25
	v_cmpx_lt_i32_e32 3, v24
	s_cbranch_execz .LBB21_86
; %bb.81:                               ;   in Loop: Header=BB21_3 Depth=1
	s_mov_b32 s0, 0
	s_mov_b32 s44, -1
	s_mov_b32 s27, exec_lo
                                        ; implicit-def: $sgpr24
                                        ; implicit-def: $sgpr25
	v_cmpx_eq_u32_e32 4, v24
	s_cbranch_execz .LBB21_85
; %bb.82:                               ;   in Loop: Header=BB21_3 Depth=1
	v_cmp_le_f32_e32 vcc_lo, 0, v3
	v_cmp_ge_f32_e64 s0, 1.0, v3
	s_mov_b32 s24, 0
	s_delay_alu instid0(VALU_DEP_1)
	s_and_b32 s44, vcc_lo, s0
	s_mov_b32 s0, 0
	s_and_saveexec_b32 s25, s44
	s_cbranch_execz .LBB21_84
; %bb.83:                               ;   in Loop: Header=BB21_3 Depth=1
	v_cvt_f32_u32_e32 v25, v26
	v_add_co_u32 v19, vcc_lo, s16, v19
	v_add_co_ci_u32_e32 v20, vcc_lo, s17, v20, vcc_lo
	s_delay_alu instid0(VALU_DEP_3) | instskip(SKIP_1) | instid1(VALU_DEP_1)
	v_fmaak_f32 v25, 0x2f800000, v25, 0x2f800000
	s_mov_b32 s0, exec_lo
	v_cmp_le_f32_e32 vcc_lo, v25, v3
	v_cndmask_b32_e64 v3, 0, 1, vcc_lo
	global_store_b8 v[19:20], v3, off
.LBB21_84:                              ;   in Loop: Header=BB21_3 Depth=1
	s_or_b32 exec_lo, exec_lo, s25
	s_mov_b32 s25, -1
	s_xor_b32 s44, exec_lo, -1
	s_and_b32 s0, s0, exec_lo
.LBB21_85:                              ;   in Loop: Header=BB21_3 Depth=1
	s_or_b32 exec_lo, exec_lo, s27
	s_delay_alu instid0(SALU_CYCLE_1)
	s_and_b32 s44, s44, exec_lo
	s_or_not1_b32 s0, s0, exec_lo
.LBB21_86:                              ;   in Loop: Header=BB21_3 Depth=1
	s_or_b32 exec_lo, exec_lo, s26
	s_mov_b32 s27, s24
	s_and_saveexec_b32 s26, s0
	s_cbranch_execz .LBB21_90
; %bb.87:                               ;   in Loop: Header=BB21_3 Depth=1
	v_lshlrev_b64 v[17:18], 2, v[17:18]
	s_delay_alu instid0(VALU_DEP_1) | instskip(NEXT) | instid1(VALU_DEP_2)
	v_add_co_u32 v17, vcc_lo, s12, v17
	v_add_co_ci_u32_e32 v18, vcc_lo, s13, v18, vcc_lo
	global_load_b32 v3, v[17:18], off
	s_waitcnt vmcnt(0)
	v_cmp_le_f32_e32 vcc_lo, 0, v3
	v_cmp_ge_f32_e64 s0, 1.0, v3
	s_delay_alu instid0(VALU_DEP_1) | instskip(SKIP_2) | instid1(SALU_CYCLE_1)
	s_and_b32 s27, vcc_lo, s0
	s_mov_b32 s0, 0
	s_and_saveexec_b32 s43, s27
	s_xor_b32 s27, exec_lo, s43
	s_cbranch_execz .LBB21_89
; %bb.88:                               ;   in Loop: Header=BB21_3 Depth=1
	v_cvt_f32_u32_e32 v17, v23
	v_add_co_u32 v15, vcc_lo, s16, v15
	v_add_co_ci_u32_e32 v16, vcc_lo, s17, v16, vcc_lo
	s_delay_alu instid0(VALU_DEP_3) | instskip(SKIP_1) | instid1(VALU_DEP_1)
	v_fmaak_f32 v17, 0x2f800000, v17, 0x2f800000
	s_mov_b32 s0, exec_lo
	v_cmp_le_f32_e32 vcc_lo, v17, v3
	v_cndmask_b32_e64 v3, 0, 1, vcc_lo
	global_store_b8 v[15:16], v3, off
.LBB21_89:                              ;   in Loop: Header=BB21_3 Depth=1
	s_or_b32 exec_lo, exec_lo, s27
	s_delay_alu instid0(SALU_CYCLE_1)
	s_and_not1_b32 s27, s24, exec_lo
	s_or_b32 s24, s24, exec_lo
	s_and_not1_b32 s25, s25, exec_lo
	s_and_b32 s43, s0, exec_lo
.LBB21_90:                              ;   in Loop: Header=BB21_3 Depth=1
	s_or_b32 exec_lo, exec_lo, s26
	s_delay_alu instid0(SALU_CYCLE_1)
	s_and_b32 s27, s27, exec_lo
	s_and_b32 s26, s24, exec_lo
	s_and_b32 s25, s25, exec_lo
	s_and_b32 s24, s44, exec_lo
	s_and_b32 s43, s43, exec_lo
.LBB21_91:                              ;   in Loop: Header=BB21_3 Depth=1
	s_and_not1_saveexec_b32 s0, s42
; %bb.92:                               ;   in Loop: Header=BB21_3 Depth=1
	v_cmp_lt_i32_e32 vcc_lo, 1, v24
	s_and_not1_b32 s42, s43, exec_lo
	s_mov_b32 s1, exec_lo
	s_and_not1_b32 s27, s27, exec_lo
	s_and_not1_b32 s26, s26, exec_lo
	s_and_b32 s43, vcc_lo, exec_lo
	s_and_not1_b32 s25, s25, exec_lo
	s_or_b32 s43, s42, s43
; %bb.93:                               ;   in Loop: Header=BB21_3 Depth=1
	s_or_b32 exec_lo, exec_lo, s0
	s_mov_b32 s0, 0
	s_mov_b32 s42, s27
	s_and_saveexec_b32 s44, s43
	s_cbranch_execnz .LBB21_101
; %bb.94:                               ;   in Loop: Header=BB21_3 Depth=1
	s_or_b32 exec_lo, exec_lo, s44
	s_and_saveexec_b32 s43, s1
	s_cbranch_execnz .LBB21_104
.LBB21_95:                              ;   in Loop: Header=BB21_3 Depth=1
	s_or_b32 exec_lo, exec_lo, s43
	s_and_saveexec_b32 s1, s0
	s_cbranch_execnz .LBB21_105
	s_branch .LBB21_108
.LBB21_96:                              ;   in Loop: Header=BB21_97 Depth=2
	s_or_b32 exec_lo, exec_lo, s0
	s_load_b64 s[44:45], s[24:25], 0xc8
	s_delay_alu instid0(VALU_DEP_1)
	v_mul_lo_u32 v3, v26, s26
	v_mul_lo_u32 v29, v25, s27
	v_mad_u64_u32 v[27:28], null, v25, s26, 0
	s_add_i32 s42, s42, -1
	s_add_u32 s24, s24, -8
	s_addc_u32 s25, s25, -1
	s_cmp_gt_u32 s42, 2
	s_delay_alu instid0(VALU_DEP_1) | instskip(NEXT) | instid1(VALU_DEP_2)
	v_add3_u32 v3, v28, v29, v3
	v_sub_co_u32 v27, vcc_lo, v21, v27
	s_delay_alu instid0(VALU_DEP_2) | instskip(SKIP_1) | instid1(VALU_DEP_2)
	v_sub_co_ci_u32_e32 v3, vcc_lo, v22, v3, vcc_lo
	s_waitcnt lgkmcnt(0)
	v_mul_lo_u32 v28, s45, v27
	s_delay_alu instid0(VALU_DEP_2) | instskip(SKIP_1) | instid1(VALU_DEP_1)
	v_mul_lo_u32 v3, s44, v3
	v_mad_u64_u32 v[21:22], null, s44, v27, v[23:24]
	v_add3_u32 v24, v28, v22, v3
	s_delay_alu instid0(VALU_DEP_2)
	v_mov_b32_e32 v23, v21
	v_dual_mov_b32 v21, v25 :: v_dual_mov_b32 v22, v26
	s_cbranch_scc0 .LBB21_66
.LBB21_97:                              ;   Parent Loop BB21_3 Depth=1
                                        ; =>  This Inner Loop Header: Depth=2
	s_load_b64 s[26:27], s[24:25], 0x0
                                        ; implicit-def: $vgpr25_vgpr26
	s_mov_b32 s0, exec_lo
	s_waitcnt lgkmcnt(0)
	v_or_b32_e32 v3, s27, v22
	s_delay_alu instid0(VALU_DEP_1)
	v_cmpx_ne_u64_e32 0, v[2:3]
	s_xor_b32 s43, exec_lo, s0
	s_cbranch_execz .LBB21_99
; %bb.98:                               ;   in Loop: Header=BB21_97 Depth=2
	v_cvt_f32_u32_e32 v3, s26
	v_cvt_f32_u32_e32 v25, s27
	s_sub_u32 s0, 0, s26
	s_subb_u32 s44, 0, s27
	s_delay_alu instid0(VALU_DEP_1) | instskip(NEXT) | instid1(VALU_DEP_1)
	v_fmac_f32_e32 v3, 0x4f800000, v25
	v_rcp_f32_e32 v3, v3
	s_waitcnt_depctr 0xfff
	v_mul_f32_e32 v3, 0x5f7ffffc, v3
	s_delay_alu instid0(VALU_DEP_1) | instskip(NEXT) | instid1(VALU_DEP_1)
	v_mul_f32_e32 v25, 0x2f800000, v3
	v_trunc_f32_e32 v25, v25
	s_delay_alu instid0(VALU_DEP_1) | instskip(SKIP_1) | instid1(VALU_DEP_2)
	v_fmac_f32_e32 v3, 0xcf800000, v25
	v_cvt_u32_f32_e32 v25, v25
	v_cvt_u32_f32_e32 v3, v3
	s_delay_alu instid0(VALU_DEP_2) | instskip(NEXT) | instid1(VALU_DEP_2)
	v_mul_lo_u32 v26, s0, v25
	v_mul_hi_u32 v27, s0, v3
	v_mul_lo_u32 v28, s44, v3
	s_delay_alu instid0(VALU_DEP_2) | instskip(SKIP_1) | instid1(VALU_DEP_2)
	v_add_nc_u32_e32 v26, v27, v26
	v_mul_lo_u32 v27, s0, v3
	v_add_nc_u32_e32 v26, v26, v28
	s_delay_alu instid0(VALU_DEP_2) | instskip(NEXT) | instid1(VALU_DEP_2)
	v_mul_hi_u32 v28, v3, v27
	v_mul_lo_u32 v29, v3, v26
	v_mul_hi_u32 v30, v3, v26
	v_mul_hi_u32 v31, v25, v27
	v_mul_lo_u32 v27, v25, v27
	v_mul_hi_u32 v32, v25, v26
	v_mul_lo_u32 v26, v25, v26
	v_add_co_u32 v28, vcc_lo, v28, v29
	v_add_co_ci_u32_e32 v29, vcc_lo, 0, v30, vcc_lo
	s_delay_alu instid0(VALU_DEP_2) | instskip(NEXT) | instid1(VALU_DEP_2)
	v_add_co_u32 v27, vcc_lo, v28, v27
	v_add_co_ci_u32_e32 v27, vcc_lo, v29, v31, vcc_lo
	v_add_co_ci_u32_e32 v28, vcc_lo, 0, v32, vcc_lo
	s_delay_alu instid0(VALU_DEP_2) | instskip(NEXT) | instid1(VALU_DEP_2)
	v_add_co_u32 v26, vcc_lo, v27, v26
	v_add_co_ci_u32_e32 v27, vcc_lo, 0, v28, vcc_lo
	s_delay_alu instid0(VALU_DEP_2) | instskip(NEXT) | instid1(VALU_DEP_2)
	v_add_co_u32 v3, vcc_lo, v3, v26
	v_add_co_ci_u32_e32 v25, vcc_lo, v25, v27, vcc_lo
	s_delay_alu instid0(VALU_DEP_2) | instskip(SKIP_1) | instid1(VALU_DEP_3)
	v_mul_hi_u32 v26, s0, v3
	v_mul_lo_u32 v28, s44, v3
	v_mul_lo_u32 v27, s0, v25
	s_delay_alu instid0(VALU_DEP_1) | instskip(SKIP_1) | instid1(VALU_DEP_2)
	v_add_nc_u32_e32 v26, v26, v27
	v_mul_lo_u32 v27, s0, v3
	v_add_nc_u32_e32 v26, v26, v28
	s_delay_alu instid0(VALU_DEP_2) | instskip(NEXT) | instid1(VALU_DEP_2)
	v_mul_hi_u32 v28, v3, v27
	v_mul_lo_u32 v29, v3, v26
	v_mul_hi_u32 v30, v3, v26
	v_mul_hi_u32 v31, v25, v27
	v_mul_lo_u32 v27, v25, v27
	v_mul_hi_u32 v32, v25, v26
	v_mul_lo_u32 v26, v25, v26
	v_add_co_u32 v28, vcc_lo, v28, v29
	v_add_co_ci_u32_e32 v29, vcc_lo, 0, v30, vcc_lo
	s_delay_alu instid0(VALU_DEP_2) | instskip(NEXT) | instid1(VALU_DEP_2)
	v_add_co_u32 v27, vcc_lo, v28, v27
	v_add_co_ci_u32_e32 v27, vcc_lo, v29, v31, vcc_lo
	v_add_co_ci_u32_e32 v28, vcc_lo, 0, v32, vcc_lo
	s_delay_alu instid0(VALU_DEP_2) | instskip(NEXT) | instid1(VALU_DEP_2)
	v_add_co_u32 v26, vcc_lo, v27, v26
	v_add_co_ci_u32_e32 v27, vcc_lo, 0, v28, vcc_lo
	s_delay_alu instid0(VALU_DEP_2) | instskip(NEXT) | instid1(VALU_DEP_2)
	v_add_co_u32 v3, vcc_lo, v3, v26
	v_add_co_ci_u32_e32 v31, vcc_lo, v25, v27, vcc_lo
	s_delay_alu instid0(VALU_DEP_2) | instskip(SKIP_1) | instid1(VALU_DEP_3)
	v_mul_hi_u32 v32, v21, v3
	v_mad_u64_u32 v[27:28], null, v22, v3, 0
	v_mad_u64_u32 v[25:26], null, v21, v31, 0
	v_mad_u64_u32 v[29:30], null, v22, v31, 0
	s_delay_alu instid0(VALU_DEP_2) | instskip(NEXT) | instid1(VALU_DEP_3)
	v_add_co_u32 v3, vcc_lo, v32, v25
	v_add_co_ci_u32_e32 v25, vcc_lo, 0, v26, vcc_lo
	s_delay_alu instid0(VALU_DEP_2) | instskip(NEXT) | instid1(VALU_DEP_2)
	v_add_co_u32 v3, vcc_lo, v3, v27
	v_add_co_ci_u32_e32 v3, vcc_lo, v25, v28, vcc_lo
	v_add_co_ci_u32_e32 v25, vcc_lo, 0, v30, vcc_lo
	s_delay_alu instid0(VALU_DEP_2) | instskip(NEXT) | instid1(VALU_DEP_2)
	v_add_co_u32 v3, vcc_lo, v3, v29
	v_add_co_ci_u32_e32 v27, vcc_lo, 0, v25, vcc_lo
	s_delay_alu instid0(VALU_DEP_2) | instskip(SKIP_1) | instid1(VALU_DEP_3)
	v_mul_lo_u32 v28, s27, v3
	v_mad_u64_u32 v[25:26], null, s26, v3, 0
	v_mul_lo_u32 v29, s26, v27
	s_delay_alu instid0(VALU_DEP_2) | instskip(NEXT) | instid1(VALU_DEP_2)
	v_sub_co_u32 v25, vcc_lo, v21, v25
	v_add3_u32 v26, v26, v29, v28
	s_delay_alu instid0(VALU_DEP_1) | instskip(NEXT) | instid1(VALU_DEP_1)
	v_sub_nc_u32_e32 v28, v22, v26
	v_subrev_co_ci_u32_e64 v28, s0, s27, v28, vcc_lo
	v_add_co_u32 v29, s0, v3, 2
	s_delay_alu instid0(VALU_DEP_1) | instskip(SKIP_3) | instid1(VALU_DEP_3)
	v_add_co_ci_u32_e64 v30, s0, 0, v27, s0
	v_sub_co_u32 v31, s0, v25, s26
	v_sub_co_ci_u32_e32 v26, vcc_lo, v22, v26, vcc_lo
	v_subrev_co_ci_u32_e64 v28, s0, 0, v28, s0
	v_cmp_le_u32_e32 vcc_lo, s26, v31
	s_delay_alu instid0(VALU_DEP_3) | instskip(SKIP_1) | instid1(VALU_DEP_4)
	v_cmp_eq_u32_e64 s0, s27, v26
	v_cndmask_b32_e64 v31, 0, -1, vcc_lo
	v_cmp_le_u32_e32 vcc_lo, s27, v28
	v_cndmask_b32_e64 v32, 0, -1, vcc_lo
	v_cmp_le_u32_e32 vcc_lo, s26, v25
	v_cndmask_b32_e64 v25, 0, -1, vcc_lo
	v_cmp_le_u32_e32 vcc_lo, s27, v26
	v_cndmask_b32_e64 v33, 0, -1, vcc_lo
	v_cmp_eq_u32_e32 vcc_lo, s27, v28
	s_delay_alu instid0(VALU_DEP_2) | instskip(SKIP_3) | instid1(VALU_DEP_3)
	v_cndmask_b32_e64 v25, v33, v25, s0
	v_cndmask_b32_e32 v28, v32, v31, vcc_lo
	v_add_co_u32 v31, vcc_lo, v3, 1
	v_add_co_ci_u32_e32 v32, vcc_lo, 0, v27, vcc_lo
	v_cmp_ne_u32_e32 vcc_lo, 0, v28
	s_delay_alu instid0(VALU_DEP_3) | instskip(NEXT) | instid1(VALU_DEP_3)
	v_cndmask_b32_e32 v28, v31, v29, vcc_lo
	v_cndmask_b32_e32 v26, v32, v30, vcc_lo
	v_cmp_ne_u32_e32 vcc_lo, 0, v25
	s_delay_alu instid0(VALU_DEP_3) | instskip(NEXT) | instid1(VALU_DEP_3)
	v_cndmask_b32_e32 v25, v3, v28, vcc_lo
	v_cndmask_b32_e32 v26, v27, v26, vcc_lo
.LBB21_99:                              ;   in Loop: Header=BB21_97 Depth=2
	s_and_not1_saveexec_b32 s0, s43
	s_cbranch_execz .LBB21_96
; %bb.100:                              ;   in Loop: Header=BB21_97 Depth=2
	v_cvt_f32_u32_e32 v3, s26
	s_sub_i32 s43, 0, s26
	s_delay_alu instid0(VALU_DEP_1) | instskip(SKIP_2) | instid1(VALU_DEP_1)
	v_rcp_iflag_f32_e32 v3, v3
	s_waitcnt_depctr 0xfff
	v_mul_f32_e32 v3, 0x4f7ffffe, v3
	v_cvt_u32_f32_e32 v3, v3
	s_delay_alu instid0(VALU_DEP_1) | instskip(NEXT) | instid1(VALU_DEP_1)
	v_mul_lo_u32 v25, s43, v3
	v_mul_hi_u32 v25, v3, v25
	s_delay_alu instid0(VALU_DEP_1) | instskip(NEXT) | instid1(VALU_DEP_1)
	v_add_nc_u32_e32 v3, v3, v25
	v_mul_hi_u32 v3, v21, v3
	s_delay_alu instid0(VALU_DEP_1) | instskip(SKIP_1) | instid1(VALU_DEP_2)
	v_mul_lo_u32 v25, v3, s26
	v_add_nc_u32_e32 v26, 1, v3
	v_sub_nc_u32_e32 v25, v21, v25
	s_delay_alu instid0(VALU_DEP_1) | instskip(SKIP_1) | instid1(VALU_DEP_2)
	v_subrev_nc_u32_e32 v27, s26, v25
	v_cmp_le_u32_e32 vcc_lo, s26, v25
	v_cndmask_b32_e32 v25, v25, v27, vcc_lo
	v_cndmask_b32_e32 v3, v3, v26, vcc_lo
	s_delay_alu instid0(VALU_DEP_2) | instskip(NEXT) | instid1(VALU_DEP_2)
	v_cmp_le_u32_e32 vcc_lo, s26, v25
	v_add_nc_u32_e32 v26, 1, v3
	s_delay_alu instid0(VALU_DEP_1)
	v_dual_cndmask_b32 v25, v3, v26 :: v_dual_mov_b32 v26, v2
	s_branch .LBB21_96
.LBB21_101:                             ;   in Loop: Header=BB21_3 Depth=1
	v_lshlrev_b64 v[13:14], 2, v[13:14]
	s_delay_alu instid0(VALU_DEP_1) | instskip(NEXT) | instid1(VALU_DEP_2)
	v_add_co_u32 v13, vcc_lo, s12, v13
	v_add_co_ci_u32_e32 v14, vcc_lo, s13, v14, vcc_lo
	global_load_b32 v3, v[13:14], off
	s_waitcnt vmcnt(0)
	v_cmp_le_f32_e32 vcc_lo, 0, v3
	v_cmp_ge_f32_e64 s0, 1.0, v3
	s_delay_alu instid0(VALU_DEP_1) | instskip(SKIP_2) | instid1(SALU_CYCLE_1)
	s_and_b32 s42, vcc_lo, s0
	s_mov_b32 s0, 0
	s_and_saveexec_b32 s43, s42
	s_xor_b32 s42, exec_lo, s43
	s_cbranch_execz .LBB21_103
; %bb.102:                              ;   in Loop: Header=BB21_3 Depth=1
	v_cvt_f32_u32_e32 v13, v22
	v_add_co_u32 v11, vcc_lo, s16, v11
	v_add_co_ci_u32_e32 v12, vcc_lo, s17, v12, vcc_lo
	s_delay_alu instid0(VALU_DEP_3) | instskip(SKIP_1) | instid1(VALU_DEP_1)
	v_fmaak_f32 v13, 0x2f800000, v13, 0x2f800000
	s_mov_b32 s0, exec_lo
	v_cmp_le_f32_e32 vcc_lo, v13, v3
	v_cndmask_b32_e64 v3, 0, 1, vcc_lo
	global_store_b8 v[11:12], v3, off
.LBB21_103:                             ;   in Loop: Header=BB21_3 Depth=1
	s_or_b32 exec_lo, exec_lo, s42
	s_delay_alu instid0(SALU_CYCLE_1)
	s_and_not1_b32 s42, s27, exec_lo
	s_or_b32 s27, s27, exec_lo
	s_and_not1_b32 s26, s26, exec_lo
	s_and_not1_b32 s25, s25, exec_lo
	s_and_b32 s0, s0, exec_lo
	s_and_not1_b32 s1, s1, exec_lo
	s_or_b32 exec_lo, exec_lo, s44
	s_and_saveexec_b32 s43, s1
	s_cbranch_execz .LBB21_95
.LBB21_104:                             ;   in Loop: Header=BB21_3 Depth=1
	v_cmp_eq_u32_e32 vcc_lo, 1, v24
	s_and_not1_b32 s0, s0, exec_lo
	s_and_not1_b32 s42, s42, exec_lo
	;; [unrolled: 1-line block ×4, first 2 shown]
	s_and_b32 s1, vcc_lo, exec_lo
	s_and_not1_b32 s25, s25, exec_lo
	s_or_b32 s24, s24, exec_lo
	s_or_b32 s0, s0, s1
	s_or_b32 exec_lo, exec_lo, s43
	s_and_saveexec_b32 s1, s0
	s_cbranch_execz .LBB21_108
.LBB21_105:                             ;   in Loop: Header=BB21_3 Depth=1
	v_lshlrev_b64 v[9:10], 2, v[9:10]
	s_delay_alu instid0(VALU_DEP_1) | instskip(NEXT) | instid1(VALU_DEP_2)
	v_add_co_u32 v9, vcc_lo, s12, v9
	v_add_co_ci_u32_e32 v10, vcc_lo, s13, v10, vcc_lo
	global_load_b32 v3, v[9:10], off
	s_waitcnt vmcnt(0)
	v_cmp_le_f32_e32 vcc_lo, 0, v3
	v_cmp_ge_f32_e64 s0, 1.0, v3
	s_delay_alu instid0(VALU_DEP_1)
	s_and_b32 s44, vcc_lo, s0
	s_mov_b32 s0, 0
	s_and_saveexec_b32 s43, s44
	s_cbranch_execz .LBB21_107
; %bb.106:                              ;   in Loop: Header=BB21_3 Depth=1
	v_cvt_f32_u32_e32 v9, v21
	v_add_co_u32 v7, vcc_lo, s16, v7
	v_add_co_ci_u32_e32 v8, vcc_lo, s17, v8, vcc_lo
	s_delay_alu instid0(VALU_DEP_3) | instskip(SKIP_1) | instid1(VALU_DEP_1)
	v_fmaak_f32 v9, 0x2f800000, v9, 0x2f800000
	s_mov_b32 s0, exec_lo
	v_cmp_le_f32_e32 vcc_lo, v9, v3
	v_cndmask_b32_e64 v3, 0, 1, vcc_lo
	global_store_b8 v[7:8], v3, off
.LBB21_107:                             ;   in Loop: Header=BB21_3 Depth=1
	s_or_b32 exec_lo, exec_lo, s43
	s_delay_alu instid0(SALU_CYCLE_1)
	s_and_not1_b32 s24, s24, exec_lo
	s_and_b32 s0, s0, exec_lo
	s_or_b32 s42, s42, exec_lo
	s_and_not1_b32 s27, s27, exec_lo
	s_and_not1_b32 s26, s26, exec_lo
	;; [unrolled: 1-line block ×3, first 2 shown]
	s_or_b32 s24, s24, s0
.LBB21_108:                             ;   in Loop: Header=BB21_3 Depth=1
	s_or_b32 exec_lo, exec_lo, s1
	s_delay_alu instid0(SALU_CYCLE_1)
	s_and_not1_b32 s1, s41, exec_lo
	s_and_b32 s41, s42, exec_lo
	s_and_not1_b32 s39, s39, exec_lo
	s_and_b32 s27, s27, exec_lo
	s_or_b32 s41, s1, s41
	s_or_b32 s39, s39, s27
	s_and_not1_b32 s1, s40, exec_lo
	s_and_b32 s26, s26, exec_lo
	s_and_not1_b32 s27, s38, exec_lo
	s_and_b32 s25, s25, exec_lo
	s_mov_b32 s0, -1
	s_or_b32 s40, s1, s26
	s_or_b32 s38, s27, s25
	s_and_saveexec_b32 s1, s24
	s_cbranch_execz .LBB21_2
; %bb.109:                              ;   in Loop: Header=BB21_3 Depth=1
	v_add_co_u32 v4, vcc_lo, v4, s31
	v_add_co_ci_u32_e32 v5, vcc_lo, 0, v5, vcc_lo
	s_and_not1_b32 s41, s41, exec_lo
	s_and_not1_b32 s39, s39, exec_lo
	;; [unrolled: 1-line block ×3, first 2 shown]
	s_delay_alu instid0(VALU_DEP_1)
	v_cmp_le_u64_e32 vcc_lo, s[4:5], v[4:5]
	s_and_not1_b32 s38, s38, exec_lo
	s_or_not1_b32 s0, vcc_lo, exec_lo
	s_branch .LBB21_2
.LBB21_110:
	s_or_b32 exec_lo, exec_lo, s19
	s_xor_b32 s3, s36, -1
	s_xor_b32 s4, s37, -1
	;; [unrolled: 1-line block ×3, first 2 shown]
	s_mov_b32 s1, 0
	s_and_saveexec_b32 s2, s0
	s_delay_alu instid0(SALU_CYCLE_1)
	s_xor_b32 s0, exec_lo, s2
	s_cbranch_execz .LBB21_119
; %bb.111:
	s_mov_b32 s2, 0
	s_and_saveexec_b32 s1, s4
	s_delay_alu instid0(SALU_CYCLE_1)
	s_xor_b32 s1, exec_lo, s1
	s_cbranch_execz .LBB21_117
; %bb.112:
	s_and_saveexec_b32 s4, s3
	s_delay_alu instid0(SALU_CYCLE_1)
	s_xor_b32 s3, exec_lo, s4
	s_cbranch_execz .LBB21_115
; %bb.113:
	s_and_saveexec_b32 s4, s18
	s_delay_alu instid0(SALU_CYCLE_1)
	s_xor_b32 s4, exec_lo, s4
	s_cbranch_execnz .LBB21_133
.LBB21_114:
	s_or_b32 exec_lo, exec_lo, s4
	s_delay_alu instid0(SALU_CYCLE_1)
	s_and_b32 s2, s2, exec_lo
.LBB21_115:
	s_and_not1_saveexec_b32 s3, s3
	s_cbranch_execnz .LBB21_129
.LBB21_116:
	s_or_b32 exec_lo, exec_lo, s3
	s_delay_alu instid0(SALU_CYCLE_1)
	s_and_b32 s2, s2, exec_lo
.LBB21_117:
	s_and_not1_saveexec_b32 s1, s1
	s_cbranch_execnz .LBB21_125
.LBB21_118:
	s_or_b32 exec_lo, exec_lo, s1
	s_delay_alu instid0(SALU_CYCLE_1)
	s_and_b32 s1, s2, exec_lo
.LBB21_119:
	s_and_not1_saveexec_b32 s0, s0
	s_cbranch_execnz .LBB21_123
; %bb.120:
	s_or_b32 exec_lo, exec_lo, s0
	s_delay_alu instid0(SALU_CYCLE_1)
	s_and_b32 exec_lo, exec_lo, s1
.LBB21_121:
	; divergent unreachable
.LBB21_122:
	s_nop 0
	s_sendmsg sendmsg(MSG_DEALLOC_VGPRS)
	s_endpgm
.LBB21_123:
	s_cbranch_execnz .LBB21_127
; %bb.124:
	s_or_b32 s1, s1, exec_lo
	s_or_b32 exec_lo, exec_lo, s0
	s_delay_alu instid0(SALU_CYCLE_1)
	s_and_b32 exec_lo, exec_lo, s1
	s_cbranch_execnz .LBB21_121
	s_branch .LBB21_122
.LBB21_125:
	s_cbranch_execnz .LBB21_131
; %bb.126:
	s_or_b32 s2, s2, exec_lo
	s_branch .LBB21_118
.LBB21_127:
	s_trap 2
	s_sendmsg_rtn_b32 s0, sendmsg(MSG_RTN_GET_DOORBELL)
	s_mov_b32 ttmp2, m0
	s_waitcnt lgkmcnt(0)
	s_and_b32 s0, s0, 0x3ff
	s_delay_alu instid0(SALU_CYCLE_1) | instskip(NEXT) | instid1(SALU_CYCLE_1)
	s_bitset1_b32 s0, 10
	s_mov_b32 m0, s0
	s_sendmsg sendmsg(MSG_INTERRUPT)
	s_mov_b32 m0, ttmp2
.LBB21_128:                             ; =>This Inner Loop Header: Depth=1
	s_sethalt 5
	s_branch .LBB21_128
.LBB21_129:
	s_cbranch_execnz .LBB21_135
; %bb.130:
	s_or_b32 s2, s2, exec_lo
	s_branch .LBB21_116
.LBB21_131:
	s_trap 2
	s_sendmsg_rtn_b32 s0, sendmsg(MSG_RTN_GET_DOORBELL)
	s_mov_b32 ttmp2, m0
	s_waitcnt lgkmcnt(0)
	s_and_b32 s0, s0, 0x3ff
	s_delay_alu instid0(SALU_CYCLE_1) | instskip(NEXT) | instid1(SALU_CYCLE_1)
	s_bitset1_b32 s0, 10
	s_mov_b32 m0, s0
	s_sendmsg sendmsg(MSG_INTERRUPT)
	s_mov_b32 m0, ttmp2
.LBB21_132:                             ; =>This Inner Loop Header: Depth=1
	s_sethalt 5
	s_branch .LBB21_132
.LBB21_133:
	s_cbranch_execnz .LBB21_137
; %bb.134:
	s_mov_b32 s2, exec_lo
	s_branch .LBB21_114
.LBB21_135:
	s_trap 2
	s_sendmsg_rtn_b32 s0, sendmsg(MSG_RTN_GET_DOORBELL)
	s_mov_b32 ttmp2, m0
	s_waitcnt lgkmcnt(0)
	s_and_b32 s0, s0, 0x3ff
	s_delay_alu instid0(SALU_CYCLE_1) | instskip(NEXT) | instid1(SALU_CYCLE_1)
	s_bitset1_b32 s0, 10
	s_mov_b32 m0, s0
	s_sendmsg sendmsg(MSG_INTERRUPT)
	s_mov_b32 m0, ttmp2
.LBB21_136:                             ; =>This Inner Loop Header: Depth=1
	s_sethalt 5
	s_branch .LBB21_136
.LBB21_137:
	s_trap 2
	s_sendmsg_rtn_b32 s0, sendmsg(MSG_RTN_GET_DOORBELL)
	s_mov_b32 ttmp2, m0
	s_waitcnt lgkmcnt(0)
	s_and_b32 s0, s0, 0x3ff
	s_delay_alu instid0(SALU_CYCLE_1) | instskip(NEXT) | instid1(SALU_CYCLE_1)
	s_bitset1_b32 s0, 10
	s_mov_b32 m0, s0
	s_sendmsg sendmsg(MSG_INTERRUPT)
	s_mov_b32 m0, ttmp2
.LBB21_138:                             ; =>This Inner Loop Header: Depth=1
	s_sethalt 5
	s_branch .LBB21_138
	.section	.rodata,"a",@progbits
	.p2align	6, 0x0
	.amdhsa_kernel _ZN2at4cuda12_GLOBAL__N_121kernelPointwiseApply2IZNS_6native9templates4cuda28bernoulli_tensor_cuda_kernelIhfEEvRKNS_10TensorBaseES9_NS_15PhiloxCudaStateEEUliRhSB_SB_SB_RKfSD_SD_SD_E_hSC_mLin1ELin1ELi4ELi512ELi2EEEvNS0_6detail10TensorInfoIT0_T2_EENSG_IT1_SI_EESI_T_
		.amdhsa_group_segment_fixed_size 0
		.amdhsa_private_segment_fixed_size 0
		.amdhsa_kernarg_size 1128
		.amdhsa_user_sgpr_count 15
		.amdhsa_user_sgpr_dispatch_ptr 0
		.amdhsa_user_sgpr_queue_ptr 0
		.amdhsa_user_sgpr_kernarg_segment_ptr 1
		.amdhsa_user_sgpr_dispatch_id 0
		.amdhsa_user_sgpr_private_segment_size 0
		.amdhsa_wavefront_size32 1
		.amdhsa_uses_dynamic_stack 0
		.amdhsa_enable_private_segment 0
		.amdhsa_system_sgpr_workgroup_id_x 1
		.amdhsa_system_sgpr_workgroup_id_y 0
		.amdhsa_system_sgpr_workgroup_id_z 0
		.amdhsa_system_sgpr_workgroup_info 0
		.amdhsa_system_vgpr_workitem_id 0
		.amdhsa_next_free_vgpr 47
		.amdhsa_next_free_sgpr 46
		.amdhsa_reserve_vcc 1
		.amdhsa_float_round_mode_32 0
		.amdhsa_float_round_mode_16_64 0
		.amdhsa_float_denorm_mode_32 3
		.amdhsa_float_denorm_mode_16_64 3
		.amdhsa_dx10_clamp 1
		.amdhsa_ieee_mode 1
		.amdhsa_fp16_overflow 0
		.amdhsa_workgroup_processor_mode 1
		.amdhsa_memory_ordered 1
		.amdhsa_forward_progress 0
		.amdhsa_shared_vgpr_count 0
		.amdhsa_exception_fp_ieee_invalid_op 0
		.amdhsa_exception_fp_denorm_src 0
		.amdhsa_exception_fp_ieee_div_zero 0
		.amdhsa_exception_fp_ieee_overflow 0
		.amdhsa_exception_fp_ieee_underflow 0
		.amdhsa_exception_fp_ieee_inexact 0
		.amdhsa_exception_int_div_zero 0
	.end_amdhsa_kernel
	.section	.text._ZN2at4cuda12_GLOBAL__N_121kernelPointwiseApply2IZNS_6native9templates4cuda28bernoulli_tensor_cuda_kernelIhfEEvRKNS_10TensorBaseES9_NS_15PhiloxCudaStateEEUliRhSB_SB_SB_RKfSD_SD_SD_E_hSC_mLin1ELin1ELi4ELi512ELi2EEEvNS0_6detail10TensorInfoIT0_T2_EENSG_IT1_SI_EESI_T_,"axG",@progbits,_ZN2at4cuda12_GLOBAL__N_121kernelPointwiseApply2IZNS_6native9templates4cuda28bernoulli_tensor_cuda_kernelIhfEEvRKNS_10TensorBaseES9_NS_15PhiloxCudaStateEEUliRhSB_SB_SB_RKfSD_SD_SD_E_hSC_mLin1ELin1ELi4ELi512ELi2EEEvNS0_6detail10TensorInfoIT0_T2_EENSG_IT1_SI_EESI_T_,comdat
.Lfunc_end21:
	.size	_ZN2at4cuda12_GLOBAL__N_121kernelPointwiseApply2IZNS_6native9templates4cuda28bernoulli_tensor_cuda_kernelIhfEEvRKNS_10TensorBaseES9_NS_15PhiloxCudaStateEEUliRhSB_SB_SB_RKfSD_SD_SD_E_hSC_mLin1ELin1ELi4ELi512ELi2EEEvNS0_6detail10TensorInfoIT0_T2_EENSG_IT1_SI_EESI_T_, .Lfunc_end21-_ZN2at4cuda12_GLOBAL__N_121kernelPointwiseApply2IZNS_6native9templates4cuda28bernoulli_tensor_cuda_kernelIhfEEvRKNS_10TensorBaseES9_NS_15PhiloxCudaStateEEUliRhSB_SB_SB_RKfSD_SD_SD_E_hSC_mLin1ELin1ELi4ELi512ELi2EEEvNS0_6detail10TensorInfoIT0_T2_EENSG_IT1_SI_EESI_T_
                                        ; -- End function
	.section	.AMDGPU.csdata,"",@progbits
; Kernel info:
; codeLenInByte = 12400
; NumSgprs: 48
; NumVgprs: 47
; ScratchSize: 0
; MemoryBound: 0
; FloatMode: 240
; IeeeMode: 1
; LDSByteSize: 0 bytes/workgroup (compile time only)
; SGPRBlocks: 5
; VGPRBlocks: 5
; NumSGPRsForWavesPerEU: 48
; NumVGPRsForWavesPerEU: 47
; Occupancy: 16
; WaveLimiterHint : 1
; COMPUTE_PGM_RSRC2:SCRATCH_EN: 0
; COMPUTE_PGM_RSRC2:USER_SGPR: 15
; COMPUTE_PGM_RSRC2:TRAP_HANDLER: 0
; COMPUTE_PGM_RSRC2:TGID_X_EN: 1
; COMPUTE_PGM_RSRC2:TGID_Y_EN: 0
; COMPUTE_PGM_RSRC2:TGID_Z_EN: 0
; COMPUTE_PGM_RSRC2:TIDIG_COMP_CNT: 0
	.section	.text._ZN2at4cuda12_GLOBAL__N_121kernelPointwiseApply2IZNS_6native9templates4cuda28bernoulli_tensor_cuda_kernelIafEEvRKNS_10TensorBaseES9_NS_15PhiloxCudaStateEEUliRaSB_SB_SB_RKfSD_SD_SD_E_aSC_jLi1ELi1ELi4ELi512ELi2EEEvNS0_6detail10TensorInfoIT0_T2_EENSG_IT1_SI_EESI_T_,"axG",@progbits,_ZN2at4cuda12_GLOBAL__N_121kernelPointwiseApply2IZNS_6native9templates4cuda28bernoulli_tensor_cuda_kernelIafEEvRKNS_10TensorBaseES9_NS_15PhiloxCudaStateEEUliRaSB_SB_SB_RKfSD_SD_SD_E_aSC_jLi1ELi1ELi4ELi512ELi2EEEvNS0_6detail10TensorInfoIT0_T2_EENSG_IT1_SI_EESI_T_,comdat
	.globl	_ZN2at4cuda12_GLOBAL__N_121kernelPointwiseApply2IZNS_6native9templates4cuda28bernoulli_tensor_cuda_kernelIafEEvRKNS_10TensorBaseES9_NS_15PhiloxCudaStateEEUliRaSB_SB_SB_RKfSD_SD_SD_E_aSC_jLi1ELi1ELi4ELi512ELi2EEEvNS0_6detail10TensorInfoIT0_T2_EENSG_IT1_SI_EESI_T_ ; -- Begin function _ZN2at4cuda12_GLOBAL__N_121kernelPointwiseApply2IZNS_6native9templates4cuda28bernoulli_tensor_cuda_kernelIafEEvRKNS_10TensorBaseES9_NS_15PhiloxCudaStateEEUliRaSB_SB_SB_RKfSD_SD_SD_E_aSC_jLi1ELi1ELi4ELi512ELi2EEEvNS0_6detail10TensorInfoIT0_T2_EENSG_IT1_SI_EESI_T_
	.p2align	8
	.type	_ZN2at4cuda12_GLOBAL__N_121kernelPointwiseApply2IZNS_6native9templates4cuda28bernoulli_tensor_cuda_kernelIafEEvRKNS_10TensorBaseES9_NS_15PhiloxCudaStateEEUliRaSB_SB_SB_RKfSD_SD_SD_E_aSC_jLi1ELi1ELi4ELi512ELi2EEEvNS0_6detail10TensorInfoIT0_T2_EENSG_IT1_SI_EESI_T_,@function
_ZN2at4cuda12_GLOBAL__N_121kernelPointwiseApply2IZNS_6native9templates4cuda28bernoulli_tensor_cuda_kernelIafEEvRKNS_10TensorBaseES9_NS_15PhiloxCudaStateEEUliRaSB_SB_SB_RKfSD_SD_SD_E_aSC_jLi1ELi1ELi4ELi512ELi2EEEvNS0_6detail10TensorInfoIT0_T2_EENSG_IT1_SI_EESI_T_: ; @_ZN2at4cuda12_GLOBAL__N_121kernelPointwiseApply2IZNS_6native9templates4cuda28bernoulli_tensor_cuda_kernelIafEEvRKNS_10TensorBaseES9_NS_15PhiloxCudaStateEEUliRaSB_SB_SB_RKfSD_SD_SD_E_aSC_jLi1ELi1ELi4ELi512ELi2EEEvNS0_6detail10TensorInfoIT0_T2_EENSG_IT1_SI_EESI_T_
; %bb.0:
	s_clause 0x1
	s_load_b32 s4, s[0:1], 0x1e4
	s_load_b32 s12, s[0:1], 0x1b0
	s_add_u32 s2, s0, 0x1d8
	s_addc_u32 s3, s1, 0
	s_waitcnt lgkmcnt(0)
	s_and_b32 s14, s4, 0xffff
	s_mov_b32 s4, exec_lo
	v_mad_u64_u32 v[1:2], null, s15, s14, v[0:1]
	s_delay_alu instid0(VALU_DEP_1) | instskip(NEXT) | instid1(VALU_DEP_1)
	v_lshlrev_b32_e32 v0, 2, v1
	v_cmpx_gt_u32_e64 s12, v0
	s_cbranch_execz .LBB22_51
; %bb.1:
	s_load_b32 s15, s[2:3], 0x0
	s_clause 0x4
	s_load_b32 s17, s[0:1], 0x1d0
	s_load_b32 s16, s[0:1], 0x6c
	;; [unrolled: 1-line block ×3, first 2 shown]
	s_load_b64 s[2:3], s[0:1], 0x0
	s_load_b64 s[8:9], s[0:1], 0xd8
	v_mad_u64_u32 v[2:3], null, 0xcd9e8d57, v1, 0
	s_clause 0x1
	s_load_b64 s[10:11], s[0:1], 0x1c8
	s_load_b128 s[4:7], s[0:1], 0x1b8
	v_dual_mov_b32 v4, 0 :: v_dual_add_nc_u32 v9, 3, v0
	v_add_nc_u32_e32 v8, 2, v0
	v_sub_nc_u32_e32 v24, s12, v0
	s_mov_b32 s13, 0
	v_mov_b32_e32 v25, v3
	s_mov_b32 s21, 0
                                        ; implicit-def: $sgpr20
                                        ; implicit-def: $sgpr23
                                        ; implicit-def: $sgpr22
                                        ; implicit-def: $sgpr24
                                        ; implicit-def: $sgpr26
                                        ; implicit-def: $sgpr25
                                        ; implicit-def: $sgpr27
	s_waitcnt lgkmcnt(0)
	s_mul_i32 s0, s15, s14
	s_bitcmp1_b32 s17, 0
	v_mul_lo_u32 v3, s16, v1
	v_mul_lo_u32 v10, s18, v1
	v_mad_u64_u32 v[5:6], null, s16, v0, s[16:17]
	v_mul_lo_u32 v26, s16, v8
	v_mul_lo_u32 v27, s16, v9
	v_mad_u64_u32 v[6:7], null, s18, v0, s[18:19]
	v_mul_lo_u32 v29, s18, v8
	v_mul_lo_u32 v30, s18, v9
	v_lshlrev_b32_e32 v28, 2, v3
	v_lshlrev_b32_e32 v31, 2, v10
	s_mul_i32 s1, s0, s16
	s_cselect_b32 s15, -1, 0
	s_lshl_b32 s16, s0, 2
	s_mul_i32 s0, s0, s18
	s_lshl_b32 s17, s1, 2
	s_lshl_b32 s18, s0, 2
	s_mov_b32 s19, 0
                                        ; implicit-def: $sgpr14
	s_branch .LBB22_3
.LBB22_2:                               ;   in Loop: Header=BB22_3 Depth=1
	s_or_b32 exec_lo, exec_lo, s1
	s_delay_alu instid0(SALU_CYCLE_1) | instskip(NEXT) | instid1(SALU_CYCLE_1)
	s_and_b32 s0, exec_lo, s0
	s_or_b32 s13, s0, s13
	s_and_not1_b32 s0, s14, exec_lo
	s_and_b32 s1, s27, exec_lo
	s_and_not1_b32 s22, s22, exec_lo
	s_and_b32 s28, s25, exec_lo
	s_or_b32 s14, s0, s1
	s_or_b32 s22, s22, s28
	s_and_not1_b32 s0, s23, exec_lo
	s_and_b32 s1, s26, exec_lo
	s_and_not1_b32 s20, s20, exec_lo
	s_and_b32 s28, s24, exec_lo
	s_or_b32 s23, s0, s1
	s_or_b32 s20, s20, s28
	s_and_not1_b32 exec_lo, exec_lo, s13
	s_cbranch_execz .LBB22_39
.LBB22_3:                               ; =>This Inner Loop Header: Depth=1
	v_dual_mov_b32 v12, s7 :: v_dual_add_nc_u32 v3, s19, v30
	v_cmp_lt_i32_e64 s0, 3, v24
	v_dual_mov_b32 v11, s6 :: v_dual_mov_b32 v14, s5
	v_mov_b32_e32 v13, s4
	s_delay_alu instid0(VALU_DEP_3) | instskip(NEXT) | instid1(VALU_DEP_1)
	v_cndmask_b32_e64 v3, 0, v3, s0
	v_lshlrev_b64 v[7:8], 2, v[3:4]
	s_delay_alu instid0(VALU_DEP_1) | instskip(NEXT) | instid1(VALU_DEP_2)
	v_add_co_u32 v7, vcc_lo, s8, v7
	v_add_co_ci_u32_e32 v8, vcc_lo, s9, v8, vcc_lo
	s_and_not1_b32 vcc_lo, exec_lo, s15
	global_load_b32 v3, v[7:8], off
	s_cbranch_vccnz .LBB22_5
; %bb.4:                                ;   in Loop: Header=BB22_3 Depth=1
	v_dual_mov_b32 v8, s7 :: v_dual_mov_b32 v7, s6
	v_dual_mov_b32 v10, s5 :: v_dual_mov_b32 v9, s4
	flat_load_b64 v[7:8], v[7:8]
	flat_load_b64 v[13:14], v[9:10]
	s_waitcnt vmcnt(1) lgkmcnt(1)
	v_add_co_u32 v11, vcc_lo, v7, s10
	v_add_co_ci_u32_e32 v12, vcc_lo, s11, v8, vcc_lo
.LBB22_5:                               ;   in Loop: Header=BB22_3 Depth=1
	s_delay_alu instid0(VALU_DEP_1)
	v_alignbit_b32 v10, v12, v11, 2
	v_lshrrev_b32_e32 v9, 2, v12
	s_waitcnt vmcnt(0) lgkmcnt(0)
	v_add_nc_u32_e32 v33, 0xbb67ae85, v14
	v_add_nc_u32_e32 v34, 0x76cf5d0a, v14
	;; [unrolled: 1-line block ×3, first 2 shown]
	v_add_co_u32 v12, vcc_lo, v10, 1
	s_delay_alu instid0(VALU_DEP_1) | instskip(SKIP_4) | instid1(VALU_DEP_4)
	v_cndmask_b32_e64 v7, 0, 1, vcc_lo
	v_add_co_ci_u32_e32 v21, vcc_lo, 0, v9, vcc_lo
	v_xor3_b32 v17, v25, v13, v9
	v_add_nc_u32_e32 v36, 0x32370b8f, v14
	v_add_nc_u32_e32 v37, 0xed9eba14, v14
	v_cmp_eq_u32_e32 vcc_lo, 0, v21
	v_add_nc_u32_e32 v38, 0x1715609d, v13
	v_add_nc_u32_e32 v39, 0xa9066899, v14
	s_mov_b32 s1, exec_lo
	v_dual_cndmask_b32 v15, 0, v7 :: v_dual_add_nc_u32 v32, 0x9e3779b9, v13
	v_mad_u64_u32 v[7:8], null, 0xd2511f53, v12, 0
	s_delay_alu instid0(VALU_DEP_2) | instskip(NEXT) | instid1(VALU_DEP_2)
	v_add_nc_u32_e32 v12, v15, v1
	v_xor_b32_e32 v16, v8, v14
	s_delay_alu instid0(VALU_DEP_2) | instskip(SKIP_2) | instid1(VALU_DEP_1)
	v_cmp_eq_u32_e32 vcc_lo, 0, v12
	v_mad_u64_u32 v[8:9], null, 0xd2511f53, v10, 0
	v_cndmask_b32_e32 v15, 0, v15, vcc_lo
	v_xor_b32_e32 v10, v15, v16
	v_mad_u64_u32 v[15:16], null, 0xd2511f53, v17, 0
	v_mad_u64_u32 v[17:18], null, 0xcd9e8d57, v12, 0
	s_delay_alu instid0(VALU_DEP_3) | instskip(SKIP_3) | instid1(VALU_DEP_3)
	v_mad_u64_u32 v[19:20], null, 0xcd9e8d57, v10, 0
	v_xor_b32_e32 v10, v9, v14
	v_add_nc_u32_e32 v12, 0x3c6ef372, v13
	v_xor3_b32 v22, v33, v16, v8
	v_mad_u64_u32 v[8:9], null, 0xcd9e8d57, v10, 0
	v_xor3_b32 v10, v18, v13, v21
	v_xor3_b32 v18, v32, v20, v17
	s_delay_alu instid0(VALU_DEP_4) | instskip(NEXT) | instid1(VALU_DEP_3)
	v_mad_u64_u32 v[16:17], null, 0xcd9e8d57, v22, 0
	v_mad_u64_u32 v[20:21], null, 0xd2511f53, v10, 0
	s_delay_alu instid0(VALU_DEP_3) | instskip(SKIP_1) | instid1(VALU_DEP_4)
	v_mad_u64_u32 v[22:23], null, 0xd2511f53, v18, 0
	v_xor3_b32 v10, v2, v9, v32
	v_xor3_b32 v32, v12, v17, v8
	s_delay_alu instid0(VALU_DEP_4) | instskip(NEXT) | instid1(VALU_DEP_3)
	v_xor3_b32 v7, v33, v21, v7
	v_mad_u64_u32 v[8:9], null, 0xd2511f53, v10, 0
	v_xor3_b32 v10, v34, v23, v20
	s_delay_alu instid0(VALU_DEP_4) | instskip(NEXT) | instid1(VALU_DEP_4)
	v_mad_u64_u32 v[17:18], null, 0xd2511f53, v32, 0
	v_mad_u64_u32 v[20:21], null, 0xcd9e8d57, v7, 0
	s_delay_alu instid0(VALU_DEP_3) | instskip(SKIP_4) | instid1(VALU_DEP_4)
	v_mad_u64_u32 v[32:33], null, 0xcd9e8d57, v10, 0
	v_xor3_b32 v9, v34, v9, v15
	v_add_nc_u32_e32 v23, 0x78dde6e4, v13
	v_xor3_b32 v15, v36, v18, v8
	v_xor3_b32 v12, v12, v21, v19
	v_mad_u64_u32 v[7:8], null, 0xcd9e8d57, v9, 0
	v_xor3_b32 v33, v35, v33, v20
	s_delay_alu instid0(VALU_DEP_4) | instskip(NEXT) | instid1(VALU_DEP_4)
	v_mad_u64_u32 v[9:10], null, 0xcd9e8d57, v15, 0
	v_mad_u64_u32 v[18:19], null, 0xd2511f53, v12, 0
	s_delay_alu instid0(VALU_DEP_3) | instskip(SKIP_1) | instid1(VALU_DEP_4)
	v_mad_u64_u32 v[20:21], null, 0xd2511f53, v33, 0
	v_xor3_b32 v12, v35, v8, v16
	v_xor3_b32 v10, v23, v10, v7
	s_delay_alu instid0(VALU_DEP_2) | instskip(SKIP_2) | instid1(VALU_DEP_4)
	v_mad_u64_u32 v[7:8], null, 0xd2511f53, v12, 0
	v_xor3_b32 v12, v36, v19, v22
	v_xor3_b32 v18, v37, v21, v18
	v_mad_u64_u32 v[21:22], null, 0xd2511f53, v10, 0
	s_delay_alu instid0(VALU_DEP_3) | instskip(NEXT) | instid1(VALU_DEP_3)
	v_mad_u64_u32 v[15:16], null, 0xcd9e8d57, v12, 0
	v_mad_u64_u32 v[33:34], null, 0xcd9e8d57, v18, 0
	v_xor3_b32 v10, v37, v8, v17
	s_delay_alu instid0(VALU_DEP_4) | instskip(SKIP_2) | instid1(VALU_DEP_4)
	v_xor3_b32 v18, v39, v22, v7
	v_add_nc_u32_e32 v12, 0xb54cda56, v13
	v_add_nc_u32_e32 v17, 0x646e171e, v14
	v_mad_u64_u32 v[7:8], null, 0xcd9e8d57, v10, 0
	v_xor3_b32 v10, v23, v16, v32
	v_xor3_b32 v19, v38, v34, v15
	v_mad_u64_u32 v[34:35], null, 0xcd9e8d57, v18, 0
	v_add_nc_u32_e32 v23, 0x5384540f, v13
	s_delay_alu instid0(VALU_DEP_4) | instskip(NEXT) | instid1(VALU_DEP_4)
	v_mad_u64_u32 v[15:16], null, 0xd2511f53, v10, 0
	v_mad_u64_u32 v[36:37], null, 0xd2511f53, v19, 0
	v_xor3_b32 v9, v38, v8, v9
	v_xor3_b32 v10, v12, v35, v7
	v_add_nc_u32_e32 v38, 0x1fd5c5a3, v14
	v_add_co_u32 v32, null, 0xf1bbcdc8, v13
	v_xor3_b32 v18, v39, v16, v20
	v_xor3_b32 v20, v17, v37, v15
	v_mad_u64_u32 v[7:8], null, 0xd2511f53, v9, 0
	v_mad_u64_u32 v[15:16], null, 0xd2511f53, v10, 0
	s_delay_alu instid0(VALU_DEP_4) | instskip(NEXT) | instid1(VALU_DEP_4)
	v_mad_u64_u32 v[9:10], null, 0xcd9e8d57, v18, 0
	v_mad_u64_u32 v[18:19], null, 0xcd9e8d57, v20, 0
	s_delay_alu instid0(VALU_DEP_4) | instskip(NEXT) | instid1(VALU_DEP_4)
	v_xor3_b32 v17, v17, v8, v21
	v_xor3_b32 v20, v38, v16, v7
	s_delay_alu instid0(VALU_DEP_4) | instskip(NEXT) | instid1(VALU_DEP_3)
	v_xor3_b32 v12, v12, v10, v33
	v_mad_u64_u32 v[7:8], null, 0xcd9e8d57, v17, 0
	v_xor3_b32 v19, v23, v19, v9
	s_delay_alu instid0(VALU_DEP_4) | instskip(NEXT) | instid1(VALU_DEP_4)
	v_mad_u64_u32 v[16:17], null, 0xcd9e8d57, v20, 0
	v_mad_u64_u32 v[9:10], null, 0xd2511f53, v12, 0
	s_delay_alu instid0(VALU_DEP_3)
	v_mad_u64_u32 v[21:22], null, 0xd2511f53, v19, 0
	v_add_nc_u32_e32 v33, 0xdb3d7428, v14
	v_xor3_b32 v8, v23, v8, v34
	v_xor3_b32 v12, v32, v17, v7
	v_add_nc_u32_e32 v34, 0x96a522ad, v14
	v_xor3_b32 v10, v38, v10, v36
	v_and_b32_e32 v14, 3, v11
	v_xor3_b32 v17, v33, v22, v9
	v_mad_u64_u32 v[19:20], null, 0xd2511f53, v8, 0
	v_mad_u64_u32 v[7:8], null, 0xd2511f53, v12, 0
	;; [unrolled: 1-line block ×3, first 2 shown]
	s_delay_alu instid0(VALU_DEP_4) | instskip(SKIP_1) | instid1(VALU_DEP_4)
	v_mad_u64_u32 v[9:10], null, 0xcd9e8d57, v17, 0
	v_add_nc_u32_e32 v17, 0x8ff34781, v13
                                        ; implicit-def: $vgpr12
	v_xor3_b32 v13, v8, v19, v34
	s_delay_alu instid0(VALU_DEP_2)
	v_xor3_b32 v8, v10, v22, v17
	v_cmpx_lt_i32_e32 1, v14
	s_xor_b32 s1, exec_lo, s1
	s_cbranch_execz .LBB22_11
; %bb.6:                                ;   in Loop: Header=BB22_3 Depth=1
	s_mov_b32 s28, exec_lo
                                        ; implicit-def: $vgpr12
	v_cmpx_lt_i32_e32 2, v14
	s_xor_b32 s28, exec_lo, s28
; %bb.7:                                ;   in Loop: Header=BB22_3 Depth=1
	v_xor3_b32 v10, v32, v23, v18
                                        ; implicit-def: $vgpr13
	s_delay_alu instid0(VALU_DEP_1) | instskip(NEXT) | instid1(VALU_DEP_1)
	v_mul_hi_u32 v10, 0xd2511f53, v10
	v_xor3_b32 v12, v10, v21, v34
; %bb.8:                                ;   in Loop: Header=BB22_3 Depth=1
	s_and_not1_saveexec_b32 s28, s28
; %bb.9:                                ;   in Loop: Header=BB22_3 Depth=1
	v_dual_mov_b32 v12, v9 :: v_dual_mov_b32 v9, v8
	v_dual_mov_b32 v8, v7 :: v_dual_mov_b32 v7, v13
; %bb.10:                               ;   in Loop: Header=BB22_3 Depth=1
	s_or_b32 exec_lo, exec_lo, s28
                                        ; implicit-def: $vgpr15_vgpr16
                                        ; implicit-def: $vgpr14
                                        ; implicit-def: $vgpr13
                                        ; implicit-def: $vgpr33
                                        ; implicit-def: $vgpr19_vgpr20
                                        ; implicit-def: $vgpr16_vgpr17
                                        ; implicit-def: $vgpr17
.LBB22_11:                              ;   in Loop: Header=BB22_3 Depth=1
	s_and_not1_saveexec_b32 s1, s1
	s_cbranch_execz .LBB22_15
; %bb.12:                               ;   in Loop: Header=BB22_3 Depth=1
	v_xor3_b32 v9, v33, v20, v15
	v_cmp_eq_u32_e32 vcc_lo, 1, v14
	v_mov_b32_e32 v12, v7
	s_delay_alu instid0(VALU_DEP_3) | instskip(SKIP_1) | instid1(VALU_DEP_2)
	v_mad_u64_u32 v[10:11], null, 0xcd9e8d57, v9, 0
	v_mov_b32_e32 v9, v13
	v_xor3_b32 v14, v11, v16, v17
	s_delay_alu instid0(VALU_DEP_3)
	v_mov_b32_e32 v11, v10
	s_and_saveexec_b32 s28, vcc_lo
; %bb.13:                               ;   in Loop: Header=BB22_3 Depth=1
	v_dual_mov_b32 v12, v8 :: v_dual_mov_b32 v9, v7
	v_dual_mov_b32 v11, v13 :: v_dual_mov_b32 v14, v10
; %bb.14:                               ;   in Loop: Header=BB22_3 Depth=1
	s_or_b32 exec_lo, exec_lo, s28
	s_delay_alu instid0(VALU_DEP_1)
	v_dual_mov_b32 v7, v14 :: v_dual_mov_b32 v8, v11
.LBB22_15:                              ;   in Loop: Header=BB22_3 Depth=1
	s_or_b32 exec_lo, exec_lo, s1
	v_min_i32_e32 v10, 4, v24
	s_mov_b32 s28, 0
	s_mov_b32 s1, 0
	s_mov_b32 s33, exec_lo
                                        ; implicit-def: $sgpr29
                                        ; implicit-def: $sgpr30
                                        ; implicit-def: $sgpr31
	s_delay_alu instid0(VALU_DEP_1)
	v_cmpx_lt_i32_e32 2, v10
	s_xor_b32 s33, exec_lo, s33
	s_cbranch_execz .LBB22_25
; %bb.16:                               ;   in Loop: Header=BB22_3 Depth=1
	s_mov_b32 s1, -1
	s_mov_b32 s30, exec_lo
                                        ; implicit-def: $sgpr29
                                        ; implicit-def: $sgpr34
	v_cmpx_lt_i32_e32 3, v10
	s_cbranch_execz .LBB22_20
; %bb.17:                               ;   in Loop: Header=BB22_3 Depth=1
	v_cmp_le_f32_e32 vcc_lo, 0, v3
	v_cmp_ge_f32_e64 s1, 1.0, v3
	s_mov_b32 s29, 0
	s_delay_alu instid0(VALU_DEP_1)
	s_and_b32 s34, vcc_lo, s1
	s_mov_b32 s1, 0
	s_and_saveexec_b32 s31, s34
	s_cbranch_execz .LBB22_19
; %bb.18:                               ;   in Loop: Header=BB22_3 Depth=1
	v_cvt_f32_u32_e32 v11, v12
	v_add_nc_u32_e32 v12, s21, v27
	s_mov_b32 s1, exec_lo
	s_delay_alu instid0(VALU_DEP_2) | instskip(NEXT) | instid1(VALU_DEP_2)
	v_fmaak_f32 v11, 0x2f800000, v11, 0x2f800000
	v_cndmask_b32_e64 v12, 0, v12, s0
	s_delay_alu instid0(VALU_DEP_2)
	v_cmp_le_f32_e32 vcc_lo, v11, v3
	v_cndmask_b32_e64 v3, 0, 1, vcc_lo
	global_store_b8 v12, v3, s[2:3]
.LBB22_19:                              ;   in Loop: Header=BB22_3 Depth=1
	s_or_b32 exec_lo, exec_lo, s31
	s_mov_b32 s34, -1
	s_or_not1_b32 s1, s1, exec_lo
.LBB22_20:                              ;   in Loop: Header=BB22_3 Depth=1
	s_or_b32 exec_lo, exec_lo, s30
	s_mov_b32 s0, 0
	s_mov_b32 s35, s29
	s_and_saveexec_b32 s30, s1
	s_cbranch_execz .LBB22_24
; %bb.21:                               ;   in Loop: Header=BB22_3 Depth=1
	v_add_nc_u32_e32 v3, s19, v29
	v_cmp_lt_i32_e32 vcc_lo, 2, v24
	s_mov_b32 s31, 0
	s_delay_alu instid0(VALU_DEP_2) | instskip(NEXT) | instid1(VALU_DEP_1)
	v_cndmask_b32_e32 v3, 0, v3, vcc_lo
	v_lshlrev_b64 v[11:12], 2, v[3:4]
	s_delay_alu instid0(VALU_DEP_1) | instskip(NEXT) | instid1(VALU_DEP_1)
	v_add_co_u32 v11, s0, s8, v11
	v_add_co_ci_u32_e64 v12, s0, s9, v12, s0
	global_load_b32 v3, v[11:12], off
	s_waitcnt vmcnt(0)
	v_cmp_le_f32_e64 s0, 0, v3
	v_cmp_ge_f32_e64 s1, 1.0, v3
	s_delay_alu instid0(VALU_DEP_1) | instskip(NEXT) | instid1(SALU_CYCLE_1)
	s_and_b32 s0, s0, s1
	s_and_saveexec_b32 s1, s0
	s_delay_alu instid0(SALU_CYCLE_1)
	s_xor_b32 s0, exec_lo, s1
	s_cbranch_execz .LBB22_23
; %bb.22:                               ;   in Loop: Header=BB22_3 Depth=1
	v_cvt_f32_u32_e32 v9, v9
	v_add_nc_u32_e32 v11, s21, v26
	s_mov_b32 s31, exec_lo
	s_delay_alu instid0(VALU_DEP_2) | instskip(NEXT) | instid1(VALU_DEP_2)
	v_fmaak_f32 v9, 0x2f800000, v9, 0x2f800000
	v_cndmask_b32_e32 v11, 0, v11, vcc_lo
	s_delay_alu instid0(VALU_DEP_2)
	v_cmp_le_f32_e32 vcc_lo, v9, v3
	v_cndmask_b32_e64 v3, 0, 1, vcc_lo
	global_store_b8 v11, v3, s[2:3]
.LBB22_23:                              ;   in Loop: Header=BB22_3 Depth=1
	s_or_b32 exec_lo, exec_lo, s0
	s_delay_alu instid0(SALU_CYCLE_1)
	s_and_not1_b32 s35, s29, exec_lo
	s_or_b32 s29, s29, exec_lo
	s_and_not1_b32 s34, s34, exec_lo
	s_and_b32 s0, s31, exec_lo
.LBB22_24:                              ;   in Loop: Header=BB22_3 Depth=1
	s_or_b32 exec_lo, exec_lo, s30
	s_delay_alu instid0(SALU_CYCLE_1)
	s_and_b32 s31, s35, exec_lo
	s_and_b32 s30, s29, exec_lo
	;; [unrolled: 1-line block ×4, first 2 shown]
.LBB22_25:                              ;   in Loop: Header=BB22_3 Depth=1
	s_and_not1_saveexec_b32 s0, s33
; %bb.26:                               ;   in Loop: Header=BB22_3 Depth=1
	v_cmp_lt_i32_e32 vcc_lo, 1, v10
	s_and_not1_b32 s1, s1, exec_lo
	s_mov_b32 s28, exec_lo
	s_and_not1_b32 s31, s31, exec_lo
	s_and_not1_b32 s30, s30, exec_lo
	s_and_b32 s33, vcc_lo, exec_lo
	s_and_not1_b32 s29, s29, exec_lo
	s_or_b32 s1, s1, s33
; %bb.27:                               ;   in Loop: Header=BB22_3 Depth=1
	s_or_b32 exec_lo, exec_lo, s0
	s_mov_b32 s33, 0
	s_mov_b32 s0, 0
	;; [unrolled: 1-line block ×3, first 2 shown]
	s_and_saveexec_b32 s35, s1
	s_cbranch_execnz .LBB22_30
; %bb.28:                               ;   in Loop: Header=BB22_3 Depth=1
	s_or_b32 exec_lo, exec_lo, s35
	s_and_saveexec_b32 s1, s28
	s_cbranch_execnz .LBB22_33
.LBB22_29:                              ;   in Loop: Header=BB22_3 Depth=1
	s_or_b32 exec_lo, exec_lo, s1
	s_and_saveexec_b32 s28, s0
	s_cbranch_execnz .LBB22_34
	s_branch .LBB22_37
.LBB22_30:                              ;   in Loop: Header=BB22_3 Depth=1
	v_add_nc_u32_e32 v3, s19, v6
	v_cmp_lt_i32_e32 vcc_lo, 1, v24
	s_mov_b32 s36, 0
	s_delay_alu instid0(VALU_DEP_2) | instskip(NEXT) | instid1(VALU_DEP_1)
	v_cndmask_b32_e32 v3, 0, v3, vcc_lo
	v_lshlrev_b64 v[11:12], 2, v[3:4]
	s_delay_alu instid0(VALU_DEP_1) | instskip(NEXT) | instid1(VALU_DEP_1)
	v_add_co_u32 v11, s0, s8, v11
	v_add_co_ci_u32_e64 v12, s0, s9, v12, s0
	global_load_b32 v3, v[11:12], off
	s_waitcnt vmcnt(0)
	v_cmp_le_f32_e64 s0, 0, v3
	v_cmp_ge_f32_e64 s1, 1.0, v3
	s_delay_alu instid0(VALU_DEP_1) | instskip(NEXT) | instid1(SALU_CYCLE_1)
	s_and_b32 s0, s0, s1
	s_and_saveexec_b32 s1, s0
	s_delay_alu instid0(SALU_CYCLE_1)
	s_xor_b32 s0, exec_lo, s1
	s_cbranch_execz .LBB22_32
; %bb.31:                               ;   in Loop: Header=BB22_3 Depth=1
	v_cvt_f32_u32_e32 v8, v8
	v_add_nc_u32_e32 v9, s21, v5
	s_mov_b32 s36, exec_lo
	s_delay_alu instid0(VALU_DEP_1) | instskip(NEXT) | instid1(VALU_DEP_1)
	v_dual_fmaak_f32 v8, 0x2f800000, v8, 0x2f800000 :: v_dual_cndmask_b32 v9, 0, v9
	v_cmp_le_f32_e32 vcc_lo, v8, v3
	v_cndmask_b32_e64 v3, 0, 1, vcc_lo
	global_store_b8 v9, v3, s[2:3]
.LBB22_32:                              ;   in Loop: Header=BB22_3 Depth=1
	s_or_b32 exec_lo, exec_lo, s0
	s_delay_alu instid0(SALU_CYCLE_1)
	s_and_not1_b32 s34, s31, exec_lo
	s_or_b32 s31, s31, exec_lo
	s_and_not1_b32 s30, s30, exec_lo
	s_and_not1_b32 s29, s29, exec_lo
	s_and_b32 s0, s36, exec_lo
	s_and_not1_b32 s28, s28, exec_lo
	s_or_b32 exec_lo, exec_lo, s35
	s_and_saveexec_b32 s1, s28
	s_cbranch_execz .LBB22_29
.LBB22_33:                              ;   in Loop: Header=BB22_3 Depth=1
	v_cmp_eq_u32_e32 vcc_lo, 1, v10
	s_and_not1_b32 s0, s0, exec_lo
	s_mov_b32 s33, exec_lo
	s_and_not1_b32 s34, s34, exec_lo
	s_and_not1_b32 s31, s31, exec_lo
	s_and_b32 s28, vcc_lo, exec_lo
	s_and_not1_b32 s30, s30, exec_lo
	s_and_not1_b32 s29, s29, exec_lo
	s_or_b32 s0, s0, s28
	s_or_b32 exec_lo, exec_lo, s1
	s_and_saveexec_b32 s28, s0
	s_cbranch_execz .LBB22_37
.LBB22_34:                              ;   in Loop: Header=BB22_3 Depth=1
	v_add_nc_u32_e32 v3, s19, v31
	v_cmp_lt_i32_e32 vcc_lo, 0, v24
	s_mov_b32 s35, 0
	s_delay_alu instid0(VALU_DEP_2) | instskip(NEXT) | instid1(VALU_DEP_1)
	v_cndmask_b32_e32 v3, 0, v3, vcc_lo
	v_lshlrev_b64 v[8:9], 2, v[3:4]
	s_delay_alu instid0(VALU_DEP_1) | instskip(NEXT) | instid1(VALU_DEP_1)
	v_add_co_u32 v8, s0, s8, v8
	v_add_co_ci_u32_e64 v9, s0, s9, v9, s0
	global_load_b32 v3, v[8:9], off
	s_waitcnt vmcnt(0)
	v_cmp_le_f32_e64 s0, 0, v3
	v_cmp_ge_f32_e64 s1, 1.0, v3
	s_delay_alu instid0(VALU_DEP_1) | instskip(NEXT) | instid1(SALU_CYCLE_1)
	s_and_b32 s1, s0, s1
	s_and_saveexec_b32 s0, s1
	s_cbranch_execz .LBB22_36
; %bb.35:                               ;   in Loop: Header=BB22_3 Depth=1
	v_cvt_f32_u32_e32 v7, v7
	v_add_nc_u32_e32 v8, s21, v28
	s_mov_b32 s35, exec_lo
	s_delay_alu instid0(VALU_DEP_1) | instskip(NEXT) | instid1(VALU_DEP_1)
	v_dual_fmaak_f32 v7, 0x2f800000, v7, 0x2f800000 :: v_dual_cndmask_b32 v8, 0, v8
	v_cmp_le_f32_e32 vcc_lo, v7, v3
	v_cndmask_b32_e64 v3, 0, 1, vcc_lo
	global_store_b8 v8, v3, s[2:3]
.LBB22_36:                              ;   in Loop: Header=BB22_3 Depth=1
	s_or_b32 exec_lo, exec_lo, s0
	s_delay_alu instid0(SALU_CYCLE_1)
	s_and_not1_b32 s0, s33, exec_lo
	s_and_b32 s1, s35, exec_lo
	s_or_b32 s34, s34, exec_lo
	s_and_not1_b32 s31, s31, exec_lo
	s_and_not1_b32 s30, s30, exec_lo
	;; [unrolled: 1-line block ×3, first 2 shown]
	s_or_b32 s33, s0, s1
.LBB22_37:                              ;   in Loop: Header=BB22_3 Depth=1
	s_or_b32 exec_lo, exec_lo, s28
	s_delay_alu instid0(SALU_CYCLE_1)
	s_and_not1_b32 s1, s27, exec_lo
	s_and_b32 s27, s34, exec_lo
	s_and_not1_b32 s25, s25, exec_lo
	s_and_b32 s28, s31, exec_lo
	s_or_b32 s27, s1, s27
	s_or_b32 s25, s25, s28
	s_and_not1_b32 s1, s26, exec_lo
	s_and_b32 s26, s30, exec_lo
	s_and_not1_b32 s24, s24, exec_lo
	s_and_b32 s28, s29, exec_lo
	s_mov_b32 s0, -1
	s_or_b32 s26, s1, s26
	s_or_b32 s24, s24, s28
	s_and_saveexec_b32 s1, s33
	s_cbranch_execz .LBB22_2
; %bb.38:                               ;   in Loop: Header=BB22_3 Depth=1
	v_add_nc_u32_e32 v0, s16, v0
	v_subrev_nc_u32_e32 v24, s16, v24
	s_add_i32 s21, s21, s17
	s_add_i32 s19, s19, s18
	s_and_not1_b32 s27, s27, exec_lo
	v_cmp_le_u32_e32 vcc_lo, s12, v0
	s_and_not1_b32 s25, s25, exec_lo
	s_and_not1_b32 s26, s26, exec_lo
	;; [unrolled: 1-line block ×3, first 2 shown]
	s_or_not1_b32 s0, vcc_lo, exec_lo
	s_branch .LBB22_2
.LBB22_39:
	s_or_b32 exec_lo, exec_lo, s13
	s_xor_b32 s3, s22, -1
	s_xor_b32 s4, s23, -1
	s_xor_b32 s0, s20, -1
	s_mov_b32 s1, 0
	s_and_saveexec_b32 s2, s0
	s_delay_alu instid0(SALU_CYCLE_1)
	s_xor_b32 s0, exec_lo, s2
	s_cbranch_execz .LBB22_48
; %bb.40:
	s_mov_b32 s2, 0
	s_and_saveexec_b32 s1, s4
	s_delay_alu instid0(SALU_CYCLE_1)
	s_xor_b32 s1, exec_lo, s1
	s_cbranch_execz .LBB22_46
; %bb.41:
	s_and_saveexec_b32 s4, s3
	s_delay_alu instid0(SALU_CYCLE_1)
	s_xor_b32 s3, exec_lo, s4
	s_cbranch_execz .LBB22_44
; %bb.42:
	s_and_saveexec_b32 s4, s14
	s_delay_alu instid0(SALU_CYCLE_1)
	s_xor_b32 s4, exec_lo, s4
	s_cbranch_execnz .LBB22_62
.LBB22_43:
	s_or_b32 exec_lo, exec_lo, s4
	s_delay_alu instid0(SALU_CYCLE_1)
	s_and_b32 s2, s2, exec_lo
.LBB22_44:
	s_and_not1_saveexec_b32 s3, s3
	s_cbranch_execnz .LBB22_58
.LBB22_45:
	s_or_b32 exec_lo, exec_lo, s3
	s_delay_alu instid0(SALU_CYCLE_1)
	s_and_b32 s2, s2, exec_lo
.LBB22_46:
	s_and_not1_saveexec_b32 s1, s1
	s_cbranch_execnz .LBB22_54
.LBB22_47:
	s_or_b32 exec_lo, exec_lo, s1
	s_delay_alu instid0(SALU_CYCLE_1)
	s_and_b32 s1, s2, exec_lo
.LBB22_48:
	s_and_not1_saveexec_b32 s0, s0
	s_cbranch_execnz .LBB22_52
; %bb.49:
	s_or_b32 exec_lo, exec_lo, s0
	s_delay_alu instid0(SALU_CYCLE_1)
	s_and_b32 exec_lo, exec_lo, s1
.LBB22_50:
	; divergent unreachable
.LBB22_51:
	s_nop 0
	s_sendmsg sendmsg(MSG_DEALLOC_VGPRS)
	s_endpgm
.LBB22_52:
	s_cbranch_execnz .LBB22_56
; %bb.53:
	s_or_b32 s1, s1, exec_lo
	s_or_b32 exec_lo, exec_lo, s0
	s_delay_alu instid0(SALU_CYCLE_1)
	s_and_b32 exec_lo, exec_lo, s1
	s_cbranch_execnz .LBB22_50
	s_branch .LBB22_51
.LBB22_54:
	s_cbranch_execnz .LBB22_60
; %bb.55:
	s_or_b32 s2, s2, exec_lo
	s_branch .LBB22_47
.LBB22_56:
	s_trap 2
	s_sendmsg_rtn_b32 s0, sendmsg(MSG_RTN_GET_DOORBELL)
	s_mov_b32 ttmp2, m0
	s_waitcnt lgkmcnt(0)
	s_and_b32 s0, s0, 0x3ff
	s_delay_alu instid0(SALU_CYCLE_1) | instskip(NEXT) | instid1(SALU_CYCLE_1)
	s_bitset1_b32 s0, 10
	s_mov_b32 m0, s0
	s_sendmsg sendmsg(MSG_INTERRUPT)
	s_mov_b32 m0, ttmp2
.LBB22_57:                              ; =>This Inner Loop Header: Depth=1
	s_sethalt 5
	s_branch .LBB22_57
.LBB22_58:
	s_cbranch_execnz .LBB22_64
; %bb.59:
	s_or_b32 s2, s2, exec_lo
	s_branch .LBB22_45
.LBB22_60:
	s_trap 2
	s_sendmsg_rtn_b32 s0, sendmsg(MSG_RTN_GET_DOORBELL)
	s_mov_b32 ttmp2, m0
	s_waitcnt lgkmcnt(0)
	s_and_b32 s0, s0, 0x3ff
	s_delay_alu instid0(SALU_CYCLE_1) | instskip(NEXT) | instid1(SALU_CYCLE_1)
	s_bitset1_b32 s0, 10
	s_mov_b32 m0, s0
	s_sendmsg sendmsg(MSG_INTERRUPT)
	s_mov_b32 m0, ttmp2
.LBB22_61:                              ; =>This Inner Loop Header: Depth=1
	s_sethalt 5
	s_branch .LBB22_61
.LBB22_62:
	s_cbranch_execnz .LBB22_66
; %bb.63:
	s_mov_b32 s2, exec_lo
	s_branch .LBB22_43
.LBB22_64:
	s_trap 2
	s_sendmsg_rtn_b32 s0, sendmsg(MSG_RTN_GET_DOORBELL)
	s_mov_b32 ttmp2, m0
	s_waitcnt lgkmcnt(0)
	s_and_b32 s0, s0, 0x3ff
	s_delay_alu instid0(SALU_CYCLE_1) | instskip(NEXT) | instid1(SALU_CYCLE_1)
	s_bitset1_b32 s0, 10
	s_mov_b32 m0, s0
	s_sendmsg sendmsg(MSG_INTERRUPT)
	s_mov_b32 m0, ttmp2
.LBB22_65:                              ; =>This Inner Loop Header: Depth=1
	s_sethalt 5
	s_branch .LBB22_65
.LBB22_66:
	s_trap 2
	s_sendmsg_rtn_b32 s0, sendmsg(MSG_RTN_GET_DOORBELL)
	s_mov_b32 ttmp2, m0
	s_waitcnt lgkmcnt(0)
	s_and_b32 s0, s0, 0x3ff
	s_delay_alu instid0(SALU_CYCLE_1) | instskip(NEXT) | instid1(SALU_CYCLE_1)
	s_bitset1_b32 s0, 10
	s_mov_b32 m0, s0
	s_sendmsg sendmsg(MSG_INTERRUPT)
	s_mov_b32 m0, ttmp2
.LBB22_67:                              ; =>This Inner Loop Header: Depth=1
	s_sethalt 5
	s_branch .LBB22_67
	.section	.rodata,"a",@progbits
	.p2align	6, 0x0
	.amdhsa_kernel _ZN2at4cuda12_GLOBAL__N_121kernelPointwiseApply2IZNS_6native9templates4cuda28bernoulli_tensor_cuda_kernelIafEEvRKNS_10TensorBaseES9_NS_15PhiloxCudaStateEEUliRaSB_SB_SB_RKfSD_SD_SD_E_aSC_jLi1ELi1ELi4ELi512ELi2EEEvNS0_6detail10TensorInfoIT0_T2_EENSG_IT1_SI_EESI_T_
		.amdhsa_group_segment_fixed_size 0
		.amdhsa_private_segment_fixed_size 0
		.amdhsa_kernarg_size 728
		.amdhsa_user_sgpr_count 15
		.amdhsa_user_sgpr_dispatch_ptr 0
		.amdhsa_user_sgpr_queue_ptr 0
		.amdhsa_user_sgpr_kernarg_segment_ptr 1
		.amdhsa_user_sgpr_dispatch_id 0
		.amdhsa_user_sgpr_private_segment_size 0
		.amdhsa_wavefront_size32 1
		.amdhsa_uses_dynamic_stack 0
		.amdhsa_enable_private_segment 0
		.amdhsa_system_sgpr_workgroup_id_x 1
		.amdhsa_system_sgpr_workgroup_id_y 0
		.amdhsa_system_sgpr_workgroup_id_z 0
		.amdhsa_system_sgpr_workgroup_info 0
		.amdhsa_system_vgpr_workitem_id 0
		.amdhsa_next_free_vgpr 40
		.amdhsa_next_free_sgpr 37
		.amdhsa_reserve_vcc 1
		.amdhsa_float_round_mode_32 0
		.amdhsa_float_round_mode_16_64 0
		.amdhsa_float_denorm_mode_32 3
		.amdhsa_float_denorm_mode_16_64 3
		.amdhsa_dx10_clamp 1
		.amdhsa_ieee_mode 1
		.amdhsa_fp16_overflow 0
		.amdhsa_workgroup_processor_mode 1
		.amdhsa_memory_ordered 1
		.amdhsa_forward_progress 0
		.amdhsa_shared_vgpr_count 0
		.amdhsa_exception_fp_ieee_invalid_op 0
		.amdhsa_exception_fp_denorm_src 0
		.amdhsa_exception_fp_ieee_div_zero 0
		.amdhsa_exception_fp_ieee_overflow 0
		.amdhsa_exception_fp_ieee_underflow 0
		.amdhsa_exception_fp_ieee_inexact 0
		.amdhsa_exception_int_div_zero 0
	.end_amdhsa_kernel
	.section	.text._ZN2at4cuda12_GLOBAL__N_121kernelPointwiseApply2IZNS_6native9templates4cuda28bernoulli_tensor_cuda_kernelIafEEvRKNS_10TensorBaseES9_NS_15PhiloxCudaStateEEUliRaSB_SB_SB_RKfSD_SD_SD_E_aSC_jLi1ELi1ELi4ELi512ELi2EEEvNS0_6detail10TensorInfoIT0_T2_EENSG_IT1_SI_EESI_T_,"axG",@progbits,_ZN2at4cuda12_GLOBAL__N_121kernelPointwiseApply2IZNS_6native9templates4cuda28bernoulli_tensor_cuda_kernelIafEEvRKNS_10TensorBaseES9_NS_15PhiloxCudaStateEEUliRaSB_SB_SB_RKfSD_SD_SD_E_aSC_jLi1ELi1ELi4ELi512ELi2EEEvNS0_6detail10TensorInfoIT0_T2_EENSG_IT1_SI_EESI_T_,comdat
.Lfunc_end22:
	.size	_ZN2at4cuda12_GLOBAL__N_121kernelPointwiseApply2IZNS_6native9templates4cuda28bernoulli_tensor_cuda_kernelIafEEvRKNS_10TensorBaseES9_NS_15PhiloxCudaStateEEUliRaSB_SB_SB_RKfSD_SD_SD_E_aSC_jLi1ELi1ELi4ELi512ELi2EEEvNS0_6detail10TensorInfoIT0_T2_EENSG_IT1_SI_EESI_T_, .Lfunc_end22-_ZN2at4cuda12_GLOBAL__N_121kernelPointwiseApply2IZNS_6native9templates4cuda28bernoulli_tensor_cuda_kernelIafEEvRKNS_10TensorBaseES9_NS_15PhiloxCudaStateEEUliRaSB_SB_SB_RKfSD_SD_SD_E_aSC_jLi1ELi1ELi4ELi512ELi2EEEvNS0_6detail10TensorInfoIT0_T2_EENSG_IT1_SI_EESI_T_
                                        ; -- End function
	.section	.AMDGPU.csdata,"",@progbits
; Kernel info:
; codeLenInByte = 3148
; NumSgprs: 39
; NumVgprs: 40
; ScratchSize: 0
; MemoryBound: 0
; FloatMode: 240
; IeeeMode: 1
; LDSByteSize: 0 bytes/workgroup (compile time only)
; SGPRBlocks: 4
; VGPRBlocks: 4
; NumSGPRsForWavesPerEU: 39
; NumVGPRsForWavesPerEU: 40
; Occupancy: 16
; WaveLimiterHint : 1
; COMPUTE_PGM_RSRC2:SCRATCH_EN: 0
; COMPUTE_PGM_RSRC2:USER_SGPR: 15
; COMPUTE_PGM_RSRC2:TRAP_HANDLER: 0
; COMPUTE_PGM_RSRC2:TGID_X_EN: 1
; COMPUTE_PGM_RSRC2:TGID_Y_EN: 0
; COMPUTE_PGM_RSRC2:TGID_Z_EN: 0
; COMPUTE_PGM_RSRC2:TIDIG_COMP_CNT: 0
	.section	.text._ZN2at4cuda12_GLOBAL__N_121kernelPointwiseApply2IZNS_6native9templates4cuda28bernoulli_tensor_cuda_kernelIafEEvRKNS_10TensorBaseES9_NS_15PhiloxCudaStateEEUliRaSB_SB_SB_RKfSD_SD_SD_E_aSC_jLi1ELi2ELi4ELi512ELi2EEEvNS0_6detail10TensorInfoIT0_T2_EENSG_IT1_SI_EESI_T_,"axG",@progbits,_ZN2at4cuda12_GLOBAL__N_121kernelPointwiseApply2IZNS_6native9templates4cuda28bernoulli_tensor_cuda_kernelIafEEvRKNS_10TensorBaseES9_NS_15PhiloxCudaStateEEUliRaSB_SB_SB_RKfSD_SD_SD_E_aSC_jLi1ELi2ELi4ELi512ELi2EEEvNS0_6detail10TensorInfoIT0_T2_EENSG_IT1_SI_EESI_T_,comdat
	.globl	_ZN2at4cuda12_GLOBAL__N_121kernelPointwiseApply2IZNS_6native9templates4cuda28bernoulli_tensor_cuda_kernelIafEEvRKNS_10TensorBaseES9_NS_15PhiloxCudaStateEEUliRaSB_SB_SB_RKfSD_SD_SD_E_aSC_jLi1ELi2ELi4ELi512ELi2EEEvNS0_6detail10TensorInfoIT0_T2_EENSG_IT1_SI_EESI_T_ ; -- Begin function _ZN2at4cuda12_GLOBAL__N_121kernelPointwiseApply2IZNS_6native9templates4cuda28bernoulli_tensor_cuda_kernelIafEEvRKNS_10TensorBaseES9_NS_15PhiloxCudaStateEEUliRaSB_SB_SB_RKfSD_SD_SD_E_aSC_jLi1ELi2ELi4ELi512ELi2EEEvNS0_6detail10TensorInfoIT0_T2_EENSG_IT1_SI_EESI_T_
	.p2align	8
	.type	_ZN2at4cuda12_GLOBAL__N_121kernelPointwiseApply2IZNS_6native9templates4cuda28bernoulli_tensor_cuda_kernelIafEEvRKNS_10TensorBaseES9_NS_15PhiloxCudaStateEEUliRaSB_SB_SB_RKfSD_SD_SD_E_aSC_jLi1ELi2ELi4ELi512ELi2EEEvNS0_6detail10TensorInfoIT0_T2_EENSG_IT1_SI_EESI_T_,@function
_ZN2at4cuda12_GLOBAL__N_121kernelPointwiseApply2IZNS_6native9templates4cuda28bernoulli_tensor_cuda_kernelIafEEvRKNS_10TensorBaseES9_NS_15PhiloxCudaStateEEUliRaSB_SB_SB_RKfSD_SD_SD_E_aSC_jLi1ELi2ELi4ELi512ELi2EEEvNS0_6detail10TensorInfoIT0_T2_EENSG_IT1_SI_EESI_T_: ; @_ZN2at4cuda12_GLOBAL__N_121kernelPointwiseApply2IZNS_6native9templates4cuda28bernoulli_tensor_cuda_kernelIafEEvRKNS_10TensorBaseES9_NS_15PhiloxCudaStateEEUliRaSB_SB_SB_RKfSD_SD_SD_E_aSC_jLi1ELi2ELi4ELi512ELi2EEEvNS0_6detail10TensorInfoIT0_T2_EENSG_IT1_SI_EESI_T_
; %bb.0:
	s_clause 0x1
	s_load_b32 s4, s[0:1], 0x1e4
	s_load_b32 s16, s[0:1], 0x1b0
	s_add_u32 s2, s0, 0x1d8
	s_addc_u32 s3, s1, 0
	s_waitcnt lgkmcnt(0)
	s_and_b32 s20, s4, 0xffff
	s_mov_b32 s4, exec_lo
	v_mad_u64_u32 v[1:2], null, s15, s20, v[0:1]
	s_delay_alu instid0(VALU_DEP_1) | instskip(NEXT) | instid1(VALU_DEP_1)
	v_lshlrev_b32_e32 v0, 2, v1
	v_cmpx_gt_u32_e64 s16, v0
	s_cbranch_execz .LBB23_59
; %bb.1:
	s_clause 0x3
	s_load_b32 s17, s[0:1], 0xe4
	s_load_b32 s4, s[0:1], 0x1d0
	;; [unrolled: 1-line block ×3, first 2 shown]
	s_load_b64 s[8:9], s[0:1], 0x0
	s_load_b32 s2, s[2:3], 0x0
	s_clause 0x1
	s_load_b64 s[10:11], s[0:1], 0xd8
	s_load_b64 s[12:13], s[0:1], 0x1c8
	v_add_nc_u32_e32 v8, 3, v0
	v_sub_nc_u32_e32 v31, s16, v0
	s_mov_b32 s22, 0
	s_mov_b32 s25, 0
                                        ; implicit-def: $sgpr24
                                        ; implicit-def: $sgpr27
                                        ; implicit-def: $sgpr26
                                        ; implicit-def: $sgpr28
                                        ; implicit-def: $sgpr30
                                        ; implicit-def: $sgpr29
                                        ; implicit-def: $sgpr31
	v_add_nc_u32_e32 v7, 2, v0
	s_waitcnt lgkmcnt(0)
	v_cvt_f32_u32_e32 v2, s17
	s_bitcmp1_b32 s4, 0
	s_clause 0x1
	s_load_b64 s[14:15], s[0:1], 0x144
	s_load_b128 s[4:7], s[0:1], 0x1b8
	s_cselect_b32 s18, -1, 0
	s_sub_i32 s19, 0, s17
	v_rcp_iflag_f32_e32 v2, v2
	v_mul_lo_u32 v30, v0, s23
	v_mul_lo_u32 v34, s23, v8
	s_mul_i32 s2, s2, s20
	v_mov_b32_e32 v4, 0
	s_lshl_b32 s21, s2, 2
                                        ; implicit-def: $sgpr20
	v_mul_lo_u32 v33, s23, v7
	s_delay_alu instid0(VALU_DEP_4) | instskip(SKIP_3) | instid1(VALU_DEP_1)
	v_add_nc_u32_e32 v35, s23, v30
	s_waitcnt_depctr 0xfff
	v_mul_f32_e32 v2, 0x4f7ffffe, v2
	s_mul_i32 s23, s21, s23
	v_cvt_u32_f32_e32 v5, v2
	v_mad_u64_u32 v[2:3], null, 0xcd9e8d57, v1, 0
	s_delay_alu instid0(VALU_DEP_2) | instskip(NEXT) | instid1(VALU_DEP_2)
	v_mul_lo_u32 v6, s19, v5
	v_mov_b32_e32 v32, v3
	s_delay_alu instid0(VALU_DEP_2) | instskip(NEXT) | instid1(VALU_DEP_1)
	v_mul_hi_u32 v6, v5, v6
	v_add_nc_u32_e32 v36, v5, v6
	s_branch .LBB23_3
.LBB23_2:                               ;   in Loop: Header=BB23_3 Depth=1
	s_or_b32 exec_lo, exec_lo, s1
	s_delay_alu instid0(SALU_CYCLE_1) | instskip(NEXT) | instid1(SALU_CYCLE_1)
	s_and_b32 s0, exec_lo, s0
	s_or_b32 s22, s0, s22
	s_and_not1_b32 s0, s20, exec_lo
	s_and_b32 s1, s31, exec_lo
	s_and_not1_b32 s2, s26, exec_lo
	s_and_b32 s3, s29, exec_lo
	s_or_b32 s20, s0, s1
	s_or_b32 s26, s2, s3
	s_and_not1_b32 s0, s27, exec_lo
	s_and_b32 s1, s30, exec_lo
	s_and_not1_b32 s2, s24, exec_lo
	s_and_b32 s3, s28, exec_lo
	s_or_b32 s27, s0, s1
	s_or_b32 s24, s2, s3
	s_and_not1_b32 exec_lo, exec_lo, s22
	s_cbranch_execz .LBB23_47
.LBB23_3:                               ; =>This Inner Loop Header: Depth=1
	v_mov_b32_e32 v7, 0
	v_mov_b32_e32 v8, 0
	v_cmp_lt_i32_e64 s0, 0, v31
	s_delay_alu instid0(VALU_DEP_2) | instskip(NEXT) | instid1(VALU_DEP_2)
	v_dual_mov_b32 v5, v7 :: v_dual_mov_b32 v6, v8
	s_and_saveexec_b32 s1, s0
	s_cbranch_execz .LBB23_5
; %bb.4:                                ;   in Loop: Header=BB23_3 Depth=1
	v_mul_hi_u32 v3, v36, v0
	s_delay_alu instid0(VALU_DEP_1) | instskip(SKIP_1) | instid1(VALU_DEP_2)
	v_not_b32_e32 v11, v3
	v_mad_u64_u32 v[5:6], null, s19, v3, v[0:1]
	v_mad_u64_u32 v[9:10], null, s17, v11, v[0:1]
	s_delay_alu instid0(VALU_DEP_2) | instskip(NEXT) | instid1(VALU_DEP_2)
	v_cmp_le_u32_e32 vcc_lo, s17, v5
	v_dual_cndmask_b32 v5, v5, v9 :: v_dual_add_nc_u32 v6, 1, v3
	s_delay_alu instid0(VALU_DEP_1) | instskip(NEXT) | instid1(VALU_DEP_2)
	v_cndmask_b32_e32 v3, v3, v6, vcc_lo
	v_cmp_le_u32_e32 vcc_lo, s17, v5
	s_delay_alu instid0(VALU_DEP_2) | instskip(NEXT) | instid1(VALU_DEP_1)
	v_add_nc_u32_e32 v6, 1, v3
	v_cndmask_b32_e32 v9, v3, v6, vcc_lo
	s_delay_alu instid0(VALU_DEP_1) | instskip(SKIP_1) | instid1(VALU_DEP_1)
	v_mad_u64_u32 v[5:6], null, s19, v9, v[0:1]
	s_waitcnt lgkmcnt(0)
	v_mul_lo_u32 v3, v5, s15
	s_delay_alu instid0(VALU_DEP_1)
	v_mad_u64_u32 v[5:6], null, v9, s14, v[3:4]
	v_mov_b32_e32 v6, v4
.LBB23_5:                               ;   in Loop: Header=BB23_3 Depth=1
	s_or_b32 exec_lo, exec_lo, s1
	v_cmp_lt_i32_e64 s1, 1, v31
	s_delay_alu instid0(VALU_DEP_1)
	s_and_saveexec_b32 s2, s1
	s_cbranch_execz .LBB23_7
; %bb.6:                                ;   in Loop: Header=BB23_3 Depth=1
	v_add_nc_u32_e32 v3, 1, v0
	s_delay_alu instid0(VALU_DEP_1) | instskip(NEXT) | instid1(VALU_DEP_1)
	v_mul_hi_u32 v7, v3, v36
	v_mul_lo_u32 v8, v7, s17
	v_add_nc_u32_e32 v9, 1, v7
	s_delay_alu instid0(VALU_DEP_2) | instskip(NEXT) | instid1(VALU_DEP_1)
	v_sub_nc_u32_e32 v8, v3, v8
	v_subrev_nc_u32_e32 v10, s17, v8
	v_cmp_le_u32_e32 vcc_lo, s17, v8
	s_delay_alu instid0(VALU_DEP_2) | instskip(NEXT) | instid1(VALU_DEP_1)
	v_dual_cndmask_b32 v7, v7, v9 :: v_dual_cndmask_b32 v8, v8, v10
	v_add_nc_u32_e32 v9, 1, v7
	s_delay_alu instid0(VALU_DEP_2) | instskip(NEXT) | instid1(VALU_DEP_2)
	v_cmp_le_u32_e32 vcc_lo, s17, v8
	v_cndmask_b32_e32 v9, v7, v9, vcc_lo
	s_delay_alu instid0(VALU_DEP_1) | instskip(NEXT) | instid1(VALU_DEP_1)
	v_mul_lo_u32 v7, v9, s17
	v_sub_nc_u32_e32 v3, v3, v7
	s_waitcnt lgkmcnt(0)
	s_delay_alu instid0(VALU_DEP_1) | instskip(NEXT) | instid1(VALU_DEP_1)
	v_mul_lo_u32 v3, v3, s15
	v_mad_u64_u32 v[7:8], null, v9, s14, v[3:4]
	v_mov_b32_e32 v8, v4
.LBB23_7:                               ;   in Loop: Header=BB23_3 Depth=1
	s_or_b32 exec_lo, exec_lo, s2
	v_mov_b32_e32 v13, 0
	v_mov_b32_e32 v14, 0
	v_cmp_lt_i32_e64 s2, 2, v31
	s_delay_alu instid0(VALU_DEP_2) | instskip(NEXT) | instid1(VALU_DEP_2)
	v_dual_mov_b32 v9, v13 :: v_dual_mov_b32 v10, v14
	s_and_saveexec_b32 s3, s2
	s_cbranch_execz .LBB23_9
; %bb.8:                                ;   in Loop: Header=BB23_3 Depth=1
	v_add_nc_u32_e32 v3, 2, v0
	s_delay_alu instid0(VALU_DEP_1) | instskip(NEXT) | instid1(VALU_DEP_1)
	v_mul_hi_u32 v9, v3, v36
	v_mul_lo_u32 v10, v9, s17
	s_delay_alu instid0(VALU_DEP_1) | instskip(NEXT) | instid1(VALU_DEP_1)
	v_sub_nc_u32_e32 v10, v3, v10
	v_subrev_nc_u32_e32 v12, s17, v10
	v_cmp_le_u32_e32 vcc_lo, s17, v10
	s_delay_alu instid0(VALU_DEP_2) | instskip(NEXT) | instid1(VALU_DEP_1)
	v_dual_cndmask_b32 v10, v10, v12 :: v_dual_add_nc_u32 v11, 1, v9
	v_cndmask_b32_e32 v9, v9, v11, vcc_lo
	s_delay_alu instid0(VALU_DEP_2) | instskip(NEXT) | instid1(VALU_DEP_2)
	v_cmp_le_u32_e32 vcc_lo, s17, v10
	v_add_nc_u32_e32 v11, 1, v9
	s_delay_alu instid0(VALU_DEP_1) | instskip(NEXT) | instid1(VALU_DEP_1)
	v_cndmask_b32_e32 v11, v9, v11, vcc_lo
	v_mul_lo_u32 v9, v11, s17
	s_delay_alu instid0(VALU_DEP_1) | instskip(SKIP_1) | instid1(VALU_DEP_1)
	v_sub_nc_u32_e32 v3, v3, v9
	s_waitcnt lgkmcnt(0)
	v_mul_lo_u32 v3, v3, s15
	s_delay_alu instid0(VALU_DEP_1)
	v_mad_u64_u32 v[9:10], null, v11, s14, v[3:4]
	v_mov_b32_e32 v10, v4
.LBB23_9:                               ;   in Loop: Header=BB23_3 Depth=1
	s_or_b32 exec_lo, exec_lo, s3
	v_dual_mov_b32 v11, v13 :: v_dual_mov_b32 v12, v14
	s_mov_b32 s3, exec_lo
	v_cmpx_lt_i32_e32 3, v31
	s_cbranch_execz .LBB23_11
; %bb.10:                               ;   in Loop: Header=BB23_3 Depth=1
	v_add_nc_u32_e32 v3, 3, v0
	s_delay_alu instid0(VALU_DEP_1) | instskip(NEXT) | instid1(VALU_DEP_1)
	v_mul_hi_u32 v11, v3, v36
	v_mul_lo_u32 v12, v11, s17
	v_add_nc_u32_e32 v13, 1, v11
	s_delay_alu instid0(VALU_DEP_2) | instskip(NEXT) | instid1(VALU_DEP_1)
	v_sub_nc_u32_e32 v12, v3, v12
	v_subrev_nc_u32_e32 v14, s17, v12
	v_cmp_le_u32_e32 vcc_lo, s17, v12
	s_delay_alu instid0(VALU_DEP_2) | instskip(NEXT) | instid1(VALU_DEP_1)
	v_dual_cndmask_b32 v11, v11, v13 :: v_dual_cndmask_b32 v12, v12, v14
	v_add_nc_u32_e32 v13, 1, v11
	s_delay_alu instid0(VALU_DEP_2) | instskip(NEXT) | instid1(VALU_DEP_2)
	v_cmp_le_u32_e32 vcc_lo, s17, v12
	v_cndmask_b32_e32 v14, v11, v13, vcc_lo
	s_delay_alu instid0(VALU_DEP_1) | instskip(NEXT) | instid1(VALU_DEP_1)
	v_mul_lo_u32 v11, v14, s17
	v_sub_nc_u32_e32 v3, v3, v11
	s_waitcnt lgkmcnt(0)
	s_delay_alu instid0(VALU_DEP_1) | instskip(SKIP_1) | instid1(VALU_DEP_2)
	v_mul_lo_u32 v13, v3, s15
	v_add_nc_u32_e32 v3, s25, v34
	v_mad_u64_u32 v[11:12], null, v14, s14, v[13:14]
	v_mov_b32_e32 v14, v4
	s_delay_alu instid0(VALU_DEP_3)
	v_dual_mov_b32 v12, v4 :: v_dual_mov_b32 v13, v3
.LBB23_11:                              ;   in Loop: Header=BB23_3 Depth=1
	s_or_b32 exec_lo, exec_lo, s3
	s_delay_alu instid0(VALU_DEP_1) | instskip(SKIP_3) | instid1(VALU_DEP_3)
	v_lshlrev_b64 v[11:12], 2, v[11:12]
	s_waitcnt lgkmcnt(0)
	v_dual_mov_b32 v18, s7 :: v_dual_mov_b32 v17, s6
	v_dual_mov_b32 v20, s5 :: v_dual_mov_b32 v19, s4
	v_add_co_u32 v11, vcc_lo, s10, v11
	s_delay_alu instid0(VALU_DEP_4)
	v_add_co_ci_u32_e32 v12, vcc_lo, s11, v12, vcc_lo
	s_and_not1_b32 vcc_lo, exec_lo, s18
	global_load_b32 v3, v[11:12], off
	s_cbranch_vccnz .LBB23_13
; %bb.12:                               ;   in Loop: Header=BB23_3 Depth=1
	v_dual_mov_b32 v12, s7 :: v_dual_mov_b32 v11, s6
	v_dual_mov_b32 v16, s5 :: v_dual_mov_b32 v15, s4
	flat_load_b64 v[11:12], v[11:12]
	flat_load_b64 v[19:20], v[15:16]
	s_waitcnt vmcnt(1) lgkmcnt(1)
	v_add_co_u32 v17, vcc_lo, v11, s12
	v_add_co_ci_u32_e32 v18, vcc_lo, s13, v12, vcc_lo
.LBB23_13:                              ;   in Loop: Header=BB23_3 Depth=1
	s_delay_alu instid0(VALU_DEP_1)
	v_alignbit_b32 v21, v18, v17, 2
	v_lshrrev_b32_e32 v15, 2, v18
	s_waitcnt vmcnt(0) lgkmcnt(0)
	v_add_nc_u32_e32 v37, 0x9e3779b9, v19
	v_add_nc_u32_e32 v38, 0xbb67ae85, v20
	;; [unrolled: 1-line block ×3, first 2 shown]
	v_add_co_u32 v16, vcc_lo, v21, 1
	s_delay_alu instid0(VALU_DEP_1) | instskip(SKIP_4) | instid1(VALU_DEP_4)
	v_cndmask_b32_e64 v11, 0, 1, vcc_lo
	v_add_co_ci_u32_e32 v18, vcc_lo, 0, v15, vcc_lo
	v_xor3_b32 v23, v32, v19, v15
	v_add_nc_u32_e32 v40, 0x76cf5d0a, v20
	v_add_nc_u32_e32 v42, 0xed9eba14, v20
	v_cmp_eq_u32_e32 vcc_lo, 0, v18
	v_add_nc_u32_e32 v43, 0x1fd5c5a3, v20
	s_mov_b32 s3, exec_lo
	v_dual_cndmask_b32 v22, 0, v11 :: v_dual_add_nc_u32 v41, 0x32370b8f, v20
	v_mad_u64_u32 v[11:12], null, 0xd2511f53, v16, 0
	v_mad_u64_u32 v[15:16], null, 0xd2511f53, v21, 0
	s_delay_alu instid0(VALU_DEP_3) | instskip(NEXT) | instid1(VALU_DEP_3)
	v_add_nc_u32_e32 v25, v22, v1
	v_xor_b32_e32 v12, v12, v20
	s_delay_alu instid0(VALU_DEP_2) | instskip(SKIP_1) | instid1(VALU_DEP_1)
	v_cmp_eq_u32_e32 vcc_lo, 0, v25
	v_cndmask_b32_e32 v22, 0, v22, vcc_lo
	v_xor_b32_e32 v12, v22, v12
	v_mad_u64_u32 v[21:22], null, 0xd2511f53, v23, 0
	v_mad_u64_u32 v[23:24], null, 0xcd9e8d57, v25, 0
	s_delay_alu instid0(VALU_DEP_3) | instskip(SKIP_1) | instid1(VALU_DEP_4)
	v_mad_u64_u32 v[25:26], null, 0xcd9e8d57, v12, 0
	v_xor_b32_e32 v12, v16, v20
	v_xor3_b32 v27, v38, v22, v15
	s_delay_alu instid0(VALU_DEP_2) | instskip(SKIP_2) | instid1(VALU_DEP_4)
	v_mad_u64_u32 v[15:16], null, 0xcd9e8d57, v12, 0
	v_xor3_b32 v12, v24, v19, v18
	v_xor3_b32 v18, v37, v26, v23
	v_mad_u64_u32 v[22:23], null, 0xcd9e8d57, v27, 0
	s_delay_alu instid0(VALU_DEP_3) | instskip(NEXT) | instid1(VALU_DEP_3)
	v_mad_u64_u32 v[26:27], null, 0xd2511f53, v12, 0
	v_mad_u64_u32 v[28:29], null, 0xd2511f53, v18, 0
	v_xor3_b32 v12, v2, v16, v37
	s_delay_alu instid0(VALU_DEP_4) | instskip(SKIP_2) | instid1(VALU_DEP_4)
	v_xor3_b32 v23, v39, v23, v15
	v_add_nc_u32_e32 v18, 0xdaa66d2b, v19
	v_xor3_b32 v27, v38, v27, v11
	v_mad_u64_u32 v[15:16], null, 0xd2511f53, v12, 0
	v_xor3_b32 v29, v40, v29, v26
	v_mad_u64_u32 v[11:12], null, 0xd2511f53, v23, 0
	s_delay_alu instid0(VALU_DEP_4) | instskip(NEXT) | instid1(VALU_DEP_3)
	v_mad_u64_u32 v[23:24], null, 0xcd9e8d57, v27, 0
	v_mad_u64_u32 v[26:27], null, 0xcd9e8d57, v29, 0
	v_xor3_b32 v21, v40, v16, v21
	v_add_nc_u32_e32 v29, 0x78dde6e4, v19
	v_xor3_b32 v12, v41, v12, v15
	s_delay_alu instid0(VALU_DEP_3) | instskip(SKIP_2) | instid1(VALU_DEP_4)
	v_mad_u64_u32 v[15:16], null, 0xcd9e8d57, v21, 0
	v_xor3_b32 v21, v39, v24, v25
	v_xor3_b32 v25, v18, v27, v23
	v_mad_u64_u32 v[23:24], null, 0xcd9e8d57, v12, 0
	s_delay_alu instid0(VALU_DEP_3) | instskip(NEXT) | instid1(VALU_DEP_3)
	v_mad_u64_u32 v[37:38], null, 0xd2511f53, v21, 0
	v_mad_u64_u32 v[39:40], null, 0xd2511f53, v25, 0
	v_xor3_b32 v12, v18, v16, v22
	s_delay_alu instid0(VALU_DEP_4) | instskip(SKIP_2) | instid1(VALU_DEP_4)
	v_xor3_b32 v21, v29, v24, v15
	v_add_nc_u32_e32 v18, 0x1715609d, v19
	v_add_nc_u32_e32 v25, 0xa9066899, v20
	v_mad_u64_u32 v[15:16], null, 0xd2511f53, v12, 0
	v_xor3_b32 v12, v41, v38, v28
	v_xor3_b32 v24, v42, v40, v37
	v_mad_u64_u32 v[27:28], null, 0xd2511f53, v21, 0
	v_add_nc_u32_e32 v38, 0xb54cda56, v19
	s_delay_alu instid0(VALU_DEP_4) | instskip(NEXT) | instid1(VALU_DEP_4)
	v_mad_u64_u32 v[21:22], null, 0xcd9e8d57, v12, 0
	v_mad_u64_u32 v[40:41], null, 0xcd9e8d57, v24, 0
	v_xor3_b32 v16, v42, v16, v11
	v_xor3_b32 v24, v25, v28, v15
	v_add_nc_u32_e32 v37, 0x646e171e, v20
	v_xor3_b32 v26, v29, v22, v26
	s_delay_alu instid0(VALU_DEP_4) | instskip(SKIP_2) | instid1(VALU_DEP_4)
	v_mad_u64_u32 v[11:12], null, 0xcd9e8d57, v16, 0
	v_xor3_b32 v28, v18, v41, v21
	v_mad_u64_u32 v[15:16], null, 0xcd9e8d57, v24, 0
	v_mad_u64_u32 v[21:22], null, 0xd2511f53, v26, 0
	s_delay_alu instid0(VALU_DEP_3) | instskip(SKIP_3) | instid1(VALU_DEP_3)
	v_mad_u64_u32 v[41:42], null, 0xd2511f53, v28, 0
	v_xor3_b32 v18, v18, v12, v23
	v_add_nc_u32_e32 v26, 0x5384540f, v19
	v_xor3_b32 v16, v38, v16, v11
	v_mad_u64_u32 v[11:12], null, 0xd2511f53, v18, 0
	v_xor3_b32 v18, v25, v22, v39
	v_xor3_b32 v23, v37, v42, v21
	s_delay_alu instid0(VALU_DEP_4) | instskip(NEXT) | instid1(VALU_DEP_3)
	v_mad_u64_u32 v[21:22], null, 0xd2511f53, v16, 0
	v_mad_u64_u32 v[28:29], null, 0xcd9e8d57, v18, 0
	s_delay_alu instid0(VALU_DEP_3) | instskip(SKIP_1) | instid1(VALU_DEP_4)
	v_mad_u64_u32 v[24:25], null, 0xcd9e8d57, v23, 0
	v_xor3_b32 v16, v37, v12, v27
	v_xor3_b32 v18, v43, v22, v11
	v_add_co_u32 v37, null, 0xf1bbcdc8, v19
	s_delay_alu instid0(VALU_DEP_3) | instskip(SKIP_4) | instid1(VALU_DEP_4)
	v_mad_u64_u32 v[11:12], null, 0xcd9e8d57, v16, 0
	v_xor3_b32 v16, v38, v29, v40
	v_xor3_b32 v25, v26, v25, v28
	v_mad_u64_u32 v[22:23], null, 0xcd9e8d57, v18, 0
	v_add_nc_u32_e32 v38, 0xdb3d7428, v20
	v_mad_u64_u32 v[39:40], null, 0xd2511f53, v16, 0
	s_delay_alu instid0(VALU_DEP_4) | instskip(SKIP_4) | instid1(VALU_DEP_4)
	v_mad_u64_u32 v[27:28], null, 0xd2511f53, v25, 0
	v_xor3_b32 v12, v26, v12, v15
	v_xor3_b32 v15, v37, v23, v11
	v_add_nc_u32_e32 v23, 0x8ff34781, v19
	v_xor3_b32 v16, v43, v40, v41
	v_mad_u64_u32 v[25:26], null, 0xd2511f53, v12, 0
	v_xor3_b32 v18, v38, v28, v39
	v_mad_u64_u32 v[11:12], null, 0xd2511f53, v15, 0
	s_delay_alu instid0(VALU_DEP_4) | instskip(NEXT) | instid1(VALU_DEP_3)
	v_mad_u64_u32 v[28:29], null, 0xcd9e8d57, v16, 0
	v_mad_u64_u32 v[15:16], null, 0xcd9e8d57, v18, 0
	v_add_nc_u32_e32 v39, 0x96a522ad, v20
	v_and_b32_e32 v20, 3, v17
                                        ; implicit-def: $vgpr18
	s_delay_alu instid0(VALU_DEP_2) | instskip(NEXT) | instid1(VALU_DEP_4)
	v_xor3_b32 v19, v12, v25, v39
	v_xor3_b32 v12, v16, v28, v23
	s_delay_alu instid0(VALU_DEP_3)
	v_cmpx_lt_i32_e32 1, v20
	s_xor_b32 s3, exec_lo, s3
	s_cbranch_execz .LBB23_19
; %bb.14:                               ;   in Loop: Header=BB23_3 Depth=1
	s_mov_b32 s33, exec_lo
                                        ; implicit-def: $vgpr18
	v_cmpx_lt_i32_e32 2, v20
	s_xor_b32 s33, exec_lo, s33
; %bb.15:                               ;   in Loop: Header=BB23_3 Depth=1
	v_xor3_b32 v16, v37, v29, v24
                                        ; implicit-def: $vgpr19
	s_delay_alu instid0(VALU_DEP_1) | instskip(NEXT) | instid1(VALU_DEP_1)
	v_mul_hi_u32 v16, 0xd2511f53, v16
	v_xor3_b32 v18, v16, v27, v39
; %bb.16:                               ;   in Loop: Header=BB23_3 Depth=1
	s_and_not1_saveexec_b32 s33, s33
; %bb.17:                               ;   in Loop: Header=BB23_3 Depth=1
	v_dual_mov_b32 v18, v15 :: v_dual_mov_b32 v15, v12
	v_mov_b32_e32 v12, v11
	v_mov_b32_e32 v11, v19
; %bb.18:                               ;   in Loop: Header=BB23_3 Depth=1
	s_or_b32 exec_lo, exec_lo, s33
                                        ; implicit-def: $vgpr21_vgpr22
                                        ; implicit-def: $vgpr20
                                        ; implicit-def: $vgpr19
                                        ; implicit-def: $vgpr38
                                        ; implicit-def: $vgpr25_vgpr26
                                        ; implicit-def: $vgpr22_vgpr23
                                        ; implicit-def: $vgpr23
.LBB23_19:                              ;   in Loop: Header=BB23_3 Depth=1
	s_and_not1_saveexec_b32 s3, s3
	s_cbranch_execz .LBB23_23
; %bb.20:                               ;   in Loop: Header=BB23_3 Depth=1
	v_xor3_b32 v15, v38, v26, v21
	v_cmp_eq_u32_e32 vcc_lo, 1, v20
	s_delay_alu instid0(VALU_DEP_2) | instskip(SKIP_2) | instid1(VALU_DEP_3)
	v_mad_u64_u32 v[16:17], null, 0xcd9e8d57, v15, 0
	v_mov_b32_e32 v18, v11
	v_mov_b32_e32 v15, v19
	v_xor3_b32 v20, v17, v22, v23
	s_delay_alu instid0(VALU_DEP_4)
	v_mov_b32_e32 v17, v16
	s_and_saveexec_b32 s33, vcc_lo
; %bb.21:                               ;   in Loop: Header=BB23_3 Depth=1
	v_dual_mov_b32 v18, v12 :: v_dual_mov_b32 v15, v11
	v_dual_mov_b32 v17, v19 :: v_dual_mov_b32 v20, v16
; %bb.22:                               ;   in Loop: Header=BB23_3 Depth=1
	s_or_b32 exec_lo, exec_lo, s33
	s_delay_alu instid0(VALU_DEP_1)
	v_dual_mov_b32 v11, v20 :: v_dual_mov_b32 v12, v17
.LBB23_23:                              ;   in Loop: Header=BB23_3 Depth=1
	s_or_b32 exec_lo, exec_lo, s3
	v_min_i32_e32 v16, 4, v31
	s_mov_b32 s33, 0
	s_mov_b32 s38, 0
	s_mov_b32 s36, exec_lo
                                        ; implicit-def: $sgpr3
                                        ; implicit-def: $sgpr34
                                        ; implicit-def: $sgpr35
	s_delay_alu instid0(VALU_DEP_1)
	v_cmpx_lt_i32_e32 2, v16
	s_xor_b32 s36, exec_lo, s36
	s_cbranch_execz .LBB23_33
; %bb.24:                               ;   in Loop: Header=BB23_3 Depth=1
	s_mov_b32 s3, -1
	s_mov_b32 s35, exec_lo
                                        ; implicit-def: $sgpr34
                                        ; implicit-def: $sgpr37
	v_cmpx_lt_i32_e32 3, v16
	s_cbranch_execz .LBB23_28
; %bb.25:                               ;   in Loop: Header=BB23_3 Depth=1
	v_cmp_le_f32_e32 vcc_lo, 0, v3
	v_cmp_ge_f32_e64 s3, 1.0, v3
	s_mov_b32 s34, 0
	s_delay_alu instid0(VALU_DEP_1)
	s_and_b32 s38, vcc_lo, s3
	s_mov_b32 s3, 0
	s_and_saveexec_b32 s37, s38
	s_cbranch_execz .LBB23_27
; %bb.26:                               ;   in Loop: Header=BB23_3 Depth=1
	v_cvt_f32_u32_e32 v17, v18
	v_add_co_u32 v13, vcc_lo, s8, v13
	v_add_co_ci_u32_e32 v14, vcc_lo, s9, v14, vcc_lo
	s_delay_alu instid0(VALU_DEP_3) | instskip(SKIP_1) | instid1(VALU_DEP_1)
	v_fmaak_f32 v17, 0x2f800000, v17, 0x2f800000
	s_mov_b32 s3, exec_lo
	v_cmp_le_f32_e32 vcc_lo, v17, v3
	v_cndmask_b32_e64 v3, 0, 1, vcc_lo
	global_store_b8 v[13:14], v3, off
.LBB23_27:                              ;   in Loop: Header=BB23_3 Depth=1
	s_or_b32 exec_lo, exec_lo, s37
	s_mov_b32 s37, -1
	s_or_not1_b32 s3, s3, exec_lo
.LBB23_28:                              ;   in Loop: Header=BB23_3 Depth=1
	s_or_b32 exec_lo, exec_lo, s35
	s_mov_b32 s38, 0
	s_mov_b32 s39, s34
	s_and_saveexec_b32 s35, s3
	s_cbranch_execz .LBB23_32
; %bb.29:                               ;   in Loop: Header=BB23_3 Depth=1
	v_lshlrev_b64 v[9:10], 2, v[9:10]
	s_delay_alu instid0(VALU_DEP_1) | instskip(NEXT) | instid1(VALU_DEP_2)
	v_add_co_u32 v9, vcc_lo, s10, v9
	v_add_co_ci_u32_e32 v10, vcc_lo, s11, v10, vcc_lo
	global_load_b32 v3, v[9:10], off
	s_waitcnt vmcnt(0)
	v_cmp_le_f32_e32 vcc_lo, 0, v3
	v_cmp_ge_f32_e64 s3, 1.0, v3
	s_delay_alu instid0(VALU_DEP_1) | instskip(SKIP_2) | instid1(SALU_CYCLE_1)
	s_and_b32 s38, vcc_lo, s3
	s_mov_b32 s3, 0
	s_and_saveexec_b32 s39, s38
	s_xor_b32 s38, exec_lo, s39
	s_cbranch_execz .LBB23_31
; %bb.30:                               ;   in Loop: Header=BB23_3 Depth=1
	v_cvt_f32_u32_e32 v9, v15
	v_add_nc_u32_e32 v10, s25, v33
	s_mov_b32 s3, exec_lo
	s_delay_alu instid0(VALU_DEP_2) | instskip(NEXT) | instid1(VALU_DEP_2)
	v_fmaak_f32 v9, 0x2f800000, v9, 0x2f800000
	v_cndmask_b32_e64 v10, 0, v10, s2
	s_delay_alu instid0(VALU_DEP_2)
	v_cmp_le_f32_e32 vcc_lo, v9, v3
	v_cndmask_b32_e64 v3, 0, 1, vcc_lo
	global_store_b8 v10, v3, s[8:9]
.LBB23_31:                              ;   in Loop: Header=BB23_3 Depth=1
	s_or_b32 exec_lo, exec_lo, s38
	s_delay_alu instid0(SALU_CYCLE_1)
	s_and_not1_b32 s39, s34, exec_lo
	s_or_b32 s34, s34, exec_lo
	s_and_not1_b32 s37, s37, exec_lo
	s_and_b32 s38, s3, exec_lo
.LBB23_32:                              ;   in Loop: Header=BB23_3 Depth=1
	s_or_b32 exec_lo, exec_lo, s35
	s_delay_alu instid0(SALU_CYCLE_1)
	s_and_b32 s35, s39, exec_lo
	s_and_b32 s34, s34, exec_lo
	;; [unrolled: 1-line block ×4, first 2 shown]
.LBB23_33:                              ;   in Loop: Header=BB23_3 Depth=1
	s_and_not1_saveexec_b32 s2, s36
; %bb.34:                               ;   in Loop: Header=BB23_3 Depth=1
	v_cmp_lt_i32_e32 vcc_lo, 1, v16
	s_and_not1_b32 s36, s38, exec_lo
	s_mov_b32 s33, exec_lo
	s_and_not1_b32 s35, s35, exec_lo
	s_and_not1_b32 s34, s34, exec_lo
	s_and_b32 s37, vcc_lo, exec_lo
	s_and_not1_b32 s3, s3, exec_lo
	s_or_b32 s38, s36, s37
; %bb.35:                               ;   in Loop: Header=BB23_3 Depth=1
	s_or_b32 exec_lo, exec_lo, s2
	s_mov_b32 s36, 0
	s_mov_b32 s37, 0
	;; [unrolled: 1-line block ×3, first 2 shown]
	s_and_saveexec_b32 s39, s38
	s_cbranch_execnz .LBB23_38
; %bb.36:                               ;   in Loop: Header=BB23_3 Depth=1
	s_or_b32 exec_lo, exec_lo, s39
	s_and_saveexec_b32 s1, s33
	s_cbranch_execnz .LBB23_41
.LBB23_37:                              ;   in Loop: Header=BB23_3 Depth=1
	s_or_b32 exec_lo, exec_lo, s1
	s_and_saveexec_b32 s33, s37
	s_cbranch_execnz .LBB23_42
	s_branch .LBB23_45
.LBB23_38:                              ;   in Loop: Header=BB23_3 Depth=1
	v_lshlrev_b64 v[7:8], 2, v[7:8]
	s_delay_alu instid0(VALU_DEP_1) | instskip(NEXT) | instid1(VALU_DEP_2)
	v_add_co_u32 v7, vcc_lo, s10, v7
	v_add_co_ci_u32_e32 v8, vcc_lo, s11, v8, vcc_lo
	global_load_b32 v3, v[7:8], off
	s_waitcnt vmcnt(0)
	v_cmp_le_f32_e32 vcc_lo, 0, v3
	v_cmp_ge_f32_e64 s2, 1.0, v3
	s_delay_alu instid0(VALU_DEP_1) | instskip(NEXT) | instid1(SALU_CYCLE_1)
	s_and_b32 s2, vcc_lo, s2
	s_and_saveexec_b32 s38, s2
	s_delay_alu instid0(SALU_CYCLE_1)
	s_xor_b32 s2, exec_lo, s38
	s_cbranch_execz .LBB23_40
; %bb.39:                               ;   in Loop: Header=BB23_3 Depth=1
	v_cvt_f32_u32_e32 v7, v12
	v_add_nc_u32_e32 v8, s25, v35
	s_mov_b32 s37, exec_lo
	s_delay_alu instid0(VALU_DEP_2) | instskip(NEXT) | instid1(VALU_DEP_2)
	v_fmaak_f32 v7, 0x2f800000, v7, 0x2f800000
	v_cndmask_b32_e64 v8, 0, v8, s1
	s_delay_alu instid0(VALU_DEP_2)
	v_cmp_le_f32_e32 vcc_lo, v7, v3
	v_cndmask_b32_e64 v3, 0, 1, vcc_lo
	global_store_b8 v8, v3, s[8:9]
.LBB23_40:                              ;   in Loop: Header=BB23_3 Depth=1
	s_or_b32 exec_lo, exec_lo, s2
	s_delay_alu instid0(SALU_CYCLE_1)
	s_and_not1_b32 s2, s35, exec_lo
	s_or_b32 s35, s35, exec_lo
	s_and_not1_b32 s34, s34, exec_lo
	s_and_not1_b32 s3, s3, exec_lo
	s_and_b32 s37, s37, exec_lo
	s_and_not1_b32 s33, s33, exec_lo
	s_or_b32 exec_lo, exec_lo, s39
	s_and_saveexec_b32 s1, s33
	s_cbranch_execz .LBB23_37
.LBB23_41:                              ;   in Loop: Header=BB23_3 Depth=1
	v_cmp_eq_u32_e32 vcc_lo, 1, v16
	s_and_not1_b32 s33, s37, exec_lo
	s_mov_b32 s36, exec_lo
	s_and_not1_b32 s2, s2, exec_lo
	s_and_not1_b32 s35, s35, exec_lo
	s_and_b32 s37, vcc_lo, exec_lo
	s_and_not1_b32 s34, s34, exec_lo
	s_and_not1_b32 s3, s3, exec_lo
	s_or_b32 s37, s33, s37
	s_or_b32 exec_lo, exec_lo, s1
	s_and_saveexec_b32 s33, s37
	s_cbranch_execz .LBB23_45
.LBB23_42:                              ;   in Loop: Header=BB23_3 Depth=1
	v_lshlrev_b64 v[5:6], 2, v[5:6]
	s_delay_alu instid0(VALU_DEP_1) | instskip(NEXT) | instid1(VALU_DEP_2)
	v_add_co_u32 v5, vcc_lo, s10, v5
	v_add_co_ci_u32_e32 v6, vcc_lo, s11, v6, vcc_lo
	global_load_b32 v3, v[5:6], off
	s_waitcnt vmcnt(0)
	v_cmp_le_f32_e32 vcc_lo, 0, v3
	v_cmp_ge_f32_e64 s1, 1.0, v3
	s_delay_alu instid0(VALU_DEP_1)
	s_and_b32 s38, vcc_lo, s1
	s_mov_b32 s1, 0
	s_and_saveexec_b32 s37, s38
	s_cbranch_execz .LBB23_44
; %bb.43:                               ;   in Loop: Header=BB23_3 Depth=1
	v_cvt_f32_u32_e32 v5, v11
	v_add_nc_u32_e32 v6, s25, v30
	s_mov_b32 s1, exec_lo
	s_delay_alu instid0(VALU_DEP_2) | instskip(NEXT) | instid1(VALU_DEP_2)
	v_fmaak_f32 v5, 0x2f800000, v5, 0x2f800000
	v_cndmask_b32_e64 v6, 0, v6, s0
	s_delay_alu instid0(VALU_DEP_2)
	v_cmp_le_f32_e32 vcc_lo, v5, v3
	v_cndmask_b32_e64 v3, 0, 1, vcc_lo
	global_store_b8 v6, v3, s[8:9]
.LBB23_44:                              ;   in Loop: Header=BB23_3 Depth=1
	s_or_b32 exec_lo, exec_lo, s37
	s_delay_alu instid0(SALU_CYCLE_1)
	s_and_not1_b32 s0, s36, exec_lo
	s_and_b32 s1, s1, exec_lo
	s_or_b32 s2, s2, exec_lo
	s_and_not1_b32 s35, s35, exec_lo
	s_and_not1_b32 s34, s34, exec_lo
	;; [unrolled: 1-line block ×3, first 2 shown]
	s_or_b32 s36, s0, s1
.LBB23_45:                              ;   in Loop: Header=BB23_3 Depth=1
	s_or_b32 exec_lo, exec_lo, s33
	s_delay_alu instid0(SALU_CYCLE_1)
	s_and_not1_b32 s1, s31, exec_lo
	s_and_b32 s2, s2, exec_lo
	s_and_not1_b32 s29, s29, exec_lo
	s_and_b32 s33, s35, exec_lo
	s_or_b32 s31, s1, s2
	s_and_not1_b32 s1, s30, exec_lo
	s_and_b32 s2, s34, exec_lo
	s_and_not1_b32 s28, s28, exec_lo
	s_and_b32 s3, s3, exec_lo
	s_mov_b32 s0, -1
	s_or_b32 s29, s29, s33
	s_or_b32 s30, s1, s2
	;; [unrolled: 1-line block ×3, first 2 shown]
	s_and_saveexec_b32 s1, s36
	s_cbranch_execz .LBB23_2
; %bb.46:                               ;   in Loop: Header=BB23_3 Depth=1
	v_add_nc_u32_e32 v0, s21, v0
	v_subrev_nc_u32_e32 v31, s21, v31
	s_add_i32 s25, s25, s23
	s_and_not1_b32 s31, s31, exec_lo
	s_and_not1_b32 s29, s29, exec_lo
	v_cmp_le_u32_e32 vcc_lo, s16, v0
	s_and_not1_b32 s30, s30, exec_lo
	s_and_not1_b32 s28, s28, exec_lo
	s_or_not1_b32 s0, vcc_lo, exec_lo
	s_branch .LBB23_2
.LBB23_47:
	s_or_b32 exec_lo, exec_lo, s22
	s_xor_b32 s3, s26, -1
	s_xor_b32 s4, s27, -1
	;; [unrolled: 1-line block ×3, first 2 shown]
	s_mov_b32 s1, 0
	s_and_saveexec_b32 s2, s0
	s_delay_alu instid0(SALU_CYCLE_1)
	s_xor_b32 s0, exec_lo, s2
	s_cbranch_execz .LBB23_56
; %bb.48:
	s_mov_b32 s2, 0
	s_and_saveexec_b32 s1, s4
	s_delay_alu instid0(SALU_CYCLE_1)
	s_xor_b32 s1, exec_lo, s1
	s_cbranch_execz .LBB23_54
; %bb.49:
	s_and_saveexec_b32 s4, s3
	s_delay_alu instid0(SALU_CYCLE_1)
	s_xor_b32 s3, exec_lo, s4
	s_cbranch_execz .LBB23_52
; %bb.50:
	s_and_saveexec_b32 s4, s20
	s_delay_alu instid0(SALU_CYCLE_1)
	s_xor_b32 s4, exec_lo, s4
	s_cbranch_execnz .LBB23_70
.LBB23_51:
	s_or_b32 exec_lo, exec_lo, s4
	s_delay_alu instid0(SALU_CYCLE_1)
	s_and_b32 s2, s2, exec_lo
.LBB23_52:
	s_and_not1_saveexec_b32 s3, s3
	s_cbranch_execnz .LBB23_66
.LBB23_53:
	s_or_b32 exec_lo, exec_lo, s3
	s_delay_alu instid0(SALU_CYCLE_1)
	s_and_b32 s2, s2, exec_lo
.LBB23_54:
	s_and_not1_saveexec_b32 s1, s1
	s_cbranch_execnz .LBB23_62
.LBB23_55:
	s_or_b32 exec_lo, exec_lo, s1
	s_delay_alu instid0(SALU_CYCLE_1)
	s_and_b32 s1, s2, exec_lo
.LBB23_56:
	s_and_not1_saveexec_b32 s0, s0
	s_cbranch_execnz .LBB23_60
; %bb.57:
	s_or_b32 exec_lo, exec_lo, s0
	s_delay_alu instid0(SALU_CYCLE_1)
	s_and_b32 exec_lo, exec_lo, s1
.LBB23_58:
	; divergent unreachable
.LBB23_59:
	s_nop 0
	s_sendmsg sendmsg(MSG_DEALLOC_VGPRS)
	s_endpgm
.LBB23_60:
	s_cbranch_execnz .LBB23_64
; %bb.61:
	s_or_b32 s1, s1, exec_lo
	s_or_b32 exec_lo, exec_lo, s0
	s_delay_alu instid0(SALU_CYCLE_1)
	s_and_b32 exec_lo, exec_lo, s1
	s_cbranch_execnz .LBB23_58
	s_branch .LBB23_59
.LBB23_62:
	s_cbranch_execnz .LBB23_68
; %bb.63:
	s_or_b32 s2, s2, exec_lo
	s_branch .LBB23_55
.LBB23_64:
	s_trap 2
	s_sendmsg_rtn_b32 s0, sendmsg(MSG_RTN_GET_DOORBELL)
	s_mov_b32 ttmp2, m0
	s_waitcnt lgkmcnt(0)
	s_and_b32 s0, s0, 0x3ff
	s_delay_alu instid0(SALU_CYCLE_1) | instskip(NEXT) | instid1(SALU_CYCLE_1)
	s_bitset1_b32 s0, 10
	s_mov_b32 m0, s0
	s_sendmsg sendmsg(MSG_INTERRUPT)
	s_mov_b32 m0, ttmp2
.LBB23_65:                              ; =>This Inner Loop Header: Depth=1
	s_sethalt 5
	s_branch .LBB23_65
.LBB23_66:
	s_cbranch_execnz .LBB23_72
; %bb.67:
	s_or_b32 s2, s2, exec_lo
	s_branch .LBB23_53
.LBB23_68:
	s_trap 2
	s_sendmsg_rtn_b32 s0, sendmsg(MSG_RTN_GET_DOORBELL)
	s_mov_b32 ttmp2, m0
	s_waitcnt lgkmcnt(0)
	s_and_b32 s0, s0, 0x3ff
	s_delay_alu instid0(SALU_CYCLE_1) | instskip(NEXT) | instid1(SALU_CYCLE_1)
	s_bitset1_b32 s0, 10
	s_mov_b32 m0, s0
	s_sendmsg sendmsg(MSG_INTERRUPT)
	s_mov_b32 m0, ttmp2
.LBB23_69:                              ; =>This Inner Loop Header: Depth=1
	s_sethalt 5
	s_branch .LBB23_69
.LBB23_70:
	s_cbranch_execnz .LBB23_74
; %bb.71:
	s_mov_b32 s2, exec_lo
	s_branch .LBB23_51
.LBB23_72:
	s_trap 2
	s_sendmsg_rtn_b32 s0, sendmsg(MSG_RTN_GET_DOORBELL)
	s_mov_b32 ttmp2, m0
	s_waitcnt lgkmcnt(0)
	s_and_b32 s0, s0, 0x3ff
	s_delay_alu instid0(SALU_CYCLE_1) | instskip(NEXT) | instid1(SALU_CYCLE_1)
	s_bitset1_b32 s0, 10
	s_mov_b32 m0, s0
	s_sendmsg sendmsg(MSG_INTERRUPT)
	s_mov_b32 m0, ttmp2
.LBB23_73:                              ; =>This Inner Loop Header: Depth=1
	s_sethalt 5
	s_branch .LBB23_73
.LBB23_74:
	s_trap 2
	s_sendmsg_rtn_b32 s0, sendmsg(MSG_RTN_GET_DOORBELL)
	s_mov_b32 ttmp2, m0
	s_waitcnt lgkmcnt(0)
	s_and_b32 s0, s0, 0x3ff
	s_delay_alu instid0(SALU_CYCLE_1) | instskip(NEXT) | instid1(SALU_CYCLE_1)
	s_bitset1_b32 s0, 10
	s_mov_b32 m0, s0
	s_sendmsg sendmsg(MSG_INTERRUPT)
	s_mov_b32 m0, ttmp2
.LBB23_75:                              ; =>This Inner Loop Header: Depth=1
	s_sethalt 5
	s_branch .LBB23_75
	.section	.rodata,"a",@progbits
	.p2align	6, 0x0
	.amdhsa_kernel _ZN2at4cuda12_GLOBAL__N_121kernelPointwiseApply2IZNS_6native9templates4cuda28bernoulli_tensor_cuda_kernelIafEEvRKNS_10TensorBaseES9_NS_15PhiloxCudaStateEEUliRaSB_SB_SB_RKfSD_SD_SD_E_aSC_jLi1ELi2ELi4ELi512ELi2EEEvNS0_6detail10TensorInfoIT0_T2_EENSG_IT1_SI_EESI_T_
		.amdhsa_group_segment_fixed_size 0
		.amdhsa_private_segment_fixed_size 0
		.amdhsa_kernarg_size 728
		.amdhsa_user_sgpr_count 15
		.amdhsa_user_sgpr_dispatch_ptr 0
		.amdhsa_user_sgpr_queue_ptr 0
		.amdhsa_user_sgpr_kernarg_segment_ptr 1
		.amdhsa_user_sgpr_dispatch_id 0
		.amdhsa_user_sgpr_private_segment_size 0
		.amdhsa_wavefront_size32 1
		.amdhsa_uses_dynamic_stack 0
		.amdhsa_enable_private_segment 0
		.amdhsa_system_sgpr_workgroup_id_x 1
		.amdhsa_system_sgpr_workgroup_id_y 0
		.amdhsa_system_sgpr_workgroup_id_z 0
		.amdhsa_system_sgpr_workgroup_info 0
		.amdhsa_system_vgpr_workitem_id 0
		.amdhsa_next_free_vgpr 44
		.amdhsa_next_free_sgpr 40
		.amdhsa_reserve_vcc 1
		.amdhsa_float_round_mode_32 0
		.amdhsa_float_round_mode_16_64 0
		.amdhsa_float_denorm_mode_32 3
		.amdhsa_float_denorm_mode_16_64 3
		.amdhsa_dx10_clamp 1
		.amdhsa_ieee_mode 1
		.amdhsa_fp16_overflow 0
		.amdhsa_workgroup_processor_mode 1
		.amdhsa_memory_ordered 1
		.amdhsa_forward_progress 0
		.amdhsa_shared_vgpr_count 0
		.amdhsa_exception_fp_ieee_invalid_op 0
		.amdhsa_exception_fp_denorm_src 0
		.amdhsa_exception_fp_ieee_div_zero 0
		.amdhsa_exception_fp_ieee_overflow 0
		.amdhsa_exception_fp_ieee_underflow 0
		.amdhsa_exception_fp_ieee_inexact 0
		.amdhsa_exception_int_div_zero 0
	.end_amdhsa_kernel
	.section	.text._ZN2at4cuda12_GLOBAL__N_121kernelPointwiseApply2IZNS_6native9templates4cuda28bernoulli_tensor_cuda_kernelIafEEvRKNS_10TensorBaseES9_NS_15PhiloxCudaStateEEUliRaSB_SB_SB_RKfSD_SD_SD_E_aSC_jLi1ELi2ELi4ELi512ELi2EEEvNS0_6detail10TensorInfoIT0_T2_EENSG_IT1_SI_EESI_T_,"axG",@progbits,_ZN2at4cuda12_GLOBAL__N_121kernelPointwiseApply2IZNS_6native9templates4cuda28bernoulli_tensor_cuda_kernelIafEEvRKNS_10TensorBaseES9_NS_15PhiloxCudaStateEEUliRaSB_SB_SB_RKfSD_SD_SD_E_aSC_jLi1ELi2ELi4ELi512ELi2EEEvNS0_6detail10TensorInfoIT0_T2_EENSG_IT1_SI_EESI_T_,comdat
.Lfunc_end23:
	.size	_ZN2at4cuda12_GLOBAL__N_121kernelPointwiseApply2IZNS_6native9templates4cuda28bernoulli_tensor_cuda_kernelIafEEvRKNS_10TensorBaseES9_NS_15PhiloxCudaStateEEUliRaSB_SB_SB_RKfSD_SD_SD_E_aSC_jLi1ELi2ELi4ELi512ELi2EEEvNS0_6detail10TensorInfoIT0_T2_EENSG_IT1_SI_EESI_T_, .Lfunc_end23-_ZN2at4cuda12_GLOBAL__N_121kernelPointwiseApply2IZNS_6native9templates4cuda28bernoulli_tensor_cuda_kernelIafEEvRKNS_10TensorBaseES9_NS_15PhiloxCudaStateEEUliRaSB_SB_SB_RKfSD_SD_SD_E_aSC_jLi1ELi2ELi4ELi512ELi2EEEvNS0_6detail10TensorInfoIT0_T2_EENSG_IT1_SI_EESI_T_
                                        ; -- End function
	.section	.AMDGPU.csdata,"",@progbits
; Kernel info:
; codeLenInByte = 3680
; NumSgprs: 42
; NumVgprs: 44
; ScratchSize: 0
; MemoryBound: 0
; FloatMode: 240
; IeeeMode: 1
; LDSByteSize: 0 bytes/workgroup (compile time only)
; SGPRBlocks: 5
; VGPRBlocks: 5
; NumSGPRsForWavesPerEU: 42
; NumVGPRsForWavesPerEU: 44
; Occupancy: 16
; WaveLimiterHint : 1
; COMPUTE_PGM_RSRC2:SCRATCH_EN: 0
; COMPUTE_PGM_RSRC2:USER_SGPR: 15
; COMPUTE_PGM_RSRC2:TRAP_HANDLER: 0
; COMPUTE_PGM_RSRC2:TGID_X_EN: 1
; COMPUTE_PGM_RSRC2:TGID_Y_EN: 0
; COMPUTE_PGM_RSRC2:TGID_Z_EN: 0
; COMPUTE_PGM_RSRC2:TIDIG_COMP_CNT: 0
	.section	.text._ZN2at4cuda12_GLOBAL__N_121kernelPointwiseApply2IZNS_6native9templates4cuda28bernoulli_tensor_cuda_kernelIafEEvRKNS_10TensorBaseES9_NS_15PhiloxCudaStateEEUliRaSB_SB_SB_RKfSD_SD_SD_E_aSC_jLi1ELin1ELi4ELi512ELi2EEEvNS0_6detail10TensorInfoIT0_T2_EENSG_IT1_SI_EESI_T_,"axG",@progbits,_ZN2at4cuda12_GLOBAL__N_121kernelPointwiseApply2IZNS_6native9templates4cuda28bernoulli_tensor_cuda_kernelIafEEvRKNS_10TensorBaseES9_NS_15PhiloxCudaStateEEUliRaSB_SB_SB_RKfSD_SD_SD_E_aSC_jLi1ELin1ELi4ELi512ELi2EEEvNS0_6detail10TensorInfoIT0_T2_EENSG_IT1_SI_EESI_T_,comdat
	.globl	_ZN2at4cuda12_GLOBAL__N_121kernelPointwiseApply2IZNS_6native9templates4cuda28bernoulli_tensor_cuda_kernelIafEEvRKNS_10TensorBaseES9_NS_15PhiloxCudaStateEEUliRaSB_SB_SB_RKfSD_SD_SD_E_aSC_jLi1ELin1ELi4ELi512ELi2EEEvNS0_6detail10TensorInfoIT0_T2_EENSG_IT1_SI_EESI_T_ ; -- Begin function _ZN2at4cuda12_GLOBAL__N_121kernelPointwiseApply2IZNS_6native9templates4cuda28bernoulli_tensor_cuda_kernelIafEEvRKNS_10TensorBaseES9_NS_15PhiloxCudaStateEEUliRaSB_SB_SB_RKfSD_SD_SD_E_aSC_jLi1ELin1ELi4ELi512ELi2EEEvNS0_6detail10TensorInfoIT0_T2_EENSG_IT1_SI_EESI_T_
	.p2align	8
	.type	_ZN2at4cuda12_GLOBAL__N_121kernelPointwiseApply2IZNS_6native9templates4cuda28bernoulli_tensor_cuda_kernelIafEEvRKNS_10TensorBaseES9_NS_15PhiloxCudaStateEEUliRaSB_SB_SB_RKfSD_SD_SD_E_aSC_jLi1ELin1ELi4ELi512ELi2EEEvNS0_6detail10TensorInfoIT0_T2_EENSG_IT1_SI_EESI_T_,@function
_ZN2at4cuda12_GLOBAL__N_121kernelPointwiseApply2IZNS_6native9templates4cuda28bernoulli_tensor_cuda_kernelIafEEvRKNS_10TensorBaseES9_NS_15PhiloxCudaStateEEUliRaSB_SB_SB_RKfSD_SD_SD_E_aSC_jLi1ELin1ELi4ELi512ELi2EEEvNS0_6detail10TensorInfoIT0_T2_EENSG_IT1_SI_EESI_T_: ; @_ZN2at4cuda12_GLOBAL__N_121kernelPointwiseApply2IZNS_6native9templates4cuda28bernoulli_tensor_cuda_kernelIafEEvRKNS_10TensorBaseES9_NS_15PhiloxCudaStateEEUliRaSB_SB_SB_RKfSD_SD_SD_E_aSC_jLi1ELin1ELi4ELi512ELi2EEEvNS0_6detail10TensorInfoIT0_T2_EENSG_IT1_SI_EESI_T_
; %bb.0:
	s_clause 0x1
	s_load_b32 s4, s[0:1], 0x1e4
	s_load_b32 s20, s[0:1], 0x1b0
	s_add_u32 s2, s0, 0x1d8
	s_addc_u32 s3, s1, 0
	s_waitcnt lgkmcnt(0)
	s_and_b32 s14, s4, 0xffff
	s_mov_b32 s4, exec_lo
	v_mad_u64_u32 v[1:2], null, s15, s14, v[0:1]
	s_delay_alu instid0(VALU_DEP_1) | instskip(NEXT) | instid1(VALU_DEP_1)
	v_lshlrev_b32_e32 v28, 2, v1
	v_cmpx_gt_u32_e64 s20, v28
	s_cbranch_execz .LBB24_73
; %bb.1:
	s_load_b32 s16, s[0:1], 0x1a8
	s_load_b32 s2, s[2:3], 0x0
	s_clause 0x6
	s_load_b32 s3, s[0:1], 0x1d0
	s_load_b128 s[4:7], s[0:1], 0x1b8
	s_load_b64 s[8:9], s[0:1], 0x1c8
	s_load_b64 s[10:11], s[0:1], 0x0
	s_load_b32 s21, s[0:1], 0x6c
	s_load_b32 s22, s[0:1], 0x144
	s_load_b64 s[12:13], s[0:1], 0xd8
	s_add_u32 s17, s0, 0xd8
	s_addc_u32 s18, s1, 0
	v_mad_u64_u32 v[2:3], null, 0xcd9e8d57, v1, 0
	s_mov_b32 s15, 0
	v_mov_b32_e32 v4, 0
                                        ; implicit-def: $sgpr27
                                        ; implicit-def: $sgpr29
                                        ; implicit-def: $sgpr28
                                        ; implicit-def: $sgpr30
                                        ; implicit-def: $sgpr33
                                        ; implicit-def: $sgpr31
                                        ; implicit-def: $sgpr34
	s_delay_alu instid0(VALU_DEP_2)
	v_mov_b32_e32 v29, v3
	s_waitcnt lgkmcnt(0)
	s_cmp_gt_i32 s16, 1
	s_mul_i32 s2, s2, s14
	s_cselect_b32 s23, -1, 0
	s_bitcmp1_b32 s3, 0
	s_cselect_b32 s24, -1, 0
	s_add_i32 s14, s16, -1
	s_lshl_b32 s25, s2, 2
	s_lshl_b64 s[0:1], s[14:15], 2
	s_add_i32 s26, s16, 1
	s_add_u32 s0, s0, s17
	s_addc_u32 s1, s1, s18
	s_add_u32 s16, s0, 8
	s_addc_u32 s17, s1, 0
                                        ; implicit-def: $sgpr14
	s_branch .LBB24_3
.LBB24_2:                               ;   in Loop: Header=BB24_3 Depth=1
	s_or_b32 exec_lo, exec_lo, s1
	s_delay_alu instid0(SALU_CYCLE_1) | instskip(NEXT) | instid1(SALU_CYCLE_1)
	s_and_b32 s0, exec_lo, s0
	s_or_b32 s15, s0, s15
	s_and_not1_b32 s0, s14, exec_lo
	s_and_b32 s1, s34, exec_lo
	s_and_not1_b32 s2, s28, exec_lo
	s_and_b32 s3, s31, exec_lo
	s_or_b32 s14, s0, s1
	s_or_b32 s28, s2, s3
	s_and_not1_b32 s0, s29, exec_lo
	s_and_b32 s1, s33, exec_lo
	s_and_not1_b32 s2, s27, exec_lo
	s_and_b32 s3, s30, exec_lo
	s_or_b32 s29, s0, s1
	s_or_b32 s27, s2, s3
	s_and_not1_b32 exec_lo, exec_lo, s15
	s_cbranch_execz .LBB24_61
.LBB24_3:                               ; =>This Loop Header: Depth=1
                                        ;     Child Loop BB24_6 Depth 2
                                        ;     Child Loop BB24_11 Depth 2
	;; [unrolled: 1-line block ×4, first 2 shown]
	v_sub_nc_u32_e32 v31, s20, v28
	v_mov_b32_e32 v3, 0
	s_delay_alu instid0(VALU_DEP_2) | instskip(NEXT) | instid1(VALU_DEP_1)
	v_cmp_lt_i32_e64 s0, 0, v31
	s_and_saveexec_b32 s1, s0
	s_cbranch_execz .LBB24_8
; %bb.4:                                ;   in Loop: Header=BB24_3 Depth=1
	v_dual_mov_b32 v0, 0 :: v_dual_mov_b32 v3, v28
	s_and_not1_b32 vcc_lo, exec_lo, s23
	s_cbranch_vccnz .LBB24_7
; %bb.5:                                ;   in Loop: Header=BB24_3 Depth=1
	v_dual_mov_b32 v0, 0 :: v_dual_mov_b32 v3, v28
	s_mov_b64 s[2:3], s[16:17]
	s_mov_b32 s18, s26
	s_set_inst_prefetch_distance 0x1
	.p2align	6
.LBB24_6:                               ;   Parent Loop BB24_3 Depth=1
                                        ; =>  This Inner Loop Header: Depth=2
	s_clause 0x1
	s_load_b32 s19, s[2:3], 0x0
	s_load_b32 s35, s[2:3], 0x64
	v_mov_b32_e32 v7, v3
	s_add_i32 s18, s18, -1
	s_waitcnt lgkmcnt(0)
	v_cvt_f32_u32_e32 v5, s19
	s_sub_i32 s36, 0, s19
	s_add_u32 s2, s2, -4
	s_addc_u32 s3, s3, -1
	s_cmp_gt_u32 s18, 2
	v_rcp_iflag_f32_e32 v5, v5
	s_waitcnt_depctr 0xfff
	v_mul_f32_e32 v5, 0x4f7ffffe, v5
	s_delay_alu instid0(VALU_DEP_1) | instskip(NEXT) | instid1(VALU_DEP_1)
	v_cvt_u32_f32_e32 v5, v5
	v_mul_lo_u32 v6, s36, v5
	s_delay_alu instid0(VALU_DEP_1) | instskip(NEXT) | instid1(VALU_DEP_1)
	v_mul_hi_u32 v6, v5, v6
	v_add_nc_u32_e32 v3, v5, v6
	s_delay_alu instid0(VALU_DEP_1) | instskip(NEXT) | instid1(VALU_DEP_1)
	v_mul_hi_u32 v3, v7, v3
	v_add_nc_u32_e32 v6, 1, v3
	v_mul_lo_u32 v5, v3, s19
	s_delay_alu instid0(VALU_DEP_1) | instskip(NEXT) | instid1(VALU_DEP_1)
	v_sub_nc_u32_e32 v5, v7, v5
	v_subrev_nc_u32_e32 v8, s19, v5
	v_cmp_le_u32_e32 vcc_lo, s19, v5
	v_cndmask_b32_e32 v3, v3, v6, vcc_lo
	s_delay_alu instid0(VALU_DEP_1) | instskip(NEXT) | instid1(VALU_DEP_1)
	v_dual_cndmask_b32 v5, v5, v8 :: v_dual_add_nc_u32 v6, 1, v3
	v_cmp_le_u32_e32 vcc_lo, s19, v5
	s_delay_alu instid0(VALU_DEP_2) | instskip(NEXT) | instid1(VALU_DEP_1)
	v_cndmask_b32_e32 v3, v3, v6, vcc_lo
	v_mul_lo_u32 v5, v3, s19
	s_delay_alu instid0(VALU_DEP_1) | instskip(NEXT) | instid1(VALU_DEP_1)
	v_sub_nc_u32_e32 v7, v7, v5
	v_mad_u64_u32 v[5:6], null, s35, v7, v[0:1]
	s_delay_alu instid0(VALU_DEP_1)
	v_mov_b32_e32 v0, v5
	s_cbranch_scc1 .LBB24_6
.LBB24_7:                               ;   in Loop: Header=BB24_3 Depth=1
	s_set_inst_prefetch_distance 0x2
	s_delay_alu instid0(VALU_DEP_1) | instskip(NEXT) | instid1(VALU_DEP_1)
	v_mad_u64_u32 v[5:6], null, s22, v3, v[0:1]
	v_mov_b32_e32 v3, v5
.LBB24_8:                               ;   in Loop: Header=BB24_3 Depth=1
	s_or_b32 exec_lo, exec_lo, s1
	v_mov_b32_e32 v5, 0
	v_mov_b32_e32 v6, 0
	v_cmp_lt_i32_e64 s1, 1, v31
	s_delay_alu instid0(VALU_DEP_1)
	s_and_saveexec_b32 s18, s1
	s_cbranch_execz .LBB24_13
; %bb.9:                                ;   in Loop: Header=BB24_3 Depth=1
	v_or_b32_e32 v7, 1, v28
	v_mov_b32_e32 v0, 0
	s_and_not1_b32 vcc_lo, exec_lo, s23
	s_cbranch_vccnz .LBB24_12
; %bb.10:                               ;   in Loop: Header=BB24_3 Depth=1
	v_mov_b32_e32 v0, 0
	s_mov_b64 s[2:3], s[16:17]
	s_mov_b32 s19, s26
	s_set_inst_prefetch_distance 0x1
	.p2align	6
.LBB24_11:                              ;   Parent Loop BB24_3 Depth=1
                                        ; =>  This Inner Loop Header: Depth=2
	s_clause 0x1
	s_load_b32 s35, s[2:3], 0x0
	s_load_b32 s36, s[2:3], 0x64
	s_add_i32 s19, s19, -1
	v_mov_b32_e32 v8, v7
	s_waitcnt lgkmcnt(0)
	v_cvt_f32_u32_e32 v5, s35
	s_sub_i32 s37, 0, s35
	s_add_u32 s2, s2, -4
	s_addc_u32 s3, s3, -1
	s_cmp_gt_u32 s19, 2
	v_rcp_iflag_f32_e32 v5, v5
	s_waitcnt_depctr 0xfff
	v_mul_f32_e32 v5, 0x4f7ffffe, v5
	s_delay_alu instid0(VALU_DEP_1) | instskip(NEXT) | instid1(VALU_DEP_1)
	v_cvt_u32_f32_e32 v5, v5
	v_mul_lo_u32 v6, s37, v5
	s_delay_alu instid0(VALU_DEP_1) | instskip(NEXT) | instid1(VALU_DEP_1)
	v_mul_hi_u32 v6, v5, v6
	v_add_nc_u32_e32 v5, v5, v6
	s_delay_alu instid0(VALU_DEP_1) | instskip(NEXT) | instid1(VALU_DEP_1)
	v_mul_hi_u32 v5, v8, v5
	v_mul_lo_u32 v6, v5, s35
	v_add_nc_u32_e32 v7, 1, v5
	s_delay_alu instid0(VALU_DEP_2) | instskip(NEXT) | instid1(VALU_DEP_1)
	v_sub_nc_u32_e32 v6, v8, v6
	v_subrev_nc_u32_e32 v9, s35, v6
	v_cmp_le_u32_e32 vcc_lo, s35, v6
	s_delay_alu instid0(VALU_DEP_2) | instskip(NEXT) | instid1(VALU_DEP_1)
	v_dual_cndmask_b32 v5, v5, v7 :: v_dual_cndmask_b32 v6, v6, v9
	v_add_nc_u32_e32 v7, 1, v5
	s_delay_alu instid0(VALU_DEP_2) | instskip(NEXT) | instid1(VALU_DEP_2)
	v_cmp_le_u32_e32 vcc_lo, s35, v6
	v_cndmask_b32_e32 v7, v5, v7, vcc_lo
	s_delay_alu instid0(VALU_DEP_1) | instskip(NEXT) | instid1(VALU_DEP_1)
	v_mul_lo_u32 v5, v7, s35
	v_sub_nc_u32_e32 v8, v8, v5
	s_delay_alu instid0(VALU_DEP_1) | instskip(NEXT) | instid1(VALU_DEP_1)
	v_mad_u64_u32 v[5:6], null, s36, v8, v[0:1]
	v_mov_b32_e32 v0, v5
	s_cbranch_scc1 .LBB24_11
.LBB24_12:                              ;   in Loop: Header=BB24_3 Depth=1
	s_set_inst_prefetch_distance 0x2
	s_delay_alu instid0(VALU_DEP_1)
	v_mad_u64_u32 v[5:6], null, s22, v7, v[0:1]
	v_mov_b32_e32 v6, v4
.LBB24_13:                              ;   in Loop: Header=BB24_3 Depth=1
	s_or_b32 exec_lo, exec_lo, s18
	v_mov_b32_e32 v7, 0
	v_mov_b32_e32 v8, 0
	v_cmp_lt_i32_e64 s2, 2, v31
	s_delay_alu instid0(VALU_DEP_1)
	s_and_saveexec_b32 s3, s2
	s_cbranch_execz .LBB24_18
; %bb.14:                               ;   in Loop: Header=BB24_3 Depth=1
	v_or_b32_e32 v9, 2, v28
	v_mov_b32_e32 v0, 0
	s_and_not1_b32 vcc_lo, exec_lo, s23
	s_cbranch_vccnz .LBB24_17
; %bb.15:                               ;   in Loop: Header=BB24_3 Depth=1
	v_mov_b32_e32 v0, 0
	s_mov_b64 s[18:19], s[16:17]
	s_mov_b32 s35, s26
	s_set_inst_prefetch_distance 0x1
	.p2align	6
.LBB24_16:                              ;   Parent Loop BB24_3 Depth=1
                                        ; =>  This Inner Loop Header: Depth=2
	s_clause 0x1
	s_load_b32 s36, s[18:19], 0x0
	s_load_b32 s37, s[18:19], 0x64
	s_add_i32 s35, s35, -1
	v_mov_b32_e32 v10, v9
	s_waitcnt lgkmcnt(0)
	v_cvt_f32_u32_e32 v7, s36
	s_sub_i32 s38, 0, s36
	s_add_u32 s18, s18, -4
	s_addc_u32 s19, s19, -1
	s_cmp_gt_u32 s35, 2
	v_rcp_iflag_f32_e32 v7, v7
	s_waitcnt_depctr 0xfff
	v_mul_f32_e32 v7, 0x4f7ffffe, v7
	s_delay_alu instid0(VALU_DEP_1) | instskip(NEXT) | instid1(VALU_DEP_1)
	v_cvt_u32_f32_e32 v7, v7
	v_mul_lo_u32 v8, s38, v7
	s_delay_alu instid0(VALU_DEP_1) | instskip(NEXT) | instid1(VALU_DEP_1)
	v_mul_hi_u32 v8, v7, v8
	v_add_nc_u32_e32 v7, v7, v8
	s_delay_alu instid0(VALU_DEP_1) | instskip(NEXT) | instid1(VALU_DEP_1)
	v_mul_hi_u32 v7, v10, v7
	v_mul_lo_u32 v8, v7, s36
	v_add_nc_u32_e32 v9, 1, v7
	s_delay_alu instid0(VALU_DEP_2) | instskip(NEXT) | instid1(VALU_DEP_1)
	v_sub_nc_u32_e32 v8, v10, v8
	v_subrev_nc_u32_e32 v11, s36, v8
	v_cmp_le_u32_e32 vcc_lo, s36, v8
	s_delay_alu instid0(VALU_DEP_2) | instskip(NEXT) | instid1(VALU_DEP_1)
	v_dual_cndmask_b32 v7, v7, v9 :: v_dual_cndmask_b32 v8, v8, v11
	v_add_nc_u32_e32 v9, 1, v7
	s_delay_alu instid0(VALU_DEP_2) | instskip(NEXT) | instid1(VALU_DEP_2)
	v_cmp_le_u32_e32 vcc_lo, s36, v8
	v_cndmask_b32_e32 v9, v7, v9, vcc_lo
	s_delay_alu instid0(VALU_DEP_1) | instskip(NEXT) | instid1(VALU_DEP_1)
	v_mul_lo_u32 v7, v9, s36
	v_sub_nc_u32_e32 v10, v10, v7
	s_delay_alu instid0(VALU_DEP_1) | instskip(NEXT) | instid1(VALU_DEP_1)
	v_mad_u64_u32 v[7:8], null, s37, v10, v[0:1]
	v_mov_b32_e32 v0, v7
	s_cbranch_scc1 .LBB24_16
.LBB24_17:                              ;   in Loop: Header=BB24_3 Depth=1
	s_set_inst_prefetch_distance 0x2
	s_delay_alu instid0(VALU_DEP_1)
	v_mad_u64_u32 v[7:8], null, s22, v9, v[0:1]
	v_mov_b32_e32 v8, v4
.LBB24_18:                              ;   in Loop: Header=BB24_3 Depth=1
	s_or_b32 exec_lo, exec_lo, s3
	v_mul_lo_u32 v30, v28, s21
	v_mov_b32_e32 v9, 0
	s_mov_b32 s3, exec_lo
	s_delay_alu instid0(VALU_DEP_2) | instskip(NEXT) | instid1(VALU_DEP_1)
	v_add_nc_u32_e32 v32, s21, v30
	v_dual_mov_b32 v10, 0 :: v_dual_add_nc_u32 v33, s21, v32
	s_delay_alu instid0(VALU_DEP_1)
	v_dual_mov_b32 v12, v10 :: v_dual_mov_b32 v11, v9
	v_cmpx_lt_i32_e32 3, v31
	s_cbranch_execz .LBB24_23
; %bb.19:                               ;   in Loop: Header=BB24_3 Depth=1
	v_or_b32_e32 v11, 3, v28
	v_mov_b32_e32 v0, 0
	s_and_not1_b32 vcc_lo, exec_lo, s23
	s_cbranch_vccnz .LBB24_22
; %bb.20:                               ;   in Loop: Header=BB24_3 Depth=1
	v_mov_b32_e32 v0, 0
	s_mov_b64 s[18:19], s[16:17]
	s_mov_b32 s35, s26
	s_set_inst_prefetch_distance 0x1
	.p2align	6
.LBB24_21:                              ;   Parent Loop BB24_3 Depth=1
                                        ; =>  This Inner Loop Header: Depth=2
	s_clause 0x1
	s_load_b32 s36, s[18:19], 0x0
	s_load_b32 s37, s[18:19], 0x64
	s_add_i32 s35, s35, -1
	v_mov_b32_e32 v12, v11
	s_waitcnt lgkmcnt(0)
	v_cvt_f32_u32_e32 v9, s36
	s_sub_i32 s38, 0, s36
	s_add_u32 s18, s18, -4
	s_addc_u32 s19, s19, -1
	s_cmp_gt_u32 s35, 2
	v_rcp_iflag_f32_e32 v9, v9
	s_waitcnt_depctr 0xfff
	v_mul_f32_e32 v9, 0x4f7ffffe, v9
	s_delay_alu instid0(VALU_DEP_1) | instskip(NEXT) | instid1(VALU_DEP_1)
	v_cvt_u32_f32_e32 v9, v9
	v_mul_lo_u32 v10, s38, v9
	s_delay_alu instid0(VALU_DEP_1) | instskip(NEXT) | instid1(VALU_DEP_1)
	v_mul_hi_u32 v10, v9, v10
	v_add_nc_u32_e32 v9, v9, v10
	s_delay_alu instid0(VALU_DEP_1) | instskip(NEXT) | instid1(VALU_DEP_1)
	v_mul_hi_u32 v9, v12, v9
	v_mul_lo_u32 v10, v9, s36
	v_add_nc_u32_e32 v11, 1, v9
	s_delay_alu instid0(VALU_DEP_2) | instskip(NEXT) | instid1(VALU_DEP_1)
	v_sub_nc_u32_e32 v10, v12, v10
	v_subrev_nc_u32_e32 v13, s36, v10
	v_cmp_le_u32_e32 vcc_lo, s36, v10
	s_delay_alu instid0(VALU_DEP_2) | instskip(NEXT) | instid1(VALU_DEP_1)
	v_dual_cndmask_b32 v9, v9, v11 :: v_dual_cndmask_b32 v10, v10, v13
	v_add_nc_u32_e32 v11, 1, v9
	s_delay_alu instid0(VALU_DEP_2) | instskip(NEXT) | instid1(VALU_DEP_2)
	v_cmp_le_u32_e32 vcc_lo, s36, v10
	v_cndmask_b32_e32 v11, v9, v11, vcc_lo
	s_delay_alu instid0(VALU_DEP_1) | instskip(NEXT) | instid1(VALU_DEP_1)
	v_mul_lo_u32 v9, v11, s36
	v_sub_nc_u32_e32 v12, v12, v9
	s_delay_alu instid0(VALU_DEP_1) | instskip(NEXT) | instid1(VALU_DEP_1)
	v_mad_u64_u32 v[9:10], null, s37, v12, v[0:1]
	v_mov_b32_e32 v0, v9
	s_cbranch_scc1 .LBB24_21
.LBB24_22:                              ;   in Loop: Header=BB24_3 Depth=1
	s_set_inst_prefetch_distance 0x2
	s_delay_alu instid0(VALU_DEP_1)
	v_mad_u64_u32 v[9:10], null, s22, v11, v[0:1]
	v_dual_mov_b32 v12, v4 :: v_dual_add_nc_u32 v11, s21, v33
	v_mov_b32_e32 v10, v4
.LBB24_23:                              ;   in Loop: Header=BB24_3 Depth=1
	s_or_b32 exec_lo, exec_lo, s3
	s_delay_alu instid0(VALU_DEP_1) | instskip(SKIP_2) | instid1(VALU_DEP_3)
	v_lshlrev_b64 v[9:10], 2, v[9:10]
	v_dual_mov_b32 v16, s7 :: v_dual_mov_b32 v15, s6
	v_dual_mov_b32 v18, s5 :: v_dual_mov_b32 v17, s4
	v_add_co_u32 v9, vcc_lo, s12, v9
	s_delay_alu instid0(VALU_DEP_4)
	v_add_co_ci_u32_e32 v10, vcc_lo, s13, v10, vcc_lo
	s_and_not1_b32 vcc_lo, exec_lo, s24
	global_load_b32 v0, v[9:10], off
	s_cbranch_vccnz .LBB24_25
; %bb.24:                               ;   in Loop: Header=BB24_3 Depth=1
	v_dual_mov_b32 v10, s7 :: v_dual_mov_b32 v9, s6
	v_dual_mov_b32 v14, s5 :: v_dual_mov_b32 v13, s4
	flat_load_b64 v[9:10], v[9:10]
	flat_load_b64 v[17:18], v[13:14]
	s_waitcnt vmcnt(1) lgkmcnt(1)
	v_add_co_u32 v15, vcc_lo, v9, s8
	v_add_co_ci_u32_e32 v16, vcc_lo, s9, v10, vcc_lo
.LBB24_25:                              ;   in Loop: Header=BB24_3 Depth=1
	s_delay_alu instid0(VALU_DEP_1)
	v_alignbit_b32 v19, v16, v15, 2
	v_lshrrev_b32_e32 v13, 2, v16
	s_waitcnt vmcnt(0) lgkmcnt(0)
	v_add_nc_u32_e32 v34, 0x9e3779b9, v17
	v_add_nc_u32_e32 v36, 0x3c6ef372, v17
	;; [unrolled: 1-line block ×3, first 2 shown]
	v_add_co_u32 v14, vcc_lo, v19, 1
	s_delay_alu instid0(VALU_DEP_1) | instskip(SKIP_4) | instid1(VALU_DEP_4)
	v_cndmask_b32_e64 v9, 0, 1, vcc_lo
	v_add_co_ci_u32_e32 v16, vcc_lo, 0, v13, vcc_lo
	v_xor3_b32 v21, v29, v17, v13
	v_add_nc_u32_e32 v38, 0x32370b8f, v18
	v_add_nc_u32_e32 v39, 0xed9eba14, v18
	v_cmp_eq_u32_e32 vcc_lo, 0, v16
	v_add_nc_u32_e32 v40, 0x1fd5c5a3, v18
	s_mov_b32 s3, exec_lo
	v_dual_cndmask_b32 v20, 0, v9 :: v_dual_add_nc_u32 v35, 0xbb67ae85, v18
	v_mad_u64_u32 v[9:10], null, 0xd2511f53, v14, 0
	v_mad_u64_u32 v[13:14], null, 0xd2511f53, v19, 0
	s_delay_alu instid0(VALU_DEP_3) | instskip(NEXT) | instid1(VALU_DEP_3)
	v_add_nc_u32_e32 v23, v20, v1
	v_xor_b32_e32 v10, v10, v18
	s_delay_alu instid0(VALU_DEP_2) | instskip(SKIP_1) | instid1(VALU_DEP_1)
	v_cmp_eq_u32_e32 vcc_lo, 0, v23
	v_cndmask_b32_e32 v20, 0, v20, vcc_lo
	v_xor_b32_e32 v10, v20, v10
	v_mad_u64_u32 v[19:20], null, 0xd2511f53, v21, 0
	v_mad_u64_u32 v[21:22], null, 0xcd9e8d57, v23, 0
	s_delay_alu instid0(VALU_DEP_3) | instskip(SKIP_1) | instid1(VALU_DEP_4)
	v_mad_u64_u32 v[23:24], null, 0xcd9e8d57, v10, 0
	v_xor_b32_e32 v10, v14, v18
	v_xor3_b32 v25, v35, v20, v13
	s_delay_alu instid0(VALU_DEP_2) | instskip(SKIP_2) | instid1(VALU_DEP_4)
	v_mad_u64_u32 v[13:14], null, 0xcd9e8d57, v10, 0
	v_xor3_b32 v10, v22, v17, v16
	v_xor3_b32 v16, v34, v24, v21
	v_mad_u64_u32 v[20:21], null, 0xcd9e8d57, v25, 0
	s_delay_alu instid0(VALU_DEP_3) | instskip(NEXT) | instid1(VALU_DEP_3)
	v_mad_u64_u32 v[24:25], null, 0xd2511f53, v10, 0
	v_mad_u64_u32 v[26:27], null, 0xd2511f53, v16, 0
	v_xor3_b32 v10, v2, v14, v34
	s_delay_alu instid0(VALU_DEP_4) | instskip(SKIP_2) | instid1(VALU_DEP_4)
	v_xor3_b32 v21, v36, v21, v13
	v_add_nc_u32_e32 v16, 0xdaa66d2b, v17
	v_xor3_b32 v25, v35, v25, v9
	v_mad_u64_u32 v[13:14], null, 0xd2511f53, v10, 0
	v_xor3_b32 v27, v37, v27, v24
	v_mad_u64_u32 v[9:10], null, 0xd2511f53, v21, 0
	s_delay_alu instid0(VALU_DEP_4) | instskip(NEXT) | instid1(VALU_DEP_3)
	v_mad_u64_u32 v[21:22], null, 0xcd9e8d57, v25, 0
	v_mad_u64_u32 v[24:25], null, 0xcd9e8d57, v27, 0
	v_xor3_b32 v19, v37, v14, v19
	v_add_nc_u32_e32 v27, 0x78dde6e4, v17
	v_xor3_b32 v10, v38, v10, v13
	s_delay_alu instid0(VALU_DEP_3) | instskip(SKIP_2) | instid1(VALU_DEP_4)
	v_mad_u64_u32 v[13:14], null, 0xcd9e8d57, v19, 0
	v_xor3_b32 v19, v36, v22, v23
	v_xor3_b32 v23, v16, v25, v21
	v_mad_u64_u32 v[21:22], null, 0xcd9e8d57, v10, 0
	s_delay_alu instid0(VALU_DEP_3) | instskip(NEXT) | instid1(VALU_DEP_3)
	v_mad_u64_u32 v[34:35], null, 0xd2511f53, v19, 0
	v_mad_u64_u32 v[36:37], null, 0xd2511f53, v23, 0
	v_xor3_b32 v10, v16, v14, v20
	s_delay_alu instid0(VALU_DEP_4) | instskip(SKIP_2) | instid1(VALU_DEP_4)
	v_xor3_b32 v19, v27, v22, v13
	v_add_nc_u32_e32 v16, 0x1715609d, v17
	v_add_nc_u32_e32 v23, 0xa9066899, v18
	v_mad_u64_u32 v[13:14], null, 0xd2511f53, v10, 0
	v_xor3_b32 v10, v38, v35, v26
	v_xor3_b32 v22, v39, v37, v34
	v_mad_u64_u32 v[25:26], null, 0xd2511f53, v19, 0
	v_add_nc_u32_e32 v35, 0xb54cda56, v17
	s_delay_alu instid0(VALU_DEP_4) | instskip(NEXT) | instid1(VALU_DEP_4)
	v_mad_u64_u32 v[19:20], null, 0xcd9e8d57, v10, 0
	v_mad_u64_u32 v[37:38], null, 0xcd9e8d57, v22, 0
	v_xor3_b32 v14, v39, v14, v9
	v_xor3_b32 v22, v23, v26, v13
	v_add_nc_u32_e32 v34, 0x646e171e, v18
	v_xor3_b32 v24, v27, v20, v24
	s_delay_alu instid0(VALU_DEP_4) | instskip(SKIP_2) | instid1(VALU_DEP_4)
	v_mad_u64_u32 v[9:10], null, 0xcd9e8d57, v14, 0
	v_xor3_b32 v26, v16, v38, v19
	v_mad_u64_u32 v[13:14], null, 0xcd9e8d57, v22, 0
	v_mad_u64_u32 v[19:20], null, 0xd2511f53, v24, 0
	s_delay_alu instid0(VALU_DEP_3) | instskip(SKIP_3) | instid1(VALU_DEP_3)
	v_mad_u64_u32 v[38:39], null, 0xd2511f53, v26, 0
	v_xor3_b32 v16, v16, v10, v21
	v_add_nc_u32_e32 v24, 0x5384540f, v17
	v_xor3_b32 v14, v35, v14, v9
	v_mad_u64_u32 v[9:10], null, 0xd2511f53, v16, 0
	v_xor3_b32 v16, v23, v20, v36
	v_xor3_b32 v21, v34, v39, v19
	s_delay_alu instid0(VALU_DEP_4) | instskip(NEXT) | instid1(VALU_DEP_3)
	v_mad_u64_u32 v[19:20], null, 0xd2511f53, v14, 0
	v_mad_u64_u32 v[26:27], null, 0xcd9e8d57, v16, 0
	s_delay_alu instid0(VALU_DEP_3) | instskip(SKIP_1) | instid1(VALU_DEP_4)
	v_mad_u64_u32 v[22:23], null, 0xcd9e8d57, v21, 0
	v_xor3_b32 v14, v34, v10, v25
	v_xor3_b32 v16, v40, v20, v9
	v_add_co_u32 v34, null, 0xf1bbcdc8, v17
	s_delay_alu instid0(VALU_DEP_3) | instskip(SKIP_4) | instid1(VALU_DEP_4)
	v_mad_u64_u32 v[9:10], null, 0xcd9e8d57, v14, 0
	v_xor3_b32 v14, v35, v27, v37
	v_xor3_b32 v23, v24, v23, v26
	v_mad_u64_u32 v[20:21], null, 0xcd9e8d57, v16, 0
	v_add_nc_u32_e32 v35, 0xdb3d7428, v18
	v_mad_u64_u32 v[36:37], null, 0xd2511f53, v14, 0
	s_delay_alu instid0(VALU_DEP_4) | instskip(SKIP_4) | instid1(VALU_DEP_4)
	v_mad_u64_u32 v[25:26], null, 0xd2511f53, v23, 0
	v_xor3_b32 v10, v24, v10, v13
	v_xor3_b32 v13, v34, v21, v9
	v_add_nc_u32_e32 v21, 0x8ff34781, v17
	v_xor3_b32 v14, v40, v37, v38
	v_mad_u64_u32 v[23:24], null, 0xd2511f53, v10, 0
	v_xor3_b32 v16, v35, v26, v36
	v_mad_u64_u32 v[9:10], null, 0xd2511f53, v13, 0
	s_delay_alu instid0(VALU_DEP_4) | instskip(NEXT) | instid1(VALU_DEP_3)
	v_mad_u64_u32 v[26:27], null, 0xcd9e8d57, v14, 0
	v_mad_u64_u32 v[13:14], null, 0xcd9e8d57, v16, 0
	v_add_nc_u32_e32 v36, 0x96a522ad, v18
	v_and_b32_e32 v18, 3, v15
                                        ; implicit-def: $vgpr16
	s_delay_alu instid0(VALU_DEP_2) | instskip(NEXT) | instid1(VALU_DEP_4)
	v_xor3_b32 v17, v10, v23, v36
	v_xor3_b32 v10, v14, v26, v21
	s_delay_alu instid0(VALU_DEP_3)
	v_cmpx_lt_i32_e32 1, v18
	s_xor_b32 s3, exec_lo, s3
	s_cbranch_execz .LBB24_31
; %bb.26:                               ;   in Loop: Header=BB24_3 Depth=1
	s_mov_b32 s18, exec_lo
                                        ; implicit-def: $vgpr16
	v_cmpx_lt_i32_e32 2, v18
	s_xor_b32 s18, exec_lo, s18
; %bb.27:                               ;   in Loop: Header=BB24_3 Depth=1
	v_xor3_b32 v14, v34, v27, v22
                                        ; implicit-def: $vgpr17
	s_delay_alu instid0(VALU_DEP_1) | instskip(NEXT) | instid1(VALU_DEP_1)
	v_mul_hi_u32 v14, 0xd2511f53, v14
	v_xor3_b32 v16, v14, v25, v36
; %bb.28:                               ;   in Loop: Header=BB24_3 Depth=1
	s_and_not1_saveexec_b32 s18, s18
; %bb.29:                               ;   in Loop: Header=BB24_3 Depth=1
	v_dual_mov_b32 v16, v13 :: v_dual_mov_b32 v13, v10
	v_mov_b32_e32 v10, v9
	v_mov_b32_e32 v9, v17
; %bb.30:                               ;   in Loop: Header=BB24_3 Depth=1
	s_or_b32 exec_lo, exec_lo, s18
                                        ; implicit-def: $vgpr19_vgpr20
                                        ; implicit-def: $vgpr18
                                        ; implicit-def: $vgpr17
                                        ; implicit-def: $vgpr35
                                        ; implicit-def: $vgpr23_vgpr24
                                        ; implicit-def: $vgpr20_vgpr21
                                        ; implicit-def: $vgpr21
.LBB24_31:                              ;   in Loop: Header=BB24_3 Depth=1
	s_and_not1_saveexec_b32 s3, s3
	s_cbranch_execz .LBB24_35
; %bb.32:                               ;   in Loop: Header=BB24_3 Depth=1
	v_xor3_b32 v13, v35, v24, v19
	v_cmp_eq_u32_e32 vcc_lo, 1, v18
	s_delay_alu instid0(VALU_DEP_2) | instskip(SKIP_2) | instid1(VALU_DEP_3)
	v_mad_u64_u32 v[14:15], null, 0xcd9e8d57, v13, 0
	v_mov_b32_e32 v16, v9
	v_mov_b32_e32 v13, v17
	v_xor3_b32 v18, v15, v20, v21
	s_delay_alu instid0(VALU_DEP_4)
	v_mov_b32_e32 v15, v14
	s_and_saveexec_b32 s18, vcc_lo
; %bb.33:                               ;   in Loop: Header=BB24_3 Depth=1
	v_dual_mov_b32 v16, v10 :: v_dual_mov_b32 v13, v9
	v_dual_mov_b32 v15, v17 :: v_dual_mov_b32 v18, v14
; %bb.34:                               ;   in Loop: Header=BB24_3 Depth=1
	s_or_b32 exec_lo, exec_lo, s18
	s_delay_alu instid0(VALU_DEP_1)
	v_dual_mov_b32 v9, v18 :: v_dual_mov_b32 v10, v15
.LBB24_35:                              ;   in Loop: Header=BB24_3 Depth=1
	s_or_b32 exec_lo, exec_lo, s3
	v_min_i32_e32 v14, 4, v31
	s_mov_b32 s18, 0
	s_mov_b32 s38, 0
	;; [unrolled: 1-line block ×3, first 2 shown]
	s_mov_b32 s37, exec_lo
                                        ; implicit-def: $sgpr19
                                        ; implicit-def: $sgpr35
                                        ; implicit-def: $sgpr36
	v_cmpx_lt_i32_e32 2, v14
	s_xor_b32 s37, exec_lo, s37
	s_cbranch_execz .LBB24_47
; %bb.36:                               ;   in Loop: Header=BB24_3 Depth=1
	s_mov_b32 s3, -1
	s_mov_b32 s40, 0
	s_mov_b32 s35, exec_lo
                                        ; implicit-def: $sgpr19
                                        ; implicit-def: $sgpr39
	v_cmpx_lt_i32_e32 3, v14
	s_cbranch_execz .LBB24_42
; %bb.37:                               ;   in Loop: Header=BB24_3 Depth=1
	s_mov_b32 s3, 0
	s_mov_b32 s40, -1
	s_mov_b32 s36, exec_lo
                                        ; implicit-def: $sgpr19
                                        ; implicit-def: $sgpr39
	v_cmpx_eq_u32_e32 4, v14
	s_cbranch_execz .LBB24_41
; %bb.38:                               ;   in Loop: Header=BB24_3 Depth=1
	v_cmp_le_f32_e32 vcc_lo, 0, v0
	v_cmp_ge_f32_e64 s3, 1.0, v0
	s_mov_b32 s19, 0
	s_delay_alu instid0(VALU_DEP_1)
	s_and_b32 s40, vcc_lo, s3
	s_mov_b32 s3, 0
	s_and_saveexec_b32 s39, s40
	s_cbranch_execz .LBB24_40
; %bb.39:                               ;   in Loop: Header=BB24_3 Depth=1
	v_cvt_f32_u32_e32 v15, v16
	v_add_co_u32 v11, vcc_lo, s10, v11
	v_add_co_ci_u32_e32 v12, vcc_lo, s11, v12, vcc_lo
	s_delay_alu instid0(VALU_DEP_3) | instskip(SKIP_1) | instid1(VALU_DEP_1)
	v_fmaak_f32 v15, 0x2f800000, v15, 0x2f800000
	s_mov_b32 s3, exec_lo
	v_cmp_le_f32_e32 vcc_lo, v15, v0
	v_cndmask_b32_e64 v0, 0, 1, vcc_lo
	global_store_b8 v[11:12], v0, off
.LBB24_40:                              ;   in Loop: Header=BB24_3 Depth=1
	s_or_b32 exec_lo, exec_lo, s39
	s_mov_b32 s39, -1
	s_xor_b32 s40, exec_lo, -1
	s_and_b32 s3, s3, exec_lo
.LBB24_41:                              ;   in Loop: Header=BB24_3 Depth=1
	s_or_b32 exec_lo, exec_lo, s36
	s_delay_alu instid0(SALU_CYCLE_1)
	s_and_b32 s40, s40, exec_lo
	s_or_not1_b32 s3, s3, exec_lo
.LBB24_42:                              ;   in Loop: Header=BB24_3 Depth=1
	s_or_b32 exec_lo, exec_lo, s35
	s_mov_b32 s36, s19
	s_and_saveexec_b32 s35, s3
	s_cbranch_execz .LBB24_46
; %bb.43:                               ;   in Loop: Header=BB24_3 Depth=1
	v_lshlrev_b64 v[7:8], 2, v[7:8]
	s_delay_alu instid0(VALU_DEP_1) | instskip(NEXT) | instid1(VALU_DEP_2)
	v_add_co_u32 v7, vcc_lo, s12, v7
	v_add_co_ci_u32_e32 v8, vcc_lo, s13, v8, vcc_lo
	global_load_b32 v0, v[7:8], off
	s_waitcnt vmcnt(0)
	v_cmp_le_f32_e32 vcc_lo, 0, v0
	v_cmp_ge_f32_e64 s3, 1.0, v0
	s_delay_alu instid0(VALU_DEP_1) | instskip(SKIP_2) | instid1(SALU_CYCLE_1)
	s_and_b32 s36, vcc_lo, s3
	s_mov_b32 s3, 0
	s_and_saveexec_b32 s38, s36
	s_xor_b32 s36, exec_lo, s38
	s_cbranch_execz .LBB24_45
; %bb.44:                               ;   in Loop: Header=BB24_3 Depth=1
	v_cvt_f32_u32_e32 v7, v13
	v_cndmask_b32_e64 v8, 0, v33, s2
	s_mov_b32 s3, exec_lo
	s_delay_alu instid0(VALU_DEP_2) | instskip(NEXT) | instid1(VALU_DEP_1)
	v_fmaak_f32 v7, 0x2f800000, v7, 0x2f800000
	v_cmp_le_f32_e32 vcc_lo, v7, v0
	v_cndmask_b32_e64 v0, 0, 1, vcc_lo
	global_store_b8 v8, v0, s[10:11]
.LBB24_45:                              ;   in Loop: Header=BB24_3 Depth=1
	s_or_b32 exec_lo, exec_lo, s36
	s_delay_alu instid0(SALU_CYCLE_1)
	s_and_not1_b32 s36, s19, exec_lo
	s_or_b32 s19, s19, exec_lo
	s_and_not1_b32 s39, s39, exec_lo
	s_and_b32 s38, s3, exec_lo
.LBB24_46:                              ;   in Loop: Header=BB24_3 Depth=1
	s_or_b32 exec_lo, exec_lo, s35
	s_delay_alu instid0(SALU_CYCLE_1)
	s_and_b32 s36, s36, exec_lo
	s_and_b32 s35, s19, exec_lo
	;; [unrolled: 1-line block ×5, first 2 shown]
.LBB24_47:                              ;   in Loop: Header=BB24_3 Depth=1
	s_and_not1_saveexec_b32 s2, s37
; %bb.48:                               ;   in Loop: Header=BB24_3 Depth=1
	v_cmp_lt_i32_e32 vcc_lo, 1, v14
	s_and_not1_b32 s37, s38, exec_lo
	s_mov_b32 s18, exec_lo
	s_and_not1_b32 s36, s36, exec_lo
	s_and_not1_b32 s35, s35, exec_lo
	s_and_b32 s38, vcc_lo, exec_lo
	s_and_not1_b32 s19, s19, exec_lo
	s_or_b32 s38, s37, s38
; %bb.49:                               ;   in Loop: Header=BB24_3 Depth=1
	s_or_b32 exec_lo, exec_lo, s2
	s_mov_b32 s37, 0
	s_mov_b32 s2, s36
	s_and_saveexec_b32 s39, s38
	s_cbranch_execnz .LBB24_52
; %bb.50:                               ;   in Loop: Header=BB24_3 Depth=1
	s_or_b32 exec_lo, exec_lo, s39
	s_and_saveexec_b32 s1, s18
	s_cbranch_execnz .LBB24_55
.LBB24_51:                              ;   in Loop: Header=BB24_3 Depth=1
	s_or_b32 exec_lo, exec_lo, s1
	s_and_saveexec_b32 s18, s37
	s_cbranch_execnz .LBB24_56
	s_branch .LBB24_59
.LBB24_52:                              ;   in Loop: Header=BB24_3 Depth=1
	v_lshlrev_b64 v[5:6], 2, v[5:6]
	s_delay_alu instid0(VALU_DEP_1) | instskip(NEXT) | instid1(VALU_DEP_2)
	v_add_co_u32 v5, vcc_lo, s12, v5
	v_add_co_ci_u32_e32 v6, vcc_lo, s13, v6, vcc_lo
	global_load_b32 v0, v[5:6], off
	s_waitcnt vmcnt(0)
	v_cmp_le_f32_e32 vcc_lo, 0, v0
	v_cmp_ge_f32_e64 s2, 1.0, v0
	s_delay_alu instid0(VALU_DEP_1) | instskip(NEXT) | instid1(SALU_CYCLE_1)
	s_and_b32 s2, vcc_lo, s2
	s_and_saveexec_b32 s38, s2
	s_delay_alu instid0(SALU_CYCLE_1)
	s_xor_b32 s2, exec_lo, s38
	s_cbranch_execz .LBB24_54
; %bb.53:                               ;   in Loop: Header=BB24_3 Depth=1
	v_cvt_f32_u32_e32 v5, v10
	v_cndmask_b32_e64 v6, 0, v32, s1
	s_mov_b32 s37, exec_lo
	s_delay_alu instid0(VALU_DEP_2) | instskip(NEXT) | instid1(VALU_DEP_1)
	v_fmaak_f32 v5, 0x2f800000, v5, 0x2f800000
	v_cmp_le_f32_e32 vcc_lo, v5, v0
	v_cndmask_b32_e64 v0, 0, 1, vcc_lo
	global_store_b8 v6, v0, s[10:11]
.LBB24_54:                              ;   in Loop: Header=BB24_3 Depth=1
	s_or_b32 exec_lo, exec_lo, s2
	s_delay_alu instid0(SALU_CYCLE_1)
	s_and_not1_b32 s2, s36, exec_lo
	s_or_b32 s36, s36, exec_lo
	s_and_not1_b32 s35, s35, exec_lo
	s_and_not1_b32 s19, s19, exec_lo
	s_and_b32 s37, s37, exec_lo
	s_and_not1_b32 s18, s18, exec_lo
	s_or_b32 exec_lo, exec_lo, s39
	s_and_saveexec_b32 s1, s18
	s_cbranch_execz .LBB24_51
.LBB24_55:                              ;   in Loop: Header=BB24_3 Depth=1
	v_cmp_eq_u32_e32 vcc_lo, 1, v14
	s_and_not1_b32 s18, s37, exec_lo
	s_and_not1_b32 s2, s2, exec_lo
	;; [unrolled: 1-line block ×4, first 2 shown]
	s_and_b32 s37, vcc_lo, exec_lo
	s_and_not1_b32 s19, s19, exec_lo
	s_or_b32 s3, s3, exec_lo
	s_or_b32 s37, s18, s37
	s_or_b32 exec_lo, exec_lo, s1
	s_and_saveexec_b32 s18, s37
	s_cbranch_execz .LBB24_59
.LBB24_56:                              ;   in Loop: Header=BB24_3 Depth=1
	v_lshlrev_b64 v[5:6], 2, v[3:4]
	s_mov_b32 s37, 0
	s_delay_alu instid0(VALU_DEP_1) | instskip(NEXT) | instid1(VALU_DEP_2)
	v_add_co_u32 v5, vcc_lo, s12, v5
	v_add_co_ci_u32_e32 v6, vcc_lo, s13, v6, vcc_lo
	global_load_b32 v0, v[5:6], off
	s_waitcnt vmcnt(0)
	v_cmp_le_f32_e32 vcc_lo, 0, v0
	v_cmp_ge_f32_e64 s1, 1.0, v0
	s_delay_alu instid0(VALU_DEP_1) | instskip(NEXT) | instid1(SALU_CYCLE_1)
	s_and_b32 s38, vcc_lo, s1
	s_and_saveexec_b32 s1, s38
	s_cbranch_execz .LBB24_58
; %bb.57:                               ;   in Loop: Header=BB24_3 Depth=1
	v_cvt_f32_u32_e32 v3, v9
	v_cndmask_b32_e64 v5, 0, v30, s0
	s_mov_b32 s37, exec_lo
	s_delay_alu instid0(VALU_DEP_2) | instskip(NEXT) | instid1(VALU_DEP_1)
	v_fmaak_f32 v3, 0x2f800000, v3, 0x2f800000
	v_cmp_le_f32_e32 vcc_lo, v3, v0
	v_cndmask_b32_e64 v0, 0, 1, vcc_lo
	global_store_b8 v5, v0, s[10:11]
.LBB24_58:                              ;   in Loop: Header=BB24_3 Depth=1
	s_or_b32 exec_lo, exec_lo, s1
	s_delay_alu instid0(SALU_CYCLE_1)
	s_and_not1_b32 s0, s3, exec_lo
	s_and_b32 s1, s37, exec_lo
	s_or_b32 s2, s2, exec_lo
	s_and_not1_b32 s36, s36, exec_lo
	s_and_not1_b32 s35, s35, exec_lo
	;; [unrolled: 1-line block ×3, first 2 shown]
	s_or_b32 s3, s0, s1
.LBB24_59:                              ;   in Loop: Header=BB24_3 Depth=1
	s_or_b32 exec_lo, exec_lo, s18
	s_delay_alu instid0(SALU_CYCLE_1)
	s_and_not1_b32 s1, s34, exec_lo
	s_and_b32 s2, s2, exec_lo
	s_and_not1_b32 s18, s31, exec_lo
	s_and_b32 s31, s36, exec_lo
	s_or_b32 s34, s1, s2
	s_or_b32 s31, s18, s31
	s_and_not1_b32 s1, s33, exec_lo
	s_and_b32 s2, s35, exec_lo
	s_and_not1_b32 s18, s30, exec_lo
	s_and_b32 s19, s19, exec_lo
	s_mov_b32 s0, -1
	s_or_b32 s33, s1, s2
	s_or_b32 s30, s18, s19
	s_and_saveexec_b32 s1, s3
	s_cbranch_execz .LBB24_2
; %bb.60:                               ;   in Loop: Header=BB24_3 Depth=1
	v_add_nc_u32_e32 v28, s25, v28
	s_and_not1_b32 s34, s34, exec_lo
	s_and_not1_b32 s31, s31, exec_lo
	s_and_not1_b32 s33, s33, exec_lo
	s_and_not1_b32 s30, s30, exec_lo
	v_cmp_le_u32_e32 vcc_lo, s20, v28
	s_or_not1_b32 s0, vcc_lo, exec_lo
	s_branch .LBB24_2
.LBB24_61:
	s_or_b32 exec_lo, exec_lo, s15
	s_xor_b32 s3, s28, -1
	s_xor_b32 s4, s29, -1
	;; [unrolled: 1-line block ×3, first 2 shown]
	s_mov_b32 s1, 0
	s_and_saveexec_b32 s2, s0
	s_delay_alu instid0(SALU_CYCLE_1)
	s_xor_b32 s0, exec_lo, s2
	s_cbranch_execz .LBB24_70
; %bb.62:
	s_mov_b32 s2, 0
	s_and_saveexec_b32 s1, s4
	s_delay_alu instid0(SALU_CYCLE_1)
	s_xor_b32 s1, exec_lo, s1
	s_cbranch_execz .LBB24_68
; %bb.63:
	s_and_saveexec_b32 s4, s3
	s_delay_alu instid0(SALU_CYCLE_1)
	s_xor_b32 s3, exec_lo, s4
	s_cbranch_execz .LBB24_66
; %bb.64:
	s_and_saveexec_b32 s4, s14
	s_delay_alu instid0(SALU_CYCLE_1)
	s_xor_b32 s4, exec_lo, s4
	s_cbranch_execnz .LBB24_84
.LBB24_65:
	s_or_b32 exec_lo, exec_lo, s4
	s_delay_alu instid0(SALU_CYCLE_1)
	s_and_b32 s2, s2, exec_lo
.LBB24_66:
	s_and_not1_saveexec_b32 s3, s3
	s_cbranch_execnz .LBB24_80
.LBB24_67:
	s_or_b32 exec_lo, exec_lo, s3
	s_delay_alu instid0(SALU_CYCLE_1)
	s_and_b32 s2, s2, exec_lo
.LBB24_68:
	s_and_not1_saveexec_b32 s1, s1
	s_cbranch_execnz .LBB24_76
.LBB24_69:
	s_or_b32 exec_lo, exec_lo, s1
	s_delay_alu instid0(SALU_CYCLE_1)
	s_and_b32 s1, s2, exec_lo
.LBB24_70:
	s_and_not1_saveexec_b32 s0, s0
	s_cbranch_execnz .LBB24_74
; %bb.71:
	s_or_b32 exec_lo, exec_lo, s0
	s_delay_alu instid0(SALU_CYCLE_1)
	s_and_b32 exec_lo, exec_lo, s1
.LBB24_72:
	; divergent unreachable
.LBB24_73:
	s_nop 0
	s_sendmsg sendmsg(MSG_DEALLOC_VGPRS)
	s_endpgm
.LBB24_74:
	s_cbranch_execnz .LBB24_78
; %bb.75:
	s_or_b32 s1, s1, exec_lo
	s_or_b32 exec_lo, exec_lo, s0
	s_delay_alu instid0(SALU_CYCLE_1)
	s_and_b32 exec_lo, exec_lo, s1
	s_cbranch_execnz .LBB24_72
	s_branch .LBB24_73
.LBB24_76:
	s_cbranch_execnz .LBB24_82
; %bb.77:
	s_or_b32 s2, s2, exec_lo
	s_branch .LBB24_69
.LBB24_78:
	s_trap 2
	s_sendmsg_rtn_b32 s0, sendmsg(MSG_RTN_GET_DOORBELL)
	s_mov_b32 ttmp2, m0
	s_waitcnt lgkmcnt(0)
	s_and_b32 s0, s0, 0x3ff
	s_delay_alu instid0(SALU_CYCLE_1) | instskip(NEXT) | instid1(SALU_CYCLE_1)
	s_bitset1_b32 s0, 10
	s_mov_b32 m0, s0
	s_sendmsg sendmsg(MSG_INTERRUPT)
	s_mov_b32 m0, ttmp2
.LBB24_79:                              ; =>This Inner Loop Header: Depth=1
	s_sethalt 5
	s_branch .LBB24_79
.LBB24_80:
	s_cbranch_execnz .LBB24_86
; %bb.81:
	s_or_b32 s2, s2, exec_lo
	s_branch .LBB24_67
.LBB24_82:
	s_trap 2
	s_sendmsg_rtn_b32 s0, sendmsg(MSG_RTN_GET_DOORBELL)
	s_mov_b32 ttmp2, m0
	s_waitcnt lgkmcnt(0)
	s_and_b32 s0, s0, 0x3ff
	s_delay_alu instid0(SALU_CYCLE_1) | instskip(NEXT) | instid1(SALU_CYCLE_1)
	s_bitset1_b32 s0, 10
	s_mov_b32 m0, s0
	s_sendmsg sendmsg(MSG_INTERRUPT)
	s_mov_b32 m0, ttmp2
.LBB24_83:                              ; =>This Inner Loop Header: Depth=1
	s_sethalt 5
	s_branch .LBB24_83
.LBB24_84:
	s_cbranch_execnz .LBB24_88
; %bb.85:
	s_mov_b32 s2, exec_lo
	s_branch .LBB24_65
.LBB24_86:
	s_trap 2
	s_sendmsg_rtn_b32 s0, sendmsg(MSG_RTN_GET_DOORBELL)
	s_mov_b32 ttmp2, m0
	s_waitcnt lgkmcnt(0)
	s_and_b32 s0, s0, 0x3ff
	s_delay_alu instid0(SALU_CYCLE_1) | instskip(NEXT) | instid1(SALU_CYCLE_1)
	s_bitset1_b32 s0, 10
	s_mov_b32 m0, s0
	s_sendmsg sendmsg(MSG_INTERRUPT)
	s_mov_b32 m0, ttmp2
.LBB24_87:                              ; =>This Inner Loop Header: Depth=1
	s_sethalt 5
	s_branch .LBB24_87
.LBB24_88:
	s_trap 2
	s_sendmsg_rtn_b32 s0, sendmsg(MSG_RTN_GET_DOORBELL)
	s_mov_b32 ttmp2, m0
	s_waitcnt lgkmcnt(0)
	s_and_b32 s0, s0, 0x3ff
	s_delay_alu instid0(SALU_CYCLE_1) | instskip(NEXT) | instid1(SALU_CYCLE_1)
	s_bitset1_b32 s0, 10
	s_mov_b32 m0, s0
	s_sendmsg sendmsg(MSG_INTERRUPT)
	s_mov_b32 m0, ttmp2
.LBB24_89:                              ; =>This Inner Loop Header: Depth=1
	s_sethalt 5
	s_branch .LBB24_89
	.section	.rodata,"a",@progbits
	.p2align	6, 0x0
	.amdhsa_kernel _ZN2at4cuda12_GLOBAL__N_121kernelPointwiseApply2IZNS_6native9templates4cuda28bernoulli_tensor_cuda_kernelIafEEvRKNS_10TensorBaseES9_NS_15PhiloxCudaStateEEUliRaSB_SB_SB_RKfSD_SD_SD_E_aSC_jLi1ELin1ELi4ELi512ELi2EEEvNS0_6detail10TensorInfoIT0_T2_EENSG_IT1_SI_EESI_T_
		.amdhsa_group_segment_fixed_size 0
		.amdhsa_private_segment_fixed_size 0
		.amdhsa_kernarg_size 728
		.amdhsa_user_sgpr_count 15
		.amdhsa_user_sgpr_dispatch_ptr 0
		.amdhsa_user_sgpr_queue_ptr 0
		.amdhsa_user_sgpr_kernarg_segment_ptr 1
		.amdhsa_user_sgpr_dispatch_id 0
		.amdhsa_user_sgpr_private_segment_size 0
		.amdhsa_wavefront_size32 1
		.amdhsa_uses_dynamic_stack 0
		.amdhsa_enable_private_segment 0
		.amdhsa_system_sgpr_workgroup_id_x 1
		.amdhsa_system_sgpr_workgroup_id_y 0
		.amdhsa_system_sgpr_workgroup_id_z 0
		.amdhsa_system_sgpr_workgroup_info 0
		.amdhsa_system_vgpr_workitem_id 0
		.amdhsa_next_free_vgpr 41
		.amdhsa_next_free_sgpr 41
		.amdhsa_reserve_vcc 1
		.amdhsa_float_round_mode_32 0
		.amdhsa_float_round_mode_16_64 0
		.amdhsa_float_denorm_mode_32 3
		.amdhsa_float_denorm_mode_16_64 3
		.amdhsa_dx10_clamp 1
		.amdhsa_ieee_mode 1
		.amdhsa_fp16_overflow 0
		.amdhsa_workgroup_processor_mode 1
		.amdhsa_memory_ordered 1
		.amdhsa_forward_progress 0
		.amdhsa_shared_vgpr_count 0
		.amdhsa_exception_fp_ieee_invalid_op 0
		.amdhsa_exception_fp_denorm_src 0
		.amdhsa_exception_fp_ieee_div_zero 0
		.amdhsa_exception_fp_ieee_overflow 0
		.amdhsa_exception_fp_ieee_underflow 0
		.amdhsa_exception_fp_ieee_inexact 0
		.amdhsa_exception_int_div_zero 0
	.end_amdhsa_kernel
	.section	.text._ZN2at4cuda12_GLOBAL__N_121kernelPointwiseApply2IZNS_6native9templates4cuda28bernoulli_tensor_cuda_kernelIafEEvRKNS_10TensorBaseES9_NS_15PhiloxCudaStateEEUliRaSB_SB_SB_RKfSD_SD_SD_E_aSC_jLi1ELin1ELi4ELi512ELi2EEEvNS0_6detail10TensorInfoIT0_T2_EENSG_IT1_SI_EESI_T_,"axG",@progbits,_ZN2at4cuda12_GLOBAL__N_121kernelPointwiseApply2IZNS_6native9templates4cuda28bernoulli_tensor_cuda_kernelIafEEvRKNS_10TensorBaseES9_NS_15PhiloxCudaStateEEUliRaSB_SB_SB_RKfSD_SD_SD_E_aSC_jLi1ELin1ELi4ELi512ELi2EEEvNS0_6detail10TensorInfoIT0_T2_EENSG_IT1_SI_EESI_T_,comdat
.Lfunc_end24:
	.size	_ZN2at4cuda12_GLOBAL__N_121kernelPointwiseApply2IZNS_6native9templates4cuda28bernoulli_tensor_cuda_kernelIafEEvRKNS_10TensorBaseES9_NS_15PhiloxCudaStateEEUliRaSB_SB_SB_RKfSD_SD_SD_E_aSC_jLi1ELin1ELi4ELi512ELi2EEEvNS0_6detail10TensorInfoIT0_T2_EENSG_IT1_SI_EESI_T_, .Lfunc_end24-_ZN2at4cuda12_GLOBAL__N_121kernelPointwiseApply2IZNS_6native9templates4cuda28bernoulli_tensor_cuda_kernelIafEEvRKNS_10TensorBaseES9_NS_15PhiloxCudaStateEEUliRaSB_SB_SB_RKfSD_SD_SD_E_aSC_jLi1ELin1ELi4ELi512ELi2EEEvNS0_6detail10TensorInfoIT0_T2_EENSG_IT1_SI_EESI_T_
                                        ; -- End function
	.section	.AMDGPU.csdata,"",@progbits
; Kernel info:
; codeLenInByte = 4200
; NumSgprs: 43
; NumVgprs: 41
; ScratchSize: 0
; MemoryBound: 0
; FloatMode: 240
; IeeeMode: 1
; LDSByteSize: 0 bytes/workgroup (compile time only)
; SGPRBlocks: 5
; VGPRBlocks: 5
; NumSGPRsForWavesPerEU: 43
; NumVGPRsForWavesPerEU: 41
; Occupancy: 16
; WaveLimiterHint : 1
; COMPUTE_PGM_RSRC2:SCRATCH_EN: 0
; COMPUTE_PGM_RSRC2:USER_SGPR: 15
; COMPUTE_PGM_RSRC2:TRAP_HANDLER: 0
; COMPUTE_PGM_RSRC2:TGID_X_EN: 1
; COMPUTE_PGM_RSRC2:TGID_Y_EN: 0
; COMPUTE_PGM_RSRC2:TGID_Z_EN: 0
; COMPUTE_PGM_RSRC2:TIDIG_COMP_CNT: 0
	.section	.text._ZN2at4cuda12_GLOBAL__N_121kernelPointwiseApply2IZNS_6native9templates4cuda28bernoulli_tensor_cuda_kernelIafEEvRKNS_10TensorBaseES9_NS_15PhiloxCudaStateEEUliRaSB_SB_SB_RKfSD_SD_SD_E_aSC_jLi2ELi1ELi4ELi512ELi2EEEvNS0_6detail10TensorInfoIT0_T2_EENSG_IT1_SI_EESI_T_,"axG",@progbits,_ZN2at4cuda12_GLOBAL__N_121kernelPointwiseApply2IZNS_6native9templates4cuda28bernoulli_tensor_cuda_kernelIafEEvRKNS_10TensorBaseES9_NS_15PhiloxCudaStateEEUliRaSB_SB_SB_RKfSD_SD_SD_E_aSC_jLi2ELi1ELi4ELi512ELi2EEEvNS0_6detail10TensorInfoIT0_T2_EENSG_IT1_SI_EESI_T_,comdat
	.globl	_ZN2at4cuda12_GLOBAL__N_121kernelPointwiseApply2IZNS_6native9templates4cuda28bernoulli_tensor_cuda_kernelIafEEvRKNS_10TensorBaseES9_NS_15PhiloxCudaStateEEUliRaSB_SB_SB_RKfSD_SD_SD_E_aSC_jLi2ELi1ELi4ELi512ELi2EEEvNS0_6detail10TensorInfoIT0_T2_EENSG_IT1_SI_EESI_T_ ; -- Begin function _ZN2at4cuda12_GLOBAL__N_121kernelPointwiseApply2IZNS_6native9templates4cuda28bernoulli_tensor_cuda_kernelIafEEvRKNS_10TensorBaseES9_NS_15PhiloxCudaStateEEUliRaSB_SB_SB_RKfSD_SD_SD_E_aSC_jLi2ELi1ELi4ELi512ELi2EEEvNS0_6detail10TensorInfoIT0_T2_EENSG_IT1_SI_EESI_T_
	.p2align	8
	.type	_ZN2at4cuda12_GLOBAL__N_121kernelPointwiseApply2IZNS_6native9templates4cuda28bernoulli_tensor_cuda_kernelIafEEvRKNS_10TensorBaseES9_NS_15PhiloxCudaStateEEUliRaSB_SB_SB_RKfSD_SD_SD_E_aSC_jLi2ELi1ELi4ELi512ELi2EEEvNS0_6detail10TensorInfoIT0_T2_EENSG_IT1_SI_EESI_T_,@function
_ZN2at4cuda12_GLOBAL__N_121kernelPointwiseApply2IZNS_6native9templates4cuda28bernoulli_tensor_cuda_kernelIafEEvRKNS_10TensorBaseES9_NS_15PhiloxCudaStateEEUliRaSB_SB_SB_RKfSD_SD_SD_E_aSC_jLi2ELi1ELi4ELi512ELi2EEEvNS0_6detail10TensorInfoIT0_T2_EENSG_IT1_SI_EESI_T_: ; @_ZN2at4cuda12_GLOBAL__N_121kernelPointwiseApply2IZNS_6native9templates4cuda28bernoulli_tensor_cuda_kernelIafEEvRKNS_10TensorBaseES9_NS_15PhiloxCudaStateEEUliRaSB_SB_SB_RKfSD_SD_SD_E_aSC_jLi2ELi1ELi4ELi512ELi2EEEvNS0_6detail10TensorInfoIT0_T2_EENSG_IT1_SI_EESI_T_
; %bb.0:
	s_clause 0x1
	s_load_b32 s4, s[0:1], 0x1e4
	s_load_b32 s16, s[0:1], 0x1b0
	s_add_u32 s2, s0, 0x1d8
	s_addc_u32 s3, s1, 0
	s_waitcnt lgkmcnt(0)
	s_and_b32 s20, s4, 0xffff
	s_mov_b32 s4, exec_lo
	v_mad_u64_u32 v[1:2], null, s15, s20, v[0:1]
	s_delay_alu instid0(VALU_DEP_1) | instskip(NEXT) | instid1(VALU_DEP_1)
	v_lshlrev_b32_e32 v0, 2, v1
	v_cmpx_gt_u32_e64 s16, v0
	s_cbranch_execz .LBB25_59
; %bb.1:
	s_clause 0x4
	s_load_b32 s17, s[0:1], 0xc
	s_load_b64 s[8:9], s[0:1], 0x6c
	s_load_b64 s[10:11], s[0:1], 0xd8
	s_load_b32 s4, s[0:1], 0x1d0
	s_load_b32 s23, s[0:1], 0x144
	;; [unrolled: 1-line block ×3, first 2 shown]
	s_clause 0x1
	s_load_b64 s[12:13], s[0:1], 0x0
	s_load_b64 s[14:15], s[0:1], 0x1c8
	v_add_nc_u32_e32 v8, 3, v0
	v_sub_nc_u32_e32 v31, s16, v0
	s_mov_b32 s22, 0
	s_mov_b32 s25, 0
                                        ; implicit-def: $sgpr24
                                        ; implicit-def: $sgpr27
                                        ; implicit-def: $sgpr26
                                        ; implicit-def: $sgpr28
                                        ; implicit-def: $sgpr30
                                        ; implicit-def: $sgpr29
                                        ; implicit-def: $sgpr31
	v_add_nc_u32_e32 v7, 2, v0
	s_waitcnt lgkmcnt(0)
	v_cvt_f32_u32_e32 v2, s17
	s_bitcmp1_b32 s4, 0
	s_load_b128 s[4:7], s[0:1], 0x1b8
	s_delay_alu instid0(VALU_DEP_1)
	v_rcp_iflag_f32_e32 v2, v2
	s_cselect_b32 s18, -1, 0
	s_sub_i32 s19, 0, s17
	v_mul_lo_u32 v30, v0, s23
	v_mul_lo_u32 v34, s23, v8
	s_mul_i32 s2, s2, s20
	v_mov_b32_e32 v4, 0
	s_lshl_b32 s21, s2, 2
                                        ; implicit-def: $sgpr20
	v_mul_lo_u32 v33, s23, v7
	s_waitcnt_depctr 0xfff
	v_mul_f32_e32 v2, 0x4f7ffffe, v2
	v_add_nc_u32_e32 v35, s23, v30
	s_mul_i32 s23, s21, s23
	s_delay_alu instid0(VALU_DEP_2) | instskip(SKIP_1) | instid1(VALU_DEP_2)
	v_cvt_u32_f32_e32 v5, v2
	v_mad_u64_u32 v[2:3], null, 0xcd9e8d57, v1, 0
	v_mul_lo_u32 v6, s19, v5
	s_delay_alu instid0(VALU_DEP_2) | instskip(NEXT) | instid1(VALU_DEP_2)
	v_mov_b32_e32 v32, v3
	v_mul_hi_u32 v6, v5, v6
	s_delay_alu instid0(VALU_DEP_1)
	v_add_nc_u32_e32 v36, v5, v6
	s_branch .LBB25_3
.LBB25_2:                               ;   in Loop: Header=BB25_3 Depth=1
	s_or_b32 exec_lo, exec_lo, s1
	s_delay_alu instid0(SALU_CYCLE_1) | instskip(NEXT) | instid1(SALU_CYCLE_1)
	s_and_b32 s0, exec_lo, s0
	s_or_b32 s22, s0, s22
	s_and_not1_b32 s0, s20, exec_lo
	s_and_b32 s1, s31, exec_lo
	s_and_not1_b32 s2, s26, exec_lo
	s_and_b32 s3, s29, exec_lo
	s_or_b32 s20, s0, s1
	s_or_b32 s26, s2, s3
	s_and_not1_b32 s0, s27, exec_lo
	s_and_b32 s1, s30, exec_lo
	s_and_not1_b32 s2, s24, exec_lo
	s_and_b32 s3, s28, exec_lo
	s_or_b32 s27, s0, s1
	s_or_b32 s24, s2, s3
	s_and_not1_b32 exec_lo, exec_lo, s22
	s_cbranch_execz .LBB25_47
.LBB25_3:                               ; =>This Inner Loop Header: Depth=1
	v_mov_b32_e32 v7, 0
	v_mov_b32_e32 v8, 0
	v_cmp_lt_i32_e64 s0, 0, v31
	s_delay_alu instid0(VALU_DEP_2) | instskip(NEXT) | instid1(VALU_DEP_2)
	v_dual_mov_b32 v5, v7 :: v_dual_mov_b32 v6, v8
	s_and_saveexec_b32 s1, s0
	s_cbranch_execz .LBB25_5
; %bb.4:                                ;   in Loop: Header=BB25_3 Depth=1
	v_mul_hi_u32 v3, v36, v0
	s_delay_alu instid0(VALU_DEP_1) | instskip(SKIP_1) | instid1(VALU_DEP_2)
	v_not_b32_e32 v11, v3
	v_mad_u64_u32 v[5:6], null, s19, v3, v[0:1]
	v_mad_u64_u32 v[9:10], null, s17, v11, v[0:1]
	s_delay_alu instid0(VALU_DEP_2) | instskip(NEXT) | instid1(VALU_DEP_2)
	v_cmp_le_u32_e32 vcc_lo, s17, v5
	v_dual_cndmask_b32 v5, v5, v9 :: v_dual_add_nc_u32 v6, 1, v3
	s_delay_alu instid0(VALU_DEP_1) | instskip(NEXT) | instid1(VALU_DEP_2)
	v_cndmask_b32_e32 v3, v3, v6, vcc_lo
	v_cmp_le_u32_e32 vcc_lo, s17, v5
	s_delay_alu instid0(VALU_DEP_2) | instskip(NEXT) | instid1(VALU_DEP_1)
	v_add_nc_u32_e32 v6, 1, v3
	v_cndmask_b32_e32 v9, v3, v6, vcc_lo
	s_delay_alu instid0(VALU_DEP_1) | instskip(NEXT) | instid1(VALU_DEP_1)
	v_mad_u64_u32 v[5:6], null, s19, v9, v[0:1]
	v_mul_lo_u32 v3, v5, s9
	s_delay_alu instid0(VALU_DEP_1)
	v_mad_u64_u32 v[5:6], null, v9, s8, v[3:4]
	v_mov_b32_e32 v6, v4
.LBB25_5:                               ;   in Loop: Header=BB25_3 Depth=1
	s_or_b32 exec_lo, exec_lo, s1
	v_cmp_lt_i32_e64 s1, 1, v31
	s_delay_alu instid0(VALU_DEP_1)
	s_and_saveexec_b32 s2, s1
	s_cbranch_execz .LBB25_7
; %bb.6:                                ;   in Loop: Header=BB25_3 Depth=1
	v_add_nc_u32_e32 v3, 1, v0
	s_delay_alu instid0(VALU_DEP_1) | instskip(NEXT) | instid1(VALU_DEP_1)
	v_mul_hi_u32 v7, v3, v36
	v_mul_lo_u32 v8, v7, s17
	v_add_nc_u32_e32 v9, 1, v7
	s_delay_alu instid0(VALU_DEP_2) | instskip(NEXT) | instid1(VALU_DEP_1)
	v_sub_nc_u32_e32 v8, v3, v8
	v_subrev_nc_u32_e32 v10, s17, v8
	v_cmp_le_u32_e32 vcc_lo, s17, v8
	s_delay_alu instid0(VALU_DEP_2) | instskip(NEXT) | instid1(VALU_DEP_1)
	v_dual_cndmask_b32 v7, v7, v9 :: v_dual_cndmask_b32 v8, v8, v10
	v_add_nc_u32_e32 v9, 1, v7
	s_delay_alu instid0(VALU_DEP_2) | instskip(NEXT) | instid1(VALU_DEP_2)
	v_cmp_le_u32_e32 vcc_lo, s17, v8
	v_cndmask_b32_e32 v9, v7, v9, vcc_lo
	s_delay_alu instid0(VALU_DEP_1) | instskip(NEXT) | instid1(VALU_DEP_1)
	v_mul_lo_u32 v7, v9, s17
	v_sub_nc_u32_e32 v3, v3, v7
	s_delay_alu instid0(VALU_DEP_1) | instskip(NEXT) | instid1(VALU_DEP_1)
	v_mul_lo_u32 v3, v3, s9
	v_mad_u64_u32 v[7:8], null, v9, s8, v[3:4]
	v_mov_b32_e32 v8, v4
.LBB25_7:                               ;   in Loop: Header=BB25_3 Depth=1
	s_or_b32 exec_lo, exec_lo, s2
	v_mov_b32_e32 v13, 0
	v_mov_b32_e32 v14, 0
	v_cmp_lt_i32_e64 s2, 2, v31
	s_delay_alu instid0(VALU_DEP_2) | instskip(NEXT) | instid1(VALU_DEP_2)
	v_dual_mov_b32 v9, v13 :: v_dual_mov_b32 v10, v14
	s_and_saveexec_b32 s3, s2
	s_cbranch_execz .LBB25_9
; %bb.8:                                ;   in Loop: Header=BB25_3 Depth=1
	v_add_nc_u32_e32 v3, 2, v0
	s_delay_alu instid0(VALU_DEP_1) | instskip(NEXT) | instid1(VALU_DEP_1)
	v_mul_hi_u32 v9, v3, v36
	v_mul_lo_u32 v10, v9, s17
	s_delay_alu instid0(VALU_DEP_1) | instskip(NEXT) | instid1(VALU_DEP_1)
	v_sub_nc_u32_e32 v10, v3, v10
	v_subrev_nc_u32_e32 v12, s17, v10
	v_cmp_le_u32_e32 vcc_lo, s17, v10
	s_delay_alu instid0(VALU_DEP_2) | instskip(NEXT) | instid1(VALU_DEP_1)
	v_dual_cndmask_b32 v10, v10, v12 :: v_dual_add_nc_u32 v11, 1, v9
	v_cndmask_b32_e32 v9, v9, v11, vcc_lo
	s_delay_alu instid0(VALU_DEP_2) | instskip(NEXT) | instid1(VALU_DEP_2)
	v_cmp_le_u32_e32 vcc_lo, s17, v10
	v_add_nc_u32_e32 v11, 1, v9
	s_delay_alu instid0(VALU_DEP_1) | instskip(NEXT) | instid1(VALU_DEP_1)
	v_cndmask_b32_e32 v11, v9, v11, vcc_lo
	v_mul_lo_u32 v9, v11, s17
	s_delay_alu instid0(VALU_DEP_1) | instskip(NEXT) | instid1(VALU_DEP_1)
	v_sub_nc_u32_e32 v3, v3, v9
	v_mul_lo_u32 v3, v3, s9
	s_delay_alu instid0(VALU_DEP_1)
	v_mad_u64_u32 v[9:10], null, v11, s8, v[3:4]
	v_mov_b32_e32 v10, v4
.LBB25_9:                               ;   in Loop: Header=BB25_3 Depth=1
	s_or_b32 exec_lo, exec_lo, s3
	v_cmp_lt_i32_e32 vcc_lo, 3, v31
	s_and_saveexec_b32 s33, vcc_lo
	s_cbranch_execz .LBB25_11
; %bb.10:                               ;   in Loop: Header=BB25_3 Depth=1
	v_add_nc_u32_e32 v3, 3, v0
	s_delay_alu instid0(VALU_DEP_1) | instskip(NEXT) | instid1(VALU_DEP_1)
	v_mul_hi_u32 v11, v3, v36
	v_mul_lo_u32 v12, v11, s17
	v_add_nc_u32_e32 v13, 1, v11
	s_delay_alu instid0(VALU_DEP_2) | instskip(NEXT) | instid1(VALU_DEP_1)
	v_sub_nc_u32_e32 v12, v3, v12
	v_subrev_nc_u32_e32 v14, s17, v12
	v_cmp_le_u32_e64 s3, s17, v12
	s_delay_alu instid0(VALU_DEP_1) | instskip(NEXT) | instid1(VALU_DEP_3)
	v_cndmask_b32_e64 v11, v11, v13, s3
	v_cndmask_b32_e64 v12, v12, v14, s3
	s_delay_alu instid0(VALU_DEP_2) | instskip(NEXT) | instid1(VALU_DEP_2)
	v_add_nc_u32_e32 v13, 1, v11
	v_cmp_le_u32_e64 s3, s17, v12
	s_delay_alu instid0(VALU_DEP_1) | instskip(NEXT) | instid1(VALU_DEP_1)
	v_cndmask_b32_e64 v11, v11, v13, s3
	v_mul_lo_u32 v12, v11, s17
	s_delay_alu instid0(VALU_DEP_1) | instskip(NEXT) | instid1(VALU_DEP_1)
	v_sub_nc_u32_e32 v3, v3, v12
	v_mul_lo_u32 v3, v3, s9
	s_delay_alu instid0(VALU_DEP_1)
	v_mad_u64_u32 v[13:14], null, v11, s8, v[3:4]
	v_mov_b32_e32 v14, v4
.LBB25_11:                              ;   in Loop: Header=BB25_3 Depth=1
	s_or_b32 exec_lo, exec_lo, s33
	s_waitcnt lgkmcnt(0)
	v_dual_mov_b32 v18, s7 :: v_dual_add_nc_u32 v3, s25, v34
	v_dual_mov_b32 v17, s6 :: v_dual_mov_b32 v20, s5
	v_mov_b32_e32 v19, s4
	s_delay_alu instid0(VALU_DEP_3) | instskip(NEXT) | instid1(VALU_DEP_1)
	v_cndmask_b32_e32 v3, 0, v3, vcc_lo
	v_lshlrev_b64 v[11:12], 2, v[3:4]
	s_delay_alu instid0(VALU_DEP_1) | instskip(NEXT) | instid1(VALU_DEP_2)
	v_add_co_u32 v11, vcc_lo, s10, v11
	v_add_co_ci_u32_e32 v12, vcc_lo, s11, v12, vcc_lo
	s_and_not1_b32 vcc_lo, exec_lo, s18
	global_load_b32 v3, v[11:12], off
	s_cbranch_vccnz .LBB25_13
; %bb.12:                               ;   in Loop: Header=BB25_3 Depth=1
	v_dual_mov_b32 v12, s7 :: v_dual_mov_b32 v11, s6
	v_dual_mov_b32 v16, s5 :: v_dual_mov_b32 v15, s4
	flat_load_b64 v[11:12], v[11:12]
	flat_load_b64 v[19:20], v[15:16]
	s_waitcnt vmcnt(1) lgkmcnt(1)
	v_add_co_u32 v17, vcc_lo, v11, s14
	v_add_co_ci_u32_e32 v18, vcc_lo, s15, v12, vcc_lo
.LBB25_13:                              ;   in Loop: Header=BB25_3 Depth=1
	s_delay_alu instid0(VALU_DEP_1)
	v_alignbit_b32 v21, v18, v17, 2
	v_lshrrev_b32_e32 v15, 2, v18
	s_waitcnt vmcnt(0) lgkmcnt(0)
	v_add_nc_u32_e32 v37, 0x9e3779b9, v19
	v_add_nc_u32_e32 v38, 0xbb67ae85, v20
	;; [unrolled: 1-line block ×3, first 2 shown]
	v_add_co_u32 v16, vcc_lo, v21, 1
	s_delay_alu instid0(VALU_DEP_1) | instskip(SKIP_4) | instid1(VALU_DEP_4)
	v_cndmask_b32_e64 v11, 0, 1, vcc_lo
	v_add_co_ci_u32_e32 v18, vcc_lo, 0, v15, vcc_lo
	v_xor3_b32 v23, v32, v19, v15
	v_add_nc_u32_e32 v40, 0x76cf5d0a, v20
	v_add_nc_u32_e32 v42, 0xed9eba14, v20
	v_cmp_eq_u32_e32 vcc_lo, 0, v18
	v_add_nc_u32_e32 v43, 0x1fd5c5a3, v20
	s_mov_b32 s3, exec_lo
	v_dual_cndmask_b32 v22, 0, v11 :: v_dual_add_nc_u32 v41, 0x32370b8f, v20
	v_mad_u64_u32 v[11:12], null, 0xd2511f53, v16, 0
	v_mad_u64_u32 v[15:16], null, 0xd2511f53, v21, 0
	s_delay_alu instid0(VALU_DEP_3) | instskip(NEXT) | instid1(VALU_DEP_3)
	v_add_nc_u32_e32 v25, v22, v1
	v_xor_b32_e32 v12, v12, v20
	s_delay_alu instid0(VALU_DEP_2) | instskip(SKIP_1) | instid1(VALU_DEP_1)
	v_cmp_eq_u32_e32 vcc_lo, 0, v25
	v_cndmask_b32_e32 v22, 0, v22, vcc_lo
	v_xor_b32_e32 v12, v22, v12
	v_mad_u64_u32 v[21:22], null, 0xd2511f53, v23, 0
	v_mad_u64_u32 v[23:24], null, 0xcd9e8d57, v25, 0
	s_delay_alu instid0(VALU_DEP_3) | instskip(SKIP_1) | instid1(VALU_DEP_4)
	v_mad_u64_u32 v[25:26], null, 0xcd9e8d57, v12, 0
	v_xor_b32_e32 v12, v16, v20
	v_xor3_b32 v27, v38, v22, v15
	s_delay_alu instid0(VALU_DEP_2) | instskip(SKIP_2) | instid1(VALU_DEP_4)
	v_mad_u64_u32 v[15:16], null, 0xcd9e8d57, v12, 0
	v_xor3_b32 v12, v24, v19, v18
	v_xor3_b32 v18, v37, v26, v23
	v_mad_u64_u32 v[22:23], null, 0xcd9e8d57, v27, 0
	s_delay_alu instid0(VALU_DEP_3) | instskip(NEXT) | instid1(VALU_DEP_3)
	v_mad_u64_u32 v[26:27], null, 0xd2511f53, v12, 0
	v_mad_u64_u32 v[28:29], null, 0xd2511f53, v18, 0
	v_xor3_b32 v12, v2, v16, v37
	s_delay_alu instid0(VALU_DEP_4) | instskip(SKIP_2) | instid1(VALU_DEP_4)
	v_xor3_b32 v23, v39, v23, v15
	v_add_nc_u32_e32 v18, 0xdaa66d2b, v19
	v_xor3_b32 v27, v38, v27, v11
	v_mad_u64_u32 v[15:16], null, 0xd2511f53, v12, 0
	v_xor3_b32 v29, v40, v29, v26
	v_mad_u64_u32 v[11:12], null, 0xd2511f53, v23, 0
	s_delay_alu instid0(VALU_DEP_4) | instskip(NEXT) | instid1(VALU_DEP_3)
	v_mad_u64_u32 v[23:24], null, 0xcd9e8d57, v27, 0
	v_mad_u64_u32 v[26:27], null, 0xcd9e8d57, v29, 0
	v_xor3_b32 v21, v40, v16, v21
	v_add_nc_u32_e32 v29, 0x78dde6e4, v19
	v_xor3_b32 v12, v41, v12, v15
	s_delay_alu instid0(VALU_DEP_3) | instskip(SKIP_2) | instid1(VALU_DEP_4)
	v_mad_u64_u32 v[15:16], null, 0xcd9e8d57, v21, 0
	v_xor3_b32 v21, v39, v24, v25
	v_xor3_b32 v25, v18, v27, v23
	v_mad_u64_u32 v[23:24], null, 0xcd9e8d57, v12, 0
	s_delay_alu instid0(VALU_DEP_3) | instskip(NEXT) | instid1(VALU_DEP_3)
	v_mad_u64_u32 v[37:38], null, 0xd2511f53, v21, 0
	v_mad_u64_u32 v[39:40], null, 0xd2511f53, v25, 0
	v_xor3_b32 v12, v18, v16, v22
	s_delay_alu instid0(VALU_DEP_4) | instskip(SKIP_2) | instid1(VALU_DEP_4)
	v_xor3_b32 v21, v29, v24, v15
	v_add_nc_u32_e32 v18, 0x1715609d, v19
	v_add_nc_u32_e32 v25, 0xa9066899, v20
	v_mad_u64_u32 v[15:16], null, 0xd2511f53, v12, 0
	v_xor3_b32 v12, v41, v38, v28
	v_xor3_b32 v24, v42, v40, v37
	v_mad_u64_u32 v[27:28], null, 0xd2511f53, v21, 0
	v_add_nc_u32_e32 v38, 0xb54cda56, v19
	s_delay_alu instid0(VALU_DEP_4) | instskip(NEXT) | instid1(VALU_DEP_4)
	v_mad_u64_u32 v[21:22], null, 0xcd9e8d57, v12, 0
	v_mad_u64_u32 v[40:41], null, 0xcd9e8d57, v24, 0
	v_xor3_b32 v16, v42, v16, v11
	v_xor3_b32 v24, v25, v28, v15
	v_add_nc_u32_e32 v37, 0x646e171e, v20
	v_xor3_b32 v26, v29, v22, v26
	s_delay_alu instid0(VALU_DEP_4) | instskip(SKIP_2) | instid1(VALU_DEP_4)
	v_mad_u64_u32 v[11:12], null, 0xcd9e8d57, v16, 0
	v_xor3_b32 v28, v18, v41, v21
	v_mad_u64_u32 v[15:16], null, 0xcd9e8d57, v24, 0
	v_mad_u64_u32 v[21:22], null, 0xd2511f53, v26, 0
	s_delay_alu instid0(VALU_DEP_3) | instskip(SKIP_3) | instid1(VALU_DEP_3)
	v_mad_u64_u32 v[41:42], null, 0xd2511f53, v28, 0
	v_xor3_b32 v18, v18, v12, v23
	v_add_nc_u32_e32 v26, 0x5384540f, v19
	v_xor3_b32 v16, v38, v16, v11
	v_mad_u64_u32 v[11:12], null, 0xd2511f53, v18, 0
	v_xor3_b32 v18, v25, v22, v39
	v_xor3_b32 v23, v37, v42, v21
	s_delay_alu instid0(VALU_DEP_4) | instskip(NEXT) | instid1(VALU_DEP_3)
	v_mad_u64_u32 v[21:22], null, 0xd2511f53, v16, 0
	v_mad_u64_u32 v[28:29], null, 0xcd9e8d57, v18, 0
	s_delay_alu instid0(VALU_DEP_3) | instskip(SKIP_1) | instid1(VALU_DEP_4)
	v_mad_u64_u32 v[24:25], null, 0xcd9e8d57, v23, 0
	v_xor3_b32 v16, v37, v12, v27
	v_xor3_b32 v18, v43, v22, v11
	v_add_co_u32 v37, null, 0xf1bbcdc8, v19
	s_delay_alu instid0(VALU_DEP_3) | instskip(SKIP_4) | instid1(VALU_DEP_4)
	v_mad_u64_u32 v[11:12], null, 0xcd9e8d57, v16, 0
	v_xor3_b32 v16, v38, v29, v40
	v_xor3_b32 v25, v26, v25, v28
	v_mad_u64_u32 v[22:23], null, 0xcd9e8d57, v18, 0
	v_add_nc_u32_e32 v38, 0xdb3d7428, v20
	v_mad_u64_u32 v[39:40], null, 0xd2511f53, v16, 0
	s_delay_alu instid0(VALU_DEP_4) | instskip(SKIP_4) | instid1(VALU_DEP_4)
	v_mad_u64_u32 v[27:28], null, 0xd2511f53, v25, 0
	v_xor3_b32 v12, v26, v12, v15
	v_xor3_b32 v15, v37, v23, v11
	v_add_nc_u32_e32 v23, 0x8ff34781, v19
	v_xor3_b32 v16, v43, v40, v41
	v_mad_u64_u32 v[25:26], null, 0xd2511f53, v12, 0
	v_xor3_b32 v18, v38, v28, v39
	v_mad_u64_u32 v[11:12], null, 0xd2511f53, v15, 0
	s_delay_alu instid0(VALU_DEP_4) | instskip(NEXT) | instid1(VALU_DEP_3)
	v_mad_u64_u32 v[28:29], null, 0xcd9e8d57, v16, 0
	v_mad_u64_u32 v[15:16], null, 0xcd9e8d57, v18, 0
	v_add_nc_u32_e32 v39, 0x96a522ad, v20
	v_and_b32_e32 v20, 3, v17
                                        ; implicit-def: $vgpr18
	s_delay_alu instid0(VALU_DEP_2) | instskip(NEXT) | instid1(VALU_DEP_4)
	v_xor3_b32 v19, v12, v25, v39
	v_xor3_b32 v12, v16, v28, v23
	s_delay_alu instid0(VALU_DEP_3)
	v_cmpx_lt_i32_e32 1, v20
	s_xor_b32 s3, exec_lo, s3
	s_cbranch_execz .LBB25_19
; %bb.14:                               ;   in Loop: Header=BB25_3 Depth=1
	s_mov_b32 s33, exec_lo
                                        ; implicit-def: $vgpr18
	v_cmpx_lt_i32_e32 2, v20
	s_xor_b32 s33, exec_lo, s33
; %bb.15:                               ;   in Loop: Header=BB25_3 Depth=1
	v_xor3_b32 v16, v37, v29, v24
                                        ; implicit-def: $vgpr19
	s_delay_alu instid0(VALU_DEP_1) | instskip(NEXT) | instid1(VALU_DEP_1)
	v_mul_hi_u32 v16, 0xd2511f53, v16
	v_xor3_b32 v18, v16, v27, v39
; %bb.16:                               ;   in Loop: Header=BB25_3 Depth=1
	s_and_not1_saveexec_b32 s33, s33
; %bb.17:                               ;   in Loop: Header=BB25_3 Depth=1
	v_dual_mov_b32 v18, v15 :: v_dual_mov_b32 v15, v12
	v_mov_b32_e32 v12, v11
	v_mov_b32_e32 v11, v19
; %bb.18:                               ;   in Loop: Header=BB25_3 Depth=1
	s_or_b32 exec_lo, exec_lo, s33
                                        ; implicit-def: $vgpr21_vgpr22
                                        ; implicit-def: $vgpr20
                                        ; implicit-def: $vgpr19
                                        ; implicit-def: $vgpr38
                                        ; implicit-def: $vgpr25_vgpr26
                                        ; implicit-def: $vgpr22_vgpr23
                                        ; implicit-def: $vgpr23
.LBB25_19:                              ;   in Loop: Header=BB25_3 Depth=1
	s_and_not1_saveexec_b32 s3, s3
	s_cbranch_execz .LBB25_23
; %bb.20:                               ;   in Loop: Header=BB25_3 Depth=1
	v_xor3_b32 v15, v38, v26, v21
	v_cmp_eq_u32_e32 vcc_lo, 1, v20
	s_delay_alu instid0(VALU_DEP_2) | instskip(SKIP_2) | instid1(VALU_DEP_3)
	v_mad_u64_u32 v[16:17], null, 0xcd9e8d57, v15, 0
	v_mov_b32_e32 v18, v11
	v_mov_b32_e32 v15, v19
	v_xor3_b32 v20, v17, v22, v23
	s_delay_alu instid0(VALU_DEP_4)
	v_mov_b32_e32 v17, v16
	s_and_saveexec_b32 s33, vcc_lo
; %bb.21:                               ;   in Loop: Header=BB25_3 Depth=1
	v_dual_mov_b32 v18, v12 :: v_dual_mov_b32 v15, v11
	v_dual_mov_b32 v17, v19 :: v_dual_mov_b32 v20, v16
; %bb.22:                               ;   in Loop: Header=BB25_3 Depth=1
	s_or_b32 exec_lo, exec_lo, s33
	s_delay_alu instid0(VALU_DEP_1)
	v_dual_mov_b32 v11, v20 :: v_dual_mov_b32 v12, v17
.LBB25_23:                              ;   in Loop: Header=BB25_3 Depth=1
	s_or_b32 exec_lo, exec_lo, s3
	v_min_i32_e32 v16, 4, v31
	s_mov_b32 s33, 0
	s_mov_b32 s39, 0
	s_mov_b32 s36, exec_lo
                                        ; implicit-def: $sgpr3
                                        ; implicit-def: $sgpr34
                                        ; implicit-def: $sgpr35
	s_delay_alu instid0(VALU_DEP_1)
	v_cmpx_lt_i32_e32 2, v16
	s_xor_b32 s36, exec_lo, s36
	s_cbranch_execz .LBB25_33
; %bb.24:                               ;   in Loop: Header=BB25_3 Depth=1
	s_mov_b32 s38, -1
	s_mov_b32 s35, exec_lo
                                        ; implicit-def: $sgpr34
                                        ; implicit-def: $sgpr3
	v_cmpx_lt_i32_e32 3, v16
	s_cbranch_execz .LBB25_28
; %bb.25:                               ;   in Loop: Header=BB25_3 Depth=1
	v_cmp_le_f32_e32 vcc_lo, 0, v3
	v_cmp_ge_f32_e64 s3, 1.0, v3
	s_mov_b32 s34, 0
	s_mov_b32 s37, 0
	s_delay_alu instid0(VALU_DEP_1) | instskip(NEXT) | instid1(SALU_CYCLE_1)
	s_and_b32 s38, vcc_lo, s3
	s_and_saveexec_b32 s3, s38
	s_cbranch_execz .LBB25_27
; %bb.26:                               ;   in Loop: Header=BB25_3 Depth=1
	v_cvt_f32_u32_e32 v17, v18
	v_add_co_u32 v13, vcc_lo, s12, v13
	v_add_co_ci_u32_e32 v14, vcc_lo, s13, v14, vcc_lo
	s_delay_alu instid0(VALU_DEP_3) | instskip(SKIP_1) | instid1(VALU_DEP_1)
	v_fmaak_f32 v17, 0x2f800000, v17, 0x2f800000
	s_mov_b32 s37, exec_lo
	v_cmp_le_f32_e32 vcc_lo, v17, v3
	v_cndmask_b32_e64 v3, 0, 1, vcc_lo
	global_store_b8 v[13:14], v3, off
.LBB25_27:                              ;   in Loop: Header=BB25_3 Depth=1
	s_or_b32 exec_lo, exec_lo, s3
	s_mov_b32 s3, -1
	s_or_not1_b32 s38, s37, exec_lo
.LBB25_28:                              ;   in Loop: Header=BB25_3 Depth=1
	s_or_b32 exec_lo, exec_lo, s35
	s_mov_b32 s37, 0
	s_mov_b32 s39, s34
	s_and_saveexec_b32 s35, s38
	s_cbranch_execz .LBB25_32
; %bb.29:                               ;   in Loop: Header=BB25_3 Depth=1
	v_add_nc_u32_e32 v3, s25, v33
	s_delay_alu instid0(VALU_DEP_1) | instskip(NEXT) | instid1(VALU_DEP_1)
	v_cndmask_b32_e64 v3, 0, v3, s2
	v_lshlrev_b64 v[13:14], 2, v[3:4]
	s_delay_alu instid0(VALU_DEP_1) | instskip(NEXT) | instid1(VALU_DEP_2)
	v_add_co_u32 v13, vcc_lo, s10, v13
	v_add_co_ci_u32_e32 v14, vcc_lo, s11, v14, vcc_lo
	global_load_b32 v3, v[13:14], off
	s_waitcnt vmcnt(0)
	v_cmp_le_f32_e32 vcc_lo, 0, v3
	v_cmp_ge_f32_e64 s2, 1.0, v3
	s_delay_alu instid0(VALU_DEP_1) | instskip(NEXT) | instid1(SALU_CYCLE_1)
	s_and_b32 s2, vcc_lo, s2
	s_and_saveexec_b32 s38, s2
	s_delay_alu instid0(SALU_CYCLE_1)
	s_xor_b32 s2, exec_lo, s38
	s_cbranch_execz .LBB25_31
; %bb.30:                               ;   in Loop: Header=BB25_3 Depth=1
	v_cvt_f32_u32_e32 v13, v15
	v_add_co_u32 v9, vcc_lo, s12, v9
	v_add_co_ci_u32_e32 v10, vcc_lo, s13, v10, vcc_lo
	s_delay_alu instid0(VALU_DEP_3) | instskip(SKIP_1) | instid1(VALU_DEP_1)
	v_fmaak_f32 v13, 0x2f800000, v13, 0x2f800000
	s_mov_b32 s37, exec_lo
	v_cmp_le_f32_e32 vcc_lo, v13, v3
	v_cndmask_b32_e64 v3, 0, 1, vcc_lo
	global_store_b8 v[9:10], v3, off
.LBB25_31:                              ;   in Loop: Header=BB25_3 Depth=1
	s_or_b32 exec_lo, exec_lo, s2
	s_delay_alu instid0(SALU_CYCLE_1)
	s_and_not1_b32 s39, s34, exec_lo
	s_or_b32 s34, s34, exec_lo
	s_and_not1_b32 s3, s3, exec_lo
	s_and_b32 s37, s37, exec_lo
.LBB25_32:                              ;   in Loop: Header=BB25_3 Depth=1
	s_or_b32 exec_lo, exec_lo, s35
	s_delay_alu instid0(SALU_CYCLE_1)
	s_and_b32 s35, s39, exec_lo
	s_and_b32 s34, s34, exec_lo
	s_and_b32 s3, s3, exec_lo
	s_and_b32 s39, s37, exec_lo
.LBB25_33:                              ;   in Loop: Header=BB25_3 Depth=1
	s_and_not1_saveexec_b32 s2, s36
; %bb.34:                               ;   in Loop: Header=BB25_3 Depth=1
	v_cmp_lt_i32_e32 vcc_lo, 1, v16
	s_and_not1_b32 s36, s39, exec_lo
	s_mov_b32 s33, exec_lo
	s_and_not1_b32 s35, s35, exec_lo
	s_and_not1_b32 s34, s34, exec_lo
	s_and_b32 s37, vcc_lo, exec_lo
	s_and_not1_b32 s3, s3, exec_lo
	s_or_b32 s39, s36, s37
; %bb.35:                               ;   in Loop: Header=BB25_3 Depth=1
	s_or_b32 exec_lo, exec_lo, s2
	s_mov_b32 s2, 0
	s_mov_b32 s37, 0
	;; [unrolled: 1-line block ×3, first 2 shown]
	s_and_saveexec_b32 s38, s39
	s_cbranch_execnz .LBB25_38
; %bb.36:                               ;   in Loop: Header=BB25_3 Depth=1
	s_or_b32 exec_lo, exec_lo, s38
	s_and_saveexec_b32 s1, s33
	s_cbranch_execnz .LBB25_41
.LBB25_37:                              ;   in Loop: Header=BB25_3 Depth=1
	s_or_b32 exec_lo, exec_lo, s1
	s_and_saveexec_b32 s1, s37
	s_cbranch_execnz .LBB25_42
	s_branch .LBB25_45
.LBB25_38:                              ;   in Loop: Header=BB25_3 Depth=1
	v_add_nc_u32_e32 v3, s25, v35
	s_delay_alu instid0(VALU_DEP_1) | instskip(NEXT) | instid1(VALU_DEP_1)
	v_cndmask_b32_e64 v3, 0, v3, s1
	v_lshlrev_b64 v[9:10], 2, v[3:4]
	s_delay_alu instid0(VALU_DEP_1) | instskip(NEXT) | instid1(VALU_DEP_2)
	v_add_co_u32 v9, vcc_lo, s10, v9
	v_add_co_ci_u32_e32 v10, vcc_lo, s11, v10, vcc_lo
	global_load_b32 v3, v[9:10], off
	s_waitcnt vmcnt(0)
	v_cmp_le_f32_e32 vcc_lo, 0, v3
	v_cmp_ge_f32_e64 s1, 1.0, v3
	s_delay_alu instid0(VALU_DEP_1) | instskip(NEXT) | instid1(SALU_CYCLE_1)
	s_and_b32 s1, vcc_lo, s1
	s_and_saveexec_b32 s36, s1
	s_delay_alu instid0(SALU_CYCLE_1)
	s_xor_b32 s1, exec_lo, s36
	s_cbranch_execz .LBB25_40
; %bb.39:                               ;   in Loop: Header=BB25_3 Depth=1
	v_cvt_f32_u32_e32 v9, v12
	v_add_co_u32 v7, vcc_lo, s12, v7
	v_add_co_ci_u32_e32 v8, vcc_lo, s13, v8, vcc_lo
	s_delay_alu instid0(VALU_DEP_3) | instskip(SKIP_1) | instid1(VALU_DEP_1)
	v_fmaak_f32 v9, 0x2f800000, v9, 0x2f800000
	s_mov_b32 s37, exec_lo
	v_cmp_le_f32_e32 vcc_lo, v9, v3
	v_cndmask_b32_e64 v3, 0, 1, vcc_lo
	global_store_b8 v[7:8], v3, off
.LBB25_40:                              ;   in Loop: Header=BB25_3 Depth=1
	s_or_b32 exec_lo, exec_lo, s1
	s_delay_alu instid0(SALU_CYCLE_1)
	s_and_not1_b32 s36, s35, exec_lo
	s_or_b32 s35, s35, exec_lo
	s_and_not1_b32 s34, s34, exec_lo
	s_and_not1_b32 s3, s3, exec_lo
	s_and_b32 s37, s37, exec_lo
	s_and_not1_b32 s33, s33, exec_lo
	s_or_b32 exec_lo, exec_lo, s38
	s_and_saveexec_b32 s1, s33
	s_cbranch_execz .LBB25_37
.LBB25_41:                              ;   in Loop: Header=BB25_3 Depth=1
	v_cmp_eq_u32_e32 vcc_lo, 1, v16
	s_and_not1_b32 s33, s37, exec_lo
	s_mov_b32 s2, exec_lo
	s_and_not1_b32 s36, s36, exec_lo
	s_and_not1_b32 s35, s35, exec_lo
	s_and_b32 s37, vcc_lo, exec_lo
	s_and_not1_b32 s34, s34, exec_lo
	s_and_not1_b32 s3, s3, exec_lo
	s_or_b32 s37, s33, s37
	s_or_b32 exec_lo, exec_lo, s1
	s_and_saveexec_b32 s1, s37
	s_cbranch_execz .LBB25_45
.LBB25_42:                              ;   in Loop: Header=BB25_3 Depth=1
	v_add_nc_u32_e32 v3, s25, v30
	s_mov_b32 s33, 0
	s_delay_alu instid0(VALU_DEP_1) | instskip(NEXT) | instid1(VALU_DEP_1)
	v_cndmask_b32_e64 v3, 0, v3, s0
	v_lshlrev_b64 v[7:8], 2, v[3:4]
	s_delay_alu instid0(VALU_DEP_1) | instskip(NEXT) | instid1(VALU_DEP_2)
	v_add_co_u32 v7, vcc_lo, s10, v7
	v_add_co_ci_u32_e32 v8, vcc_lo, s11, v8, vcc_lo
	global_load_b32 v3, v[7:8], off
	s_waitcnt vmcnt(0)
	v_cmp_le_f32_e32 vcc_lo, 0, v3
	v_cmp_ge_f32_e64 s0, 1.0, v3
	s_delay_alu instid0(VALU_DEP_1) | instskip(NEXT) | instid1(SALU_CYCLE_1)
	s_and_b32 s37, vcc_lo, s0
	s_and_saveexec_b32 s0, s37
	s_cbranch_execz .LBB25_44
; %bb.43:                               ;   in Loop: Header=BB25_3 Depth=1
	v_cvt_f32_u32_e32 v7, v11
	v_add_co_u32 v5, vcc_lo, s12, v5
	v_add_co_ci_u32_e32 v6, vcc_lo, s13, v6, vcc_lo
	s_delay_alu instid0(VALU_DEP_3) | instskip(SKIP_1) | instid1(VALU_DEP_1)
	v_fmaak_f32 v7, 0x2f800000, v7, 0x2f800000
	s_mov_b32 s33, exec_lo
	v_cmp_le_f32_e32 vcc_lo, v7, v3
	v_cndmask_b32_e64 v3, 0, 1, vcc_lo
	global_store_b8 v[5:6], v3, off
.LBB25_44:                              ;   in Loop: Header=BB25_3 Depth=1
	s_or_b32 exec_lo, exec_lo, s0
	s_delay_alu instid0(SALU_CYCLE_1)
	s_and_not1_b32 s0, s2, exec_lo
	s_and_b32 s2, s33, exec_lo
	s_or_b32 s36, s36, exec_lo
	s_and_not1_b32 s35, s35, exec_lo
	s_and_not1_b32 s34, s34, exec_lo
	;; [unrolled: 1-line block ×3, first 2 shown]
	s_or_b32 s2, s0, s2
.LBB25_45:                              ;   in Loop: Header=BB25_3 Depth=1
	s_or_b32 exec_lo, exec_lo, s1
	s_delay_alu instid0(SALU_CYCLE_1)
	s_and_not1_b32 s1, s31, exec_lo
	s_and_b32 s31, s36, exec_lo
	s_and_not1_b32 s29, s29, exec_lo
	s_and_b32 s33, s35, exec_lo
	s_or_b32 s31, s1, s31
	s_and_not1_b32 s1, s30, exec_lo
	s_and_b32 s30, s34, exec_lo
	s_and_not1_b32 s28, s28, exec_lo
	s_and_b32 s3, s3, exec_lo
	s_mov_b32 s0, -1
	s_or_b32 s29, s29, s33
	s_or_b32 s30, s1, s30
	;; [unrolled: 1-line block ×3, first 2 shown]
	s_and_saveexec_b32 s1, s2
	s_cbranch_execz .LBB25_2
; %bb.46:                               ;   in Loop: Header=BB25_3 Depth=1
	v_add_nc_u32_e32 v0, s21, v0
	v_subrev_nc_u32_e32 v31, s21, v31
	s_add_i32 s25, s25, s23
	s_and_not1_b32 s31, s31, exec_lo
	s_and_not1_b32 s29, s29, exec_lo
	v_cmp_le_u32_e32 vcc_lo, s16, v0
	s_and_not1_b32 s30, s30, exec_lo
	s_and_not1_b32 s28, s28, exec_lo
	s_or_not1_b32 s0, vcc_lo, exec_lo
	s_branch .LBB25_2
.LBB25_47:
	s_or_b32 exec_lo, exec_lo, s22
	s_xor_b32 s3, s26, -1
	s_xor_b32 s4, s27, -1
	;; [unrolled: 1-line block ×3, first 2 shown]
	s_mov_b32 s1, 0
	s_and_saveexec_b32 s2, s0
	s_delay_alu instid0(SALU_CYCLE_1)
	s_xor_b32 s0, exec_lo, s2
	s_cbranch_execz .LBB25_56
; %bb.48:
	s_mov_b32 s2, 0
	s_and_saveexec_b32 s1, s4
	s_delay_alu instid0(SALU_CYCLE_1)
	s_xor_b32 s1, exec_lo, s1
	s_cbranch_execz .LBB25_54
; %bb.49:
	s_and_saveexec_b32 s4, s3
	s_delay_alu instid0(SALU_CYCLE_1)
	s_xor_b32 s3, exec_lo, s4
	s_cbranch_execz .LBB25_52
; %bb.50:
	s_and_saveexec_b32 s4, s20
	s_delay_alu instid0(SALU_CYCLE_1)
	s_xor_b32 s4, exec_lo, s4
	s_cbranch_execnz .LBB25_70
.LBB25_51:
	s_or_b32 exec_lo, exec_lo, s4
	s_delay_alu instid0(SALU_CYCLE_1)
	s_and_b32 s2, s2, exec_lo
.LBB25_52:
	s_and_not1_saveexec_b32 s3, s3
	s_cbranch_execnz .LBB25_66
.LBB25_53:
	s_or_b32 exec_lo, exec_lo, s3
	s_delay_alu instid0(SALU_CYCLE_1)
	s_and_b32 s2, s2, exec_lo
.LBB25_54:
	s_and_not1_saveexec_b32 s1, s1
	s_cbranch_execnz .LBB25_62
.LBB25_55:
	s_or_b32 exec_lo, exec_lo, s1
	s_delay_alu instid0(SALU_CYCLE_1)
	s_and_b32 s1, s2, exec_lo
.LBB25_56:
	s_and_not1_saveexec_b32 s0, s0
	s_cbranch_execnz .LBB25_60
; %bb.57:
	s_or_b32 exec_lo, exec_lo, s0
	s_delay_alu instid0(SALU_CYCLE_1)
	s_and_b32 exec_lo, exec_lo, s1
.LBB25_58:
	; divergent unreachable
.LBB25_59:
	s_nop 0
	s_sendmsg sendmsg(MSG_DEALLOC_VGPRS)
	s_endpgm
.LBB25_60:
	s_cbranch_execnz .LBB25_64
; %bb.61:
	s_or_b32 s1, s1, exec_lo
	s_or_b32 exec_lo, exec_lo, s0
	s_delay_alu instid0(SALU_CYCLE_1)
	s_and_b32 exec_lo, exec_lo, s1
	s_cbranch_execnz .LBB25_58
	s_branch .LBB25_59
.LBB25_62:
	s_cbranch_execnz .LBB25_68
; %bb.63:
	s_or_b32 s2, s2, exec_lo
	s_branch .LBB25_55
.LBB25_64:
	s_trap 2
	s_sendmsg_rtn_b32 s0, sendmsg(MSG_RTN_GET_DOORBELL)
	s_mov_b32 ttmp2, m0
	s_waitcnt lgkmcnt(0)
	s_and_b32 s0, s0, 0x3ff
	s_delay_alu instid0(SALU_CYCLE_1) | instskip(NEXT) | instid1(SALU_CYCLE_1)
	s_bitset1_b32 s0, 10
	s_mov_b32 m0, s0
	s_sendmsg sendmsg(MSG_INTERRUPT)
	s_mov_b32 m0, ttmp2
.LBB25_65:                              ; =>This Inner Loop Header: Depth=1
	s_sethalt 5
	s_branch .LBB25_65
.LBB25_66:
	s_cbranch_execnz .LBB25_72
; %bb.67:
	s_or_b32 s2, s2, exec_lo
	s_branch .LBB25_53
.LBB25_68:
	s_trap 2
	s_sendmsg_rtn_b32 s0, sendmsg(MSG_RTN_GET_DOORBELL)
	s_mov_b32 ttmp2, m0
	s_waitcnt lgkmcnt(0)
	s_and_b32 s0, s0, 0x3ff
	s_delay_alu instid0(SALU_CYCLE_1) | instskip(NEXT) | instid1(SALU_CYCLE_1)
	s_bitset1_b32 s0, 10
	s_mov_b32 m0, s0
	s_sendmsg sendmsg(MSG_INTERRUPT)
	s_mov_b32 m0, ttmp2
.LBB25_69:                              ; =>This Inner Loop Header: Depth=1
	s_sethalt 5
	s_branch .LBB25_69
.LBB25_70:
	s_cbranch_execnz .LBB25_74
; %bb.71:
	s_mov_b32 s2, exec_lo
	s_branch .LBB25_51
.LBB25_72:
	s_trap 2
	s_sendmsg_rtn_b32 s0, sendmsg(MSG_RTN_GET_DOORBELL)
	s_mov_b32 ttmp2, m0
	s_waitcnt lgkmcnt(0)
	s_and_b32 s0, s0, 0x3ff
	s_delay_alu instid0(SALU_CYCLE_1) | instskip(NEXT) | instid1(SALU_CYCLE_1)
	s_bitset1_b32 s0, 10
	s_mov_b32 m0, s0
	s_sendmsg sendmsg(MSG_INTERRUPT)
	s_mov_b32 m0, ttmp2
.LBB25_73:                              ; =>This Inner Loop Header: Depth=1
	s_sethalt 5
	s_branch .LBB25_73
.LBB25_74:
	s_trap 2
	s_sendmsg_rtn_b32 s0, sendmsg(MSG_RTN_GET_DOORBELL)
	s_mov_b32 ttmp2, m0
	s_waitcnt lgkmcnt(0)
	s_and_b32 s0, s0, 0x3ff
	s_delay_alu instid0(SALU_CYCLE_1) | instskip(NEXT) | instid1(SALU_CYCLE_1)
	s_bitset1_b32 s0, 10
	s_mov_b32 m0, s0
	s_sendmsg sendmsg(MSG_INTERRUPT)
	s_mov_b32 m0, ttmp2
.LBB25_75:                              ; =>This Inner Loop Header: Depth=1
	s_sethalt 5
	s_branch .LBB25_75
	.section	.rodata,"a",@progbits
	.p2align	6, 0x0
	.amdhsa_kernel _ZN2at4cuda12_GLOBAL__N_121kernelPointwiseApply2IZNS_6native9templates4cuda28bernoulli_tensor_cuda_kernelIafEEvRKNS_10TensorBaseES9_NS_15PhiloxCudaStateEEUliRaSB_SB_SB_RKfSD_SD_SD_E_aSC_jLi2ELi1ELi4ELi512ELi2EEEvNS0_6detail10TensorInfoIT0_T2_EENSG_IT1_SI_EESI_T_
		.amdhsa_group_segment_fixed_size 0
		.amdhsa_private_segment_fixed_size 0
		.amdhsa_kernarg_size 728
		.amdhsa_user_sgpr_count 15
		.amdhsa_user_sgpr_dispatch_ptr 0
		.amdhsa_user_sgpr_queue_ptr 0
		.amdhsa_user_sgpr_kernarg_segment_ptr 1
		.amdhsa_user_sgpr_dispatch_id 0
		.amdhsa_user_sgpr_private_segment_size 0
		.amdhsa_wavefront_size32 1
		.amdhsa_uses_dynamic_stack 0
		.amdhsa_enable_private_segment 0
		.amdhsa_system_sgpr_workgroup_id_x 1
		.amdhsa_system_sgpr_workgroup_id_y 0
		.amdhsa_system_sgpr_workgroup_id_z 0
		.amdhsa_system_sgpr_workgroup_info 0
		.amdhsa_system_vgpr_workitem_id 0
		.amdhsa_next_free_vgpr 44
		.amdhsa_next_free_sgpr 40
		.amdhsa_reserve_vcc 1
		.amdhsa_float_round_mode_32 0
		.amdhsa_float_round_mode_16_64 0
		.amdhsa_float_denorm_mode_32 3
		.amdhsa_float_denorm_mode_16_64 3
		.amdhsa_dx10_clamp 1
		.amdhsa_ieee_mode 1
		.amdhsa_fp16_overflow 0
		.amdhsa_workgroup_processor_mode 1
		.amdhsa_memory_ordered 1
		.amdhsa_forward_progress 0
		.amdhsa_shared_vgpr_count 0
		.amdhsa_exception_fp_ieee_invalid_op 0
		.amdhsa_exception_fp_denorm_src 0
		.amdhsa_exception_fp_ieee_div_zero 0
		.amdhsa_exception_fp_ieee_overflow 0
		.amdhsa_exception_fp_ieee_underflow 0
		.amdhsa_exception_fp_ieee_inexact 0
		.amdhsa_exception_int_div_zero 0
	.end_amdhsa_kernel
	.section	.text._ZN2at4cuda12_GLOBAL__N_121kernelPointwiseApply2IZNS_6native9templates4cuda28bernoulli_tensor_cuda_kernelIafEEvRKNS_10TensorBaseES9_NS_15PhiloxCudaStateEEUliRaSB_SB_SB_RKfSD_SD_SD_E_aSC_jLi2ELi1ELi4ELi512ELi2EEEvNS0_6detail10TensorInfoIT0_T2_EENSG_IT1_SI_EESI_T_,"axG",@progbits,_ZN2at4cuda12_GLOBAL__N_121kernelPointwiseApply2IZNS_6native9templates4cuda28bernoulli_tensor_cuda_kernelIafEEvRKNS_10TensorBaseES9_NS_15PhiloxCudaStateEEUliRaSB_SB_SB_RKfSD_SD_SD_E_aSC_jLi2ELi1ELi4ELi512ELi2EEEvNS0_6detail10TensorInfoIT0_T2_EENSG_IT1_SI_EESI_T_,comdat
.Lfunc_end25:
	.size	_ZN2at4cuda12_GLOBAL__N_121kernelPointwiseApply2IZNS_6native9templates4cuda28bernoulli_tensor_cuda_kernelIafEEvRKNS_10TensorBaseES9_NS_15PhiloxCudaStateEEUliRaSB_SB_SB_RKfSD_SD_SD_E_aSC_jLi2ELi1ELi4ELi512ELi2EEEvNS0_6detail10TensorInfoIT0_T2_EENSG_IT1_SI_EESI_T_, .Lfunc_end25-_ZN2at4cuda12_GLOBAL__N_121kernelPointwiseApply2IZNS_6native9templates4cuda28bernoulli_tensor_cuda_kernelIafEEvRKNS_10TensorBaseES9_NS_15PhiloxCudaStateEEUliRaSB_SB_SB_RKfSD_SD_SD_E_aSC_jLi2ELi1ELi4ELi512ELi2EEEvNS0_6detail10TensorInfoIT0_T2_EENSG_IT1_SI_EESI_T_
                                        ; -- End function
	.section	.AMDGPU.csdata,"",@progbits
; Kernel info:
; codeLenInByte = 3708
; NumSgprs: 42
; NumVgprs: 44
; ScratchSize: 0
; MemoryBound: 0
; FloatMode: 240
; IeeeMode: 1
; LDSByteSize: 0 bytes/workgroup (compile time only)
; SGPRBlocks: 5
; VGPRBlocks: 5
; NumSGPRsForWavesPerEU: 42
; NumVGPRsForWavesPerEU: 44
; Occupancy: 16
; WaveLimiterHint : 1
; COMPUTE_PGM_RSRC2:SCRATCH_EN: 0
; COMPUTE_PGM_RSRC2:USER_SGPR: 15
; COMPUTE_PGM_RSRC2:TRAP_HANDLER: 0
; COMPUTE_PGM_RSRC2:TGID_X_EN: 1
; COMPUTE_PGM_RSRC2:TGID_Y_EN: 0
; COMPUTE_PGM_RSRC2:TGID_Z_EN: 0
; COMPUTE_PGM_RSRC2:TIDIG_COMP_CNT: 0
	.section	.text._ZN2at4cuda12_GLOBAL__N_121kernelPointwiseApply2IZNS_6native9templates4cuda28bernoulli_tensor_cuda_kernelIafEEvRKNS_10TensorBaseES9_NS_15PhiloxCudaStateEEUliRaSB_SB_SB_RKfSD_SD_SD_E_aSC_jLi2ELi2ELi4ELi512ELi2EEEvNS0_6detail10TensorInfoIT0_T2_EENSG_IT1_SI_EESI_T_,"axG",@progbits,_ZN2at4cuda12_GLOBAL__N_121kernelPointwiseApply2IZNS_6native9templates4cuda28bernoulli_tensor_cuda_kernelIafEEvRKNS_10TensorBaseES9_NS_15PhiloxCudaStateEEUliRaSB_SB_SB_RKfSD_SD_SD_E_aSC_jLi2ELi2ELi4ELi512ELi2EEEvNS0_6detail10TensorInfoIT0_T2_EENSG_IT1_SI_EESI_T_,comdat
	.globl	_ZN2at4cuda12_GLOBAL__N_121kernelPointwiseApply2IZNS_6native9templates4cuda28bernoulli_tensor_cuda_kernelIafEEvRKNS_10TensorBaseES9_NS_15PhiloxCudaStateEEUliRaSB_SB_SB_RKfSD_SD_SD_E_aSC_jLi2ELi2ELi4ELi512ELi2EEEvNS0_6detail10TensorInfoIT0_T2_EENSG_IT1_SI_EESI_T_ ; -- Begin function _ZN2at4cuda12_GLOBAL__N_121kernelPointwiseApply2IZNS_6native9templates4cuda28bernoulli_tensor_cuda_kernelIafEEvRKNS_10TensorBaseES9_NS_15PhiloxCudaStateEEUliRaSB_SB_SB_RKfSD_SD_SD_E_aSC_jLi2ELi2ELi4ELi512ELi2EEEvNS0_6detail10TensorInfoIT0_T2_EENSG_IT1_SI_EESI_T_
	.p2align	8
	.type	_ZN2at4cuda12_GLOBAL__N_121kernelPointwiseApply2IZNS_6native9templates4cuda28bernoulli_tensor_cuda_kernelIafEEvRKNS_10TensorBaseES9_NS_15PhiloxCudaStateEEUliRaSB_SB_SB_RKfSD_SD_SD_E_aSC_jLi2ELi2ELi4ELi512ELi2EEEvNS0_6detail10TensorInfoIT0_T2_EENSG_IT1_SI_EESI_T_,@function
_ZN2at4cuda12_GLOBAL__N_121kernelPointwiseApply2IZNS_6native9templates4cuda28bernoulli_tensor_cuda_kernelIafEEvRKNS_10TensorBaseES9_NS_15PhiloxCudaStateEEUliRaSB_SB_SB_RKfSD_SD_SD_E_aSC_jLi2ELi2ELi4ELi512ELi2EEEvNS0_6detail10TensorInfoIT0_T2_EENSG_IT1_SI_EESI_T_: ; @_ZN2at4cuda12_GLOBAL__N_121kernelPointwiseApply2IZNS_6native9templates4cuda28bernoulli_tensor_cuda_kernelIafEEvRKNS_10TensorBaseES9_NS_15PhiloxCudaStateEEUliRaSB_SB_SB_RKfSD_SD_SD_E_aSC_jLi2ELi2ELi4ELi512ELi2EEEvNS0_6detail10TensorInfoIT0_T2_EENSG_IT1_SI_EESI_T_
; %bb.0:
	s_clause 0x1
	s_load_b32 s2, s[0:1], 0x1e4
	s_load_b32 s16, s[0:1], 0x1b0
	s_add_u32 s4, s0, 0x1d8
	s_addc_u32 s5, s1, 0
	s_waitcnt lgkmcnt(0)
	s_and_b32 s22, s2, 0xffff
	s_mov_b32 s2, exec_lo
	v_mad_u64_u32 v[1:2], null, s15, s22, v[0:1]
	s_delay_alu instid0(VALU_DEP_1) | instskip(NEXT) | instid1(VALU_DEP_1)
	v_lshlrev_b32_e32 v0, 2, v1
	v_cmpx_gt_u32_e64 s16, v0
	s_cbranch_execz .LBB26_67
; %bb.1:
	s_clause 0x6
	s_load_b32 s17, s[0:1], 0xc
	s_load_b32 s18, s[0:1], 0xe4
	s_load_b64 s[2:3], s[0:1], 0x6c
	s_load_b64 s[8:9], s[0:1], 0xd8
	;; [unrolled: 1-line block ×3, first 2 shown]
	s_load_b32 s6, s[0:1], 0x1d0
	s_load_b64 s[12:13], s[0:1], 0x0
	s_load_b32 s23, s[4:5], 0x0
	v_sub_nc_u32_e32 v36, s16, v0
                                        ; implicit-def: $sgpr26
                                        ; implicit-def: $sgpr25
                                        ; implicit-def: $sgpr27
                                        ; implicit-def: $sgpr29
                                        ; implicit-def: $sgpr28
                                        ; implicit-def: $sgpr30
	s_waitcnt lgkmcnt(0)
	v_cvt_f32_u32_e32 v2, s17
	v_cvt_f32_u32_e32 v3, s18
	s_delay_alu instid0(VALU_DEP_2) | instskip(NEXT) | instid1(VALU_DEP_1)
	v_rcp_iflag_f32_e32 v2, v2
	v_rcp_iflag_f32_e32 v3, v3
	s_bitcmp1_b32 s6, 0
	s_clause 0x1
	s_load_b64 s[14:15], s[0:1], 0x1c8
	s_load_b128 s[4:7], s[0:1], 0x1b8
	s_cselect_b32 s19, -1, 0
	s_sub_i32 s20, 0, s17
	s_sub_i32 s21, 0, s18
	s_mul_i32 s23, s23, s22
	s_mov_b32 s22, 0
	s_lshl_b32 s24, s23, 2
	s_waitcnt_depctr 0xfff
	v_dual_mul_f32 v2, 0x4f7ffffe, v2 :: v_dual_mul_f32 v3, 0x4f7ffffe, v3
                                        ; implicit-def: $sgpr23
                                        ; implicit-def: $sgpr1
	s_delay_alu instid0(VALU_DEP_1) | instskip(NEXT) | instid1(VALU_DEP_2)
	v_cvt_u32_f32_e32 v5, v2
	v_cvt_u32_f32_e32 v6, v3
	v_mad_u64_u32 v[2:3], null, 0xcd9e8d57, v1, 0
	s_delay_alu instid0(VALU_DEP_3) | instskip(NEXT) | instid1(VALU_DEP_3)
	v_mul_lo_u32 v4, s20, v5
	v_mul_lo_u32 v7, s21, v6
	s_delay_alu instid0(VALU_DEP_3) | instskip(NEXT) | instid1(VALU_DEP_3)
	v_mov_b32_e32 v33, v3
	v_mul_hi_u32 v8, v5, v4
	s_delay_alu instid0(VALU_DEP_3) | instskip(SKIP_1) | instid1(VALU_DEP_3)
	v_mul_hi_u32 v7, v6, v7
	v_mov_b32_e32 v4, 0
	v_add_nc_u32_e32 v34, v5, v8
	s_delay_alu instid0(VALU_DEP_3)
	v_add_nc_u32_e32 v35, v6, v7
	s_branch .LBB26_3
.LBB26_2:                               ;   in Loop: Header=BB26_3 Depth=1
	s_or_b32 exec_lo, exec_lo, s31
	s_delay_alu instid0(SALU_CYCLE_1) | instskip(NEXT) | instid1(SALU_CYCLE_1)
	s_and_b32 s0, exec_lo, s0
	s_or_b32 s22, s0, s22
	s_and_not1_b32 s0, s1, exec_lo
	s_and_b32 s1, s30, exec_lo
	s_and_not1_b32 s25, s25, exec_lo
	s_and_b32 s31, s28, exec_lo
	s_or_b32 s1, s0, s1
	s_or_b32 s25, s25, s31
	s_and_not1_b32 s0, s26, exec_lo
	s_and_b32 s26, s29, exec_lo
	s_and_not1_b32 s23, s23, exec_lo
	s_and_b32 s31, s27, exec_lo
	s_or_b32 s26, s0, s26
	s_or_b32 s23, s23, s31
	s_and_not1_b32 exec_lo, exec_lo, s22
	s_cbranch_execz .LBB26_55
.LBB26_3:                               ; =>This Inner Loop Header: Depth=1
	v_cmp_lt_i32_e32 vcc_lo, 0, v36
	v_mov_b32_e32 v5, 0
	s_and_saveexec_b32 s31, vcc_lo
	s_cbranch_execz .LBB26_5
; %bb.4:                                ;   in Loop: Header=BB26_3 Depth=1
	v_mul_hi_u32 v3, v34, v0
	s_delay_alu instid0(VALU_DEP_1) | instskip(SKIP_2) | instid1(VALU_DEP_3)
	v_not_b32_e32 v8, v3
	v_mad_u64_u32 v[5:6], null, s20, v3, v[0:1]
	v_add_nc_u32_e32 v9, 1, v3
	v_mad_u64_u32 v[6:7], null, s17, v8, v[0:1]
	s_delay_alu instid0(VALU_DEP_3) | instskip(NEXT) | instid1(VALU_DEP_1)
	v_cmp_le_u32_e64 s0, s17, v5
	v_cndmask_b32_e64 v3, v3, v9, s0
	s_delay_alu instid0(VALU_DEP_3) | instskip(NEXT) | instid1(VALU_DEP_2)
	v_cndmask_b32_e64 v5, v5, v6, s0
	v_add_nc_u32_e32 v6, 1, v3
	s_delay_alu instid0(VALU_DEP_2) | instskip(NEXT) | instid1(VALU_DEP_1)
	v_cmp_le_u32_e64 s0, s17, v5
	v_cndmask_b32_e64 v7, v3, v6, s0
	s_delay_alu instid0(VALU_DEP_1) | instskip(NEXT) | instid1(VALU_DEP_1)
	v_mad_u64_u32 v[5:6], null, s20, v7, v[0:1]
	v_mul_lo_u32 v3, v5, s3
	s_delay_alu instid0(VALU_DEP_1)
	v_mad_u64_u32 v[5:6], null, v7, s2, v[3:4]
.LBB26_5:                               ;   in Loop: Header=BB26_3 Depth=1
	s_or_b32 exec_lo, exec_lo, s31
	v_mov_b32_e32 v3, 0
	s_and_saveexec_b32 s0, vcc_lo
	s_cbranch_execz .LBB26_7
; %bb.6:                                ;   in Loop: Header=BB26_3 Depth=1
	v_mul_hi_u32 v3, v35, v0
	s_delay_alu instid0(VALU_DEP_1) | instskip(SKIP_2) | instid1(VALU_DEP_3)
	v_not_b32_e32 v9, v3
	v_mad_u64_u32 v[6:7], null, s21, v3, v[0:1]
	v_add_nc_u32_e32 v10, 1, v3
	v_mad_u64_u32 v[7:8], null, s18, v9, v[0:1]
	s_delay_alu instid0(VALU_DEP_3) | instskip(NEXT) | instid1(VALU_DEP_2)
	v_cmp_le_u32_e32 vcc_lo, s18, v6
	v_dual_cndmask_b32 v3, v3, v10 :: v_dual_cndmask_b32 v6, v6, v7
	s_delay_alu instid0(VALU_DEP_1) | instskip(NEXT) | instid1(VALU_DEP_2)
	v_add_nc_u32_e32 v7, 1, v3
	v_cmp_le_u32_e32 vcc_lo, s18, v6
	s_delay_alu instid0(VALU_DEP_2) | instskip(NEXT) | instid1(VALU_DEP_1)
	v_cndmask_b32_e32 v8, v3, v7, vcc_lo
	v_mad_u64_u32 v[6:7], null, s21, v8, v[0:1]
	s_delay_alu instid0(VALU_DEP_1) | instskip(NEXT) | instid1(VALU_DEP_1)
	v_mul_lo_u32 v3, v6, s11
	v_mad_u64_u32 v[6:7], null, v8, s10, v[3:4]
	s_delay_alu instid0(VALU_DEP_1)
	v_mov_b32_e32 v3, v6
.LBB26_7:                               ;   in Loop: Header=BB26_3 Depth=1
	s_or_b32 exec_lo, exec_lo, s0
	v_mov_b32_e32 v8, 0
	v_dual_mov_b32 v9, 0 :: v_dual_add_nc_u32 v10, 1, v0
	v_cmp_lt_i32_e32 vcc_lo, 1, v36
	s_delay_alu instid0(VALU_DEP_2)
	v_dual_mov_b32 v6, v8 :: v_dual_mov_b32 v7, v9
	s_and_saveexec_b32 s31, vcc_lo
	s_cbranch_execz .LBB26_9
; %bb.8:                                ;   in Loop: Header=BB26_3 Depth=1
	v_mul_hi_u32 v6, v10, v34
	s_delay_alu instid0(VALU_DEP_1) | instskip(SKIP_1) | instid1(VALU_DEP_2)
	v_mul_lo_u32 v7, v6, s17
	v_add_nc_u32_e32 v11, 1, v6
	v_sub_nc_u32_e32 v7, v10, v7
	s_delay_alu instid0(VALU_DEP_1) | instskip(SKIP_1) | instid1(VALU_DEP_1)
	v_subrev_nc_u32_e32 v12, s17, v7
	v_cmp_le_u32_e64 s0, s17, v7
	v_cndmask_b32_e64 v6, v6, v11, s0
	s_delay_alu instid0(VALU_DEP_3) | instskip(NEXT) | instid1(VALU_DEP_2)
	v_cndmask_b32_e64 v7, v7, v12, s0
	v_add_nc_u32_e32 v11, 1, v6
	s_delay_alu instid0(VALU_DEP_2) | instskip(NEXT) | instid1(VALU_DEP_1)
	v_cmp_le_u32_e64 s0, s17, v7
	v_cndmask_b32_e64 v12, v6, v11, s0
	s_delay_alu instid0(VALU_DEP_1) | instskip(NEXT) | instid1(VALU_DEP_1)
	v_mul_lo_u32 v6, v12, s17
	v_sub_nc_u32_e32 v6, v10, v6
	s_delay_alu instid0(VALU_DEP_1) | instskip(NEXT) | instid1(VALU_DEP_1)
	v_mul_lo_u32 v11, v6, s3
	v_mad_u64_u32 v[6:7], null, v12, s2, v[11:12]
	v_mov_b32_e32 v7, v4
.LBB26_9:                               ;   in Loop: Header=BB26_3 Depth=1
	s_or_b32 exec_lo, exec_lo, s31
	s_and_saveexec_b32 s0, vcc_lo
	s_cbranch_execz .LBB26_11
; %bb.10:                               ;   in Loop: Header=BB26_3 Depth=1
	v_mul_hi_u32 v8, v10, v35
	s_delay_alu instid0(VALU_DEP_1) | instskip(SKIP_1) | instid1(VALU_DEP_2)
	v_mul_lo_u32 v9, v8, s18
	v_add_nc_u32_e32 v11, 1, v8
	v_sub_nc_u32_e32 v9, v10, v9
	s_delay_alu instid0(VALU_DEP_1) | instskip(SKIP_1) | instid1(VALU_DEP_2)
	v_subrev_nc_u32_e32 v12, s18, v9
	v_cmp_le_u32_e32 vcc_lo, s18, v9
	v_dual_cndmask_b32 v8, v8, v11 :: v_dual_cndmask_b32 v9, v9, v12
	s_delay_alu instid0(VALU_DEP_1) | instskip(NEXT) | instid1(VALU_DEP_2)
	v_add_nc_u32_e32 v11, 1, v8
	v_cmp_le_u32_e32 vcc_lo, s18, v9
	s_delay_alu instid0(VALU_DEP_2) | instskip(NEXT) | instid1(VALU_DEP_1)
	v_cndmask_b32_e32 v11, v8, v11, vcc_lo
	v_mul_lo_u32 v8, v11, s18
	s_delay_alu instid0(VALU_DEP_1) | instskip(NEXT) | instid1(VALU_DEP_1)
	v_sub_nc_u32_e32 v8, v10, v8
	v_mul_lo_u32 v10, v8, s11
	s_delay_alu instid0(VALU_DEP_1)
	v_mad_u64_u32 v[8:9], null, v11, s10, v[10:11]
	v_mov_b32_e32 v9, v4
.LBB26_11:                              ;   in Loop: Header=BB26_3 Depth=1
	s_or_b32 exec_lo, exec_lo, s0
	v_mov_b32_e32 v12, 0
	v_dual_mov_b32 v13, 0 :: v_dual_add_nc_u32 v14, 2, v0
	v_cmp_lt_i32_e32 vcc_lo, 2, v36
	s_delay_alu instid0(VALU_DEP_2)
	v_dual_mov_b32 v10, v12 :: v_dual_mov_b32 v11, v13
	s_and_saveexec_b32 s31, vcc_lo
	s_cbranch_execz .LBB26_13
; %bb.12:                               ;   in Loop: Header=BB26_3 Depth=1
	v_mul_hi_u32 v10, v14, v34
	s_delay_alu instid0(VALU_DEP_1) | instskip(SKIP_1) | instid1(VALU_DEP_2)
	v_mul_lo_u32 v11, v10, s17
	v_add_nc_u32_e32 v15, 1, v10
	v_sub_nc_u32_e32 v11, v14, v11
	s_delay_alu instid0(VALU_DEP_1) | instskip(SKIP_1) | instid1(VALU_DEP_1)
	v_subrev_nc_u32_e32 v16, s17, v11
	v_cmp_le_u32_e64 s0, s17, v11
	v_cndmask_b32_e64 v10, v10, v15, s0
	s_delay_alu instid0(VALU_DEP_3) | instskip(NEXT) | instid1(VALU_DEP_2)
	v_cndmask_b32_e64 v11, v11, v16, s0
	v_add_nc_u32_e32 v15, 1, v10
	s_delay_alu instid0(VALU_DEP_2) | instskip(NEXT) | instid1(VALU_DEP_1)
	v_cmp_le_u32_e64 s0, s17, v11
	v_cndmask_b32_e64 v16, v10, v15, s0
	s_delay_alu instid0(VALU_DEP_1) | instskip(NEXT) | instid1(VALU_DEP_1)
	v_mul_lo_u32 v10, v16, s17
	v_sub_nc_u32_e32 v10, v14, v10
	s_delay_alu instid0(VALU_DEP_1) | instskip(NEXT) | instid1(VALU_DEP_1)
	v_mul_lo_u32 v15, v10, s3
	v_mad_u64_u32 v[10:11], null, v16, s2, v[15:16]
	v_mov_b32_e32 v11, v4
.LBB26_13:                              ;   in Loop: Header=BB26_3 Depth=1
	s_or_b32 exec_lo, exec_lo, s31
	s_and_saveexec_b32 s0, vcc_lo
	s_cbranch_execz .LBB26_15
; %bb.14:                               ;   in Loop: Header=BB26_3 Depth=1
	v_mul_hi_u32 v12, v14, v35
	s_delay_alu instid0(VALU_DEP_1) | instskip(SKIP_1) | instid1(VALU_DEP_2)
	v_mul_lo_u32 v13, v12, s18
	v_add_nc_u32_e32 v15, 1, v12
	v_sub_nc_u32_e32 v13, v14, v13
	s_delay_alu instid0(VALU_DEP_1) | instskip(SKIP_1) | instid1(VALU_DEP_2)
	v_subrev_nc_u32_e32 v16, s18, v13
	v_cmp_le_u32_e32 vcc_lo, s18, v13
	v_dual_cndmask_b32 v12, v12, v15 :: v_dual_cndmask_b32 v13, v13, v16
	s_delay_alu instid0(VALU_DEP_1) | instskip(NEXT) | instid1(VALU_DEP_2)
	v_add_nc_u32_e32 v15, 1, v12
	v_cmp_le_u32_e32 vcc_lo, s18, v13
	s_delay_alu instid0(VALU_DEP_2) | instskip(NEXT) | instid1(VALU_DEP_1)
	v_cndmask_b32_e32 v15, v12, v15, vcc_lo
	v_mul_lo_u32 v12, v15, s18
	s_delay_alu instid0(VALU_DEP_1) | instskip(NEXT) | instid1(VALU_DEP_1)
	v_sub_nc_u32_e32 v12, v14, v12
	v_mul_lo_u32 v14, v12, s11
	s_delay_alu instid0(VALU_DEP_1)
	v_mad_u64_u32 v[12:13], null, v15, s10, v[14:15]
	v_mov_b32_e32 v13, v4
.LBB26_15:                              ;   in Loop: Header=BB26_3 Depth=1
	s_or_b32 exec_lo, exec_lo, s0
	v_mov_b32_e32 v14, 0
	v_dual_mov_b32 v15, 0 :: v_dual_add_nc_u32 v18, 3, v0
	v_cmp_lt_i32_e32 vcc_lo, 3, v36
	s_delay_alu instid0(VALU_DEP_2)
	v_dual_mov_b32 v17, v15 :: v_dual_mov_b32 v16, v14
	s_and_saveexec_b32 s31, vcc_lo
	s_cbranch_execz .LBB26_17
; %bb.16:                               ;   in Loop: Header=BB26_3 Depth=1
	v_mul_hi_u32 v16, v18, v34
	s_delay_alu instid0(VALU_DEP_1) | instskip(SKIP_1) | instid1(VALU_DEP_2)
	v_mul_lo_u32 v17, v16, s17
	v_add_nc_u32_e32 v19, 1, v16
	v_sub_nc_u32_e32 v17, v18, v17
	s_delay_alu instid0(VALU_DEP_1) | instskip(SKIP_1) | instid1(VALU_DEP_1)
	v_subrev_nc_u32_e32 v20, s17, v17
	v_cmp_le_u32_e64 s0, s17, v17
	v_cndmask_b32_e64 v16, v16, v19, s0
	s_delay_alu instid0(VALU_DEP_3) | instskip(NEXT) | instid1(VALU_DEP_2)
	v_cndmask_b32_e64 v17, v17, v20, s0
	v_add_nc_u32_e32 v19, 1, v16
	s_delay_alu instid0(VALU_DEP_2) | instskip(NEXT) | instid1(VALU_DEP_1)
	v_cmp_le_u32_e64 s0, s17, v17
	v_cndmask_b32_e64 v20, v16, v19, s0
	s_delay_alu instid0(VALU_DEP_1) | instskip(NEXT) | instid1(VALU_DEP_1)
	v_mul_lo_u32 v16, v20, s17
	v_sub_nc_u32_e32 v16, v18, v16
	s_delay_alu instid0(VALU_DEP_1) | instskip(NEXT) | instid1(VALU_DEP_1)
	v_mul_lo_u32 v19, v16, s3
	v_mad_u64_u32 v[16:17], null, v20, s2, v[19:20]
	v_mov_b32_e32 v17, v4
.LBB26_17:                              ;   in Loop: Header=BB26_3 Depth=1
	s_or_b32 exec_lo, exec_lo, s31
	s_and_saveexec_b32 s0, vcc_lo
	s_cbranch_execz .LBB26_19
; %bb.18:                               ;   in Loop: Header=BB26_3 Depth=1
	v_mul_hi_u32 v14, v18, v35
	s_delay_alu instid0(VALU_DEP_1) | instskip(SKIP_1) | instid1(VALU_DEP_2)
	v_mul_lo_u32 v15, v14, s18
	v_add_nc_u32_e32 v19, 1, v14
	v_sub_nc_u32_e32 v15, v18, v15
	s_delay_alu instid0(VALU_DEP_1) | instskip(SKIP_1) | instid1(VALU_DEP_2)
	v_subrev_nc_u32_e32 v20, s18, v15
	v_cmp_le_u32_e32 vcc_lo, s18, v15
	v_dual_cndmask_b32 v14, v14, v19 :: v_dual_cndmask_b32 v15, v15, v20
	s_delay_alu instid0(VALU_DEP_1) | instskip(NEXT) | instid1(VALU_DEP_2)
	v_add_nc_u32_e32 v19, 1, v14
	v_cmp_le_u32_e32 vcc_lo, s18, v15
	s_delay_alu instid0(VALU_DEP_2) | instskip(NEXT) | instid1(VALU_DEP_1)
	v_cndmask_b32_e32 v19, v14, v19, vcc_lo
	v_mul_lo_u32 v14, v19, s18
	s_delay_alu instid0(VALU_DEP_1) | instskip(NEXT) | instid1(VALU_DEP_1)
	v_sub_nc_u32_e32 v14, v18, v14
	v_mul_lo_u32 v18, v14, s11
	s_delay_alu instid0(VALU_DEP_1)
	v_mad_u64_u32 v[14:15], null, v19, s10, v[18:19]
	v_mov_b32_e32 v15, v4
.LBB26_19:                              ;   in Loop: Header=BB26_3 Depth=1
	s_or_b32 exec_lo, exec_lo, s0
	s_delay_alu instid0(VALU_DEP_1) | instskip(SKIP_3) | instid1(VALU_DEP_3)
	v_lshlrev_b64 v[14:15], 2, v[14:15]
	s_waitcnt lgkmcnt(0)
	v_dual_mov_b32 v21, s7 :: v_dual_mov_b32 v20, s6
	v_dual_mov_b32 v23, s5 :: v_dual_mov_b32 v22, s4
	v_add_co_u32 v14, vcc_lo, s8, v14
	s_delay_alu instid0(VALU_DEP_4)
	v_add_co_ci_u32_e32 v15, vcc_lo, s9, v15, vcc_lo
	s_and_not1_b32 vcc_lo, exec_lo, s19
	global_load_b32 v37, v[14:15], off
	s_cbranch_vccnz .LBB26_21
; %bb.20:                               ;   in Loop: Header=BB26_3 Depth=1
	v_dual_mov_b32 v15, s7 :: v_dual_mov_b32 v14, s6
	v_dual_mov_b32 v19, s5 :: v_dual_mov_b32 v18, s4
	flat_load_b64 v[14:15], v[14:15]
	flat_load_b64 v[22:23], v[18:19]
	s_waitcnt vmcnt(1) lgkmcnt(1)
	v_add_co_u32 v20, vcc_lo, v14, s14
	v_add_co_ci_u32_e32 v21, vcc_lo, s15, v15, vcc_lo
.LBB26_21:                              ;   in Loop: Header=BB26_3 Depth=1
	s_delay_alu instid0(VALU_DEP_1)
	v_alignbit_b32 v24, v21, v20, 2
	v_lshrrev_b32_e32 v18, 2, v21
	s_waitcnt vmcnt(0) lgkmcnt(0)
	v_add_nc_u32_e32 v39, 0xbb67ae85, v23
	v_add_nc_u32_e32 v40, 0x3c6ef372, v22
	;; [unrolled: 1-line block ×3, first 2 shown]
	v_add_co_u32 v19, vcc_lo, v24, 1
	s_delay_alu instid0(VALU_DEP_1) | instskip(SKIP_4) | instid1(VALU_DEP_4)
	v_cndmask_b32_e64 v14, 0, 1, vcc_lo
	v_add_co_ci_u32_e32 v21, vcc_lo, 0, v18, vcc_lo
	v_xor3_b32 v26, v33, v22, v18
	v_add_nc_u32_e32 v43, 0xed9eba14, v23
	v_add_nc_u32_e32 v44, 0x1fd5c5a3, v23
	v_cmp_eq_u32_e32 vcc_lo, 0, v21
	s_mov_b32 s0, exec_lo
	v_dual_cndmask_b32 v25, 0, v14 :: v_dual_add_nc_u32 v42, 0x32370b8f, v23
	v_mad_u64_u32 v[14:15], null, 0xd2511f53, v19, 0
	v_mad_u64_u32 v[18:19], null, 0xd2511f53, v24, 0
	s_delay_alu instid0(VALU_DEP_3) | instskip(NEXT) | instid1(VALU_DEP_3)
	v_add_nc_u32_e32 v28, v25, v1
	v_xor_b32_e32 v15, v15, v23
	s_delay_alu instid0(VALU_DEP_2) | instskip(SKIP_1) | instid1(VALU_DEP_1)
	v_cmp_eq_u32_e32 vcc_lo, 0, v28
	v_dual_cndmask_b32 v25, 0, v25 :: v_dual_add_nc_u32 v38, 0x9e3779b9, v22
	v_xor_b32_e32 v15, v25, v15
	v_mad_u64_u32 v[24:25], null, 0xd2511f53, v26, 0
	v_mad_u64_u32 v[26:27], null, 0xcd9e8d57, v28, 0
	s_delay_alu instid0(VALU_DEP_3) | instskip(SKIP_1) | instid1(VALU_DEP_4)
	v_mad_u64_u32 v[28:29], null, 0xcd9e8d57, v15, 0
	v_xor_b32_e32 v15, v19, v23
	v_xor3_b32 v30, v39, v25, v18
	s_delay_alu instid0(VALU_DEP_2) | instskip(SKIP_2) | instid1(VALU_DEP_4)
	v_mad_u64_u32 v[18:19], null, 0xcd9e8d57, v15, 0
	v_xor3_b32 v15, v27, v22, v21
	v_xor3_b32 v21, v38, v29, v26
	v_mad_u64_u32 v[25:26], null, 0xcd9e8d57, v30, 0
	s_delay_alu instid0(VALU_DEP_3) | instskip(NEXT) | instid1(VALU_DEP_3)
	v_mad_u64_u32 v[29:30], null, 0xd2511f53, v15, 0
	v_mad_u64_u32 v[31:32], null, 0xd2511f53, v21, 0
	v_xor3_b32 v15, v2, v19, v38
	s_delay_alu instid0(VALU_DEP_4) | instskip(SKIP_2) | instid1(VALU_DEP_4)
	v_xor3_b32 v26, v40, v26, v18
	v_add_nc_u32_e32 v21, 0xdaa66d2b, v22
	v_xor3_b32 v30, v39, v30, v14
	v_mad_u64_u32 v[18:19], null, 0xd2511f53, v15, 0
	v_xor3_b32 v32, v41, v32, v29
	v_mad_u64_u32 v[14:15], null, 0xd2511f53, v26, 0
	s_delay_alu instid0(VALU_DEP_4) | instskip(NEXT) | instid1(VALU_DEP_3)
	v_mad_u64_u32 v[26:27], null, 0xcd9e8d57, v30, 0
	v_mad_u64_u32 v[29:30], null, 0xcd9e8d57, v32, 0
	v_xor3_b32 v24, v41, v19, v24
	v_add_nc_u32_e32 v32, 0x78dde6e4, v22
	v_xor3_b32 v15, v42, v15, v18
	s_delay_alu instid0(VALU_DEP_3) | instskip(SKIP_2) | instid1(VALU_DEP_4)
	v_mad_u64_u32 v[18:19], null, 0xcd9e8d57, v24, 0
	v_xor3_b32 v24, v40, v27, v28
	v_xor3_b32 v28, v21, v30, v26
	v_mad_u64_u32 v[26:27], null, 0xcd9e8d57, v15, 0
	s_delay_alu instid0(VALU_DEP_3) | instskip(NEXT) | instid1(VALU_DEP_3)
	v_mad_u64_u32 v[38:39], null, 0xd2511f53, v24, 0
	v_mad_u64_u32 v[40:41], null, 0xd2511f53, v28, 0
	v_xor3_b32 v15, v21, v19, v25
	s_delay_alu instid0(VALU_DEP_4) | instskip(SKIP_2) | instid1(VALU_DEP_4)
	v_xor3_b32 v24, v32, v27, v18
	v_add_nc_u32_e32 v21, 0x1715609d, v22
	v_add_nc_u32_e32 v28, 0xa9066899, v23
	v_mad_u64_u32 v[18:19], null, 0xd2511f53, v15, 0
	v_xor3_b32 v15, v42, v39, v31
	v_xor3_b32 v27, v43, v41, v38
	v_mad_u64_u32 v[30:31], null, 0xd2511f53, v24, 0
	v_add_nc_u32_e32 v39, 0xb54cda56, v22
	s_delay_alu instid0(VALU_DEP_4) | instskip(NEXT) | instid1(VALU_DEP_4)
	v_mad_u64_u32 v[24:25], null, 0xcd9e8d57, v15, 0
	v_mad_u64_u32 v[41:42], null, 0xcd9e8d57, v27, 0
	v_xor3_b32 v19, v43, v19, v14
	v_xor3_b32 v27, v28, v31, v18
	v_add_nc_u32_e32 v38, 0x646e171e, v23
	v_xor3_b32 v29, v32, v25, v29
	s_delay_alu instid0(VALU_DEP_4) | instskip(SKIP_2) | instid1(VALU_DEP_4)
	v_mad_u64_u32 v[14:15], null, 0xcd9e8d57, v19, 0
	v_xor3_b32 v31, v21, v42, v24
	v_mad_u64_u32 v[18:19], null, 0xcd9e8d57, v27, 0
	v_mad_u64_u32 v[24:25], null, 0xd2511f53, v29, 0
	s_delay_alu instid0(VALU_DEP_3) | instskip(SKIP_3) | instid1(VALU_DEP_3)
	v_mad_u64_u32 v[42:43], null, 0xd2511f53, v31, 0
	v_xor3_b32 v21, v21, v15, v26
	v_add_nc_u32_e32 v29, 0x5384540f, v22
	v_xor3_b32 v19, v39, v19, v14
	v_mad_u64_u32 v[14:15], null, 0xd2511f53, v21, 0
	v_xor3_b32 v21, v28, v25, v40
	v_xor3_b32 v26, v38, v43, v24
	s_delay_alu instid0(VALU_DEP_4) | instskip(NEXT) | instid1(VALU_DEP_3)
	v_mad_u64_u32 v[24:25], null, 0xd2511f53, v19, 0
	v_mad_u64_u32 v[31:32], null, 0xcd9e8d57, v21, 0
	s_delay_alu instid0(VALU_DEP_3) | instskip(SKIP_1) | instid1(VALU_DEP_4)
	v_mad_u64_u32 v[27:28], null, 0xcd9e8d57, v26, 0
	v_xor3_b32 v19, v38, v15, v30
	v_xor3_b32 v21, v44, v25, v14
	v_add_co_u32 v38, null, 0xf1bbcdc8, v22
	s_delay_alu instid0(VALU_DEP_3) | instskip(SKIP_4) | instid1(VALU_DEP_4)
	v_mad_u64_u32 v[14:15], null, 0xcd9e8d57, v19, 0
	v_xor3_b32 v19, v39, v32, v41
	v_xor3_b32 v28, v29, v28, v31
	v_mad_u64_u32 v[25:26], null, 0xcd9e8d57, v21, 0
	v_add_nc_u32_e32 v39, 0xdb3d7428, v23
	v_mad_u64_u32 v[40:41], null, 0xd2511f53, v19, 0
	s_delay_alu instid0(VALU_DEP_4) | instskip(SKIP_4) | instid1(VALU_DEP_4)
	v_mad_u64_u32 v[30:31], null, 0xd2511f53, v28, 0
	v_xor3_b32 v15, v29, v15, v18
	v_xor3_b32 v18, v38, v26, v14
	v_add_nc_u32_e32 v26, 0x8ff34781, v22
	v_xor3_b32 v19, v44, v41, v42
	v_mad_u64_u32 v[28:29], null, 0xd2511f53, v15, 0
	v_xor3_b32 v21, v39, v31, v40
	v_mad_u64_u32 v[14:15], null, 0xd2511f53, v18, 0
	s_delay_alu instid0(VALU_DEP_4) | instskip(NEXT) | instid1(VALU_DEP_3)
	v_mad_u64_u32 v[31:32], null, 0xcd9e8d57, v19, 0
	v_mad_u64_u32 v[18:19], null, 0xcd9e8d57, v21, 0
	v_add_nc_u32_e32 v40, 0x96a522ad, v23
	v_and_b32_e32 v23, 3, v20
                                        ; implicit-def: $vgpr21
	s_delay_alu instid0(VALU_DEP_2) | instskip(NEXT) | instid1(VALU_DEP_4)
	v_xor3_b32 v22, v15, v28, v40
	v_xor3_b32 v15, v19, v31, v26
	s_delay_alu instid0(VALU_DEP_3)
	v_cmpx_lt_i32_e32 1, v23
	s_xor_b32 s0, exec_lo, s0
	s_cbranch_execz .LBB26_27
; %bb.22:                               ;   in Loop: Header=BB26_3 Depth=1
	s_mov_b32 s31, exec_lo
                                        ; implicit-def: $vgpr21
	v_cmpx_lt_i32_e32 2, v23
	s_xor_b32 s31, exec_lo, s31
; %bb.23:                               ;   in Loop: Header=BB26_3 Depth=1
	v_xor3_b32 v19, v38, v32, v27
                                        ; implicit-def: $vgpr22
	s_delay_alu instid0(VALU_DEP_1) | instskip(NEXT) | instid1(VALU_DEP_1)
	v_mul_hi_u32 v19, 0xd2511f53, v19
	v_xor3_b32 v21, v19, v30, v40
; %bb.24:                               ;   in Loop: Header=BB26_3 Depth=1
	s_and_not1_saveexec_b32 s31, s31
; %bb.25:                               ;   in Loop: Header=BB26_3 Depth=1
	v_dual_mov_b32 v21, v18 :: v_dual_mov_b32 v18, v15
	v_mov_b32_e32 v15, v14
	v_mov_b32_e32 v14, v22
; %bb.26:                               ;   in Loop: Header=BB26_3 Depth=1
	s_or_b32 exec_lo, exec_lo, s31
                                        ; implicit-def: $vgpr24_vgpr25
                                        ; implicit-def: $vgpr23
                                        ; implicit-def: $vgpr22
                                        ; implicit-def: $vgpr39
                                        ; implicit-def: $vgpr28_vgpr29
                                        ; implicit-def: $vgpr25_vgpr26
                                        ; implicit-def: $vgpr26
.LBB26_27:                              ;   in Loop: Header=BB26_3 Depth=1
	s_and_not1_saveexec_b32 s0, s0
	s_cbranch_execz .LBB26_31
; %bb.28:                               ;   in Loop: Header=BB26_3 Depth=1
	v_xor3_b32 v18, v39, v29, v24
	v_cmp_eq_u32_e32 vcc_lo, 1, v23
	s_delay_alu instid0(VALU_DEP_2) | instskip(SKIP_2) | instid1(VALU_DEP_3)
	v_mad_u64_u32 v[19:20], null, 0xcd9e8d57, v18, 0
	v_mov_b32_e32 v21, v14
	v_mov_b32_e32 v18, v22
	v_xor3_b32 v23, v20, v25, v26
	s_delay_alu instid0(VALU_DEP_4)
	v_mov_b32_e32 v20, v19
	s_and_saveexec_b32 s31, vcc_lo
; %bb.29:                               ;   in Loop: Header=BB26_3 Depth=1
	v_dual_mov_b32 v21, v15 :: v_dual_mov_b32 v18, v14
	v_dual_mov_b32 v20, v22 :: v_dual_mov_b32 v23, v19
; %bb.30:                               ;   in Loop: Header=BB26_3 Depth=1
	s_or_b32 exec_lo, exec_lo, s31
	s_delay_alu instid0(VALU_DEP_1)
	v_dual_mov_b32 v14, v23 :: v_dual_mov_b32 v15, v20
.LBB26_31:                              ;   in Loop: Header=BB26_3 Depth=1
	s_or_b32 exec_lo, exec_lo, s0
	v_min_i32_e32 v19, 4, v36
	s_mov_b32 s31, 0
	s_mov_b32 s38, 0
                                        ; implicit-def: $sgpr33
                                        ; implicit-def: $sgpr34
                                        ; implicit-def: $sgpr35
	s_mov_b32 s0, exec_lo
	s_delay_alu instid0(VALU_DEP_1)
	v_cmpx_lt_i32_e32 2, v19
	s_xor_b32 s36, exec_lo, s0
	s_cbranch_execz .LBB26_41
; %bb.32:                               ;   in Loop: Header=BB26_3 Depth=1
	s_mov_b32 s35, -1
	s_mov_b32 s34, exec_lo
                                        ; implicit-def: $sgpr33
                                        ; implicit-def: $sgpr37
	v_cmpx_lt_i32_e32 3, v19
	s_cbranch_execz .LBB26_36
; %bb.33:                               ;   in Loop: Header=BB26_3 Depth=1
	v_cmp_le_f32_e32 vcc_lo, 0, v37
	v_cmp_ge_f32_e64 s0, 1.0, v37
	s_mov_b32 s33, 0
	s_delay_alu instid0(VALU_DEP_1)
	s_and_b32 s37, vcc_lo, s0
	s_mov_b32 s0, 0
	s_and_saveexec_b32 s35, s37
	s_cbranch_execz .LBB26_35
; %bb.34:                               ;   in Loop: Header=BB26_3 Depth=1
	v_cvt_f32_u32_e32 v20, v21
	v_add_co_u32 v16, vcc_lo, s12, v16
	v_add_co_ci_u32_e32 v17, vcc_lo, s13, v17, vcc_lo
	s_delay_alu instid0(VALU_DEP_3) | instskip(SKIP_1) | instid1(VALU_DEP_1)
	v_fmaak_f32 v20, 0x2f800000, v20, 0x2f800000
	s_mov_b32 s0, exec_lo
	v_cmp_le_f32_e32 vcc_lo, v20, v37
	v_cndmask_b32_e64 v20, 0, 1, vcc_lo
	global_store_b8 v[16:17], v20, off
.LBB26_35:                              ;   in Loop: Header=BB26_3 Depth=1
	s_or_b32 exec_lo, exec_lo, s35
	s_mov_b32 s37, -1
	s_or_not1_b32 s35, s0, exec_lo
.LBB26_36:                              ;   in Loop: Header=BB26_3 Depth=1
	s_or_b32 exec_lo, exec_lo, s34
	s_mov_b32 s0, 0
	s_mov_b32 s38, s33
	s_and_saveexec_b32 s34, s35
	s_cbranch_execz .LBB26_40
; %bb.37:                               ;   in Loop: Header=BB26_3 Depth=1
	v_lshlrev_b64 v[12:13], 2, v[12:13]
	s_delay_alu instid0(VALU_DEP_1) | instskip(NEXT) | instid1(VALU_DEP_2)
	v_add_co_u32 v12, vcc_lo, s8, v12
	v_add_co_ci_u32_e32 v13, vcc_lo, s9, v13, vcc_lo
	global_load_b32 v12, v[12:13], off
	s_waitcnt vmcnt(0)
	v_cmp_le_f32_e32 vcc_lo, 0, v12
	v_cmp_ge_f32_e64 s0, 1.0, v12
	s_delay_alu instid0(VALU_DEP_1) | instskip(SKIP_2) | instid1(SALU_CYCLE_1)
	s_and_b32 s35, vcc_lo, s0
	s_mov_b32 s0, 0
	s_and_saveexec_b32 s38, s35
	s_xor_b32 s35, exec_lo, s38
	s_cbranch_execz .LBB26_39
; %bb.38:                               ;   in Loop: Header=BB26_3 Depth=1
	v_cvt_f32_u32_e32 v13, v18
	v_add_co_u32 v10, vcc_lo, s12, v10
	v_add_co_ci_u32_e32 v11, vcc_lo, s13, v11, vcc_lo
	s_delay_alu instid0(VALU_DEP_3) | instskip(SKIP_1) | instid1(VALU_DEP_1)
	v_fmaak_f32 v13, 0x2f800000, v13, 0x2f800000
	s_mov_b32 s0, exec_lo
	v_cmp_le_f32_e32 vcc_lo, v13, v12
	v_cndmask_b32_e64 v12, 0, 1, vcc_lo
	global_store_b8 v[10:11], v12, off
.LBB26_39:                              ;   in Loop: Header=BB26_3 Depth=1
	s_or_b32 exec_lo, exec_lo, s35
	s_delay_alu instid0(SALU_CYCLE_1)
	s_and_not1_b32 s38, s33, exec_lo
	s_or_b32 s33, s33, exec_lo
	s_and_not1_b32 s37, s37, exec_lo
	s_and_b32 s0, s0, exec_lo
.LBB26_40:                              ;   in Loop: Header=BB26_3 Depth=1
	s_or_b32 exec_lo, exec_lo, s34
	s_delay_alu instid0(SALU_CYCLE_1)
	s_and_b32 s35, s38, exec_lo
	s_and_b32 s34, s33, exec_lo
	;; [unrolled: 1-line block ×4, first 2 shown]
.LBB26_41:                              ;   in Loop: Header=BB26_3 Depth=1
	s_and_not1_saveexec_b32 s0, s36
; %bb.42:                               ;   in Loop: Header=BB26_3 Depth=1
	v_cmp_lt_i32_e32 vcc_lo, 1, v19
	s_and_not1_b32 s36, s38, exec_lo
	s_mov_b32 s31, exec_lo
	s_and_not1_b32 s35, s35, exec_lo
	s_and_not1_b32 s34, s34, exec_lo
	s_and_b32 s37, vcc_lo, exec_lo
	s_and_not1_b32 s33, s33, exec_lo
	s_or_b32 s38, s36, s37
; %bb.43:                               ;   in Loop: Header=BB26_3 Depth=1
	s_or_b32 exec_lo, exec_lo, s0
	s_mov_b32 s36, 0
	s_mov_b32 s0, 0
	;; [unrolled: 1-line block ×3, first 2 shown]
	s_and_saveexec_b32 s39, s38
	s_cbranch_execnz .LBB26_46
; %bb.44:                               ;   in Loop: Header=BB26_3 Depth=1
	s_or_b32 exec_lo, exec_lo, s39
	s_and_saveexec_b32 s38, s31
	s_cbranch_execnz .LBB26_49
.LBB26_45:                              ;   in Loop: Header=BB26_3 Depth=1
	s_or_b32 exec_lo, exec_lo, s38
	s_and_saveexec_b32 s31, s0
	s_cbranch_execnz .LBB26_50
	s_branch .LBB26_53
.LBB26_46:                              ;   in Loop: Header=BB26_3 Depth=1
	v_lshlrev_b64 v[8:9], 2, v[8:9]
	s_delay_alu instid0(VALU_DEP_1) | instskip(NEXT) | instid1(VALU_DEP_2)
	v_add_co_u32 v8, vcc_lo, s8, v8
	v_add_co_ci_u32_e32 v9, vcc_lo, s9, v9, vcc_lo
	global_load_b32 v8, v[8:9], off
	s_waitcnt vmcnt(0)
	v_cmp_le_f32_e32 vcc_lo, 0, v8
	v_cmp_ge_f32_e64 s0, 1.0, v8
	s_delay_alu instid0(VALU_DEP_1) | instskip(SKIP_2) | instid1(SALU_CYCLE_1)
	s_and_b32 s37, vcc_lo, s0
	s_mov_b32 s0, 0
	s_and_saveexec_b32 s38, s37
	s_xor_b32 s37, exec_lo, s38
	s_cbranch_execz .LBB26_48
; %bb.47:                               ;   in Loop: Header=BB26_3 Depth=1
	v_cvt_f32_u32_e32 v9, v15
	v_add_co_u32 v6, vcc_lo, s12, v6
	v_add_co_ci_u32_e32 v7, vcc_lo, s13, v7, vcc_lo
	s_delay_alu instid0(VALU_DEP_3) | instskip(SKIP_1) | instid1(VALU_DEP_1)
	v_fmaak_f32 v9, 0x2f800000, v9, 0x2f800000
	s_mov_b32 s0, exec_lo
	v_cmp_le_f32_e32 vcc_lo, v9, v8
	v_cndmask_b32_e64 v8, 0, 1, vcc_lo
	global_store_b8 v[6:7], v8, off
.LBB26_48:                              ;   in Loop: Header=BB26_3 Depth=1
	s_or_b32 exec_lo, exec_lo, s37
	s_delay_alu instid0(SALU_CYCLE_1)
	s_and_not1_b32 s37, s35, exec_lo
	s_or_b32 s35, s35, exec_lo
	s_and_not1_b32 s34, s34, exec_lo
	s_and_not1_b32 s33, s33, exec_lo
	s_and_b32 s0, s0, exec_lo
	s_and_not1_b32 s31, s31, exec_lo
	s_or_b32 exec_lo, exec_lo, s39
	s_and_saveexec_b32 s38, s31
	s_cbranch_execz .LBB26_45
.LBB26_49:                              ;   in Loop: Header=BB26_3 Depth=1
	v_cmp_eq_u32_e32 vcc_lo, 1, v19
	s_and_not1_b32 s0, s0, exec_lo
	s_mov_b32 s36, exec_lo
	s_and_not1_b32 s37, s37, exec_lo
	s_and_not1_b32 s35, s35, exec_lo
	s_and_b32 s31, vcc_lo, exec_lo
	s_and_not1_b32 s34, s34, exec_lo
	s_and_not1_b32 s33, s33, exec_lo
	s_or_b32 s0, s0, s31
	s_or_b32 exec_lo, exec_lo, s38
	s_and_saveexec_b32 s31, s0
	s_cbranch_execz .LBB26_53
.LBB26_50:                              ;   in Loop: Header=BB26_3 Depth=1
	v_lshlrev_b64 v[6:7], 2, v[3:4]
	s_mov_b32 s38, 0
	s_delay_alu instid0(VALU_DEP_1) | instskip(NEXT) | instid1(VALU_DEP_2)
	v_add_co_u32 v6, vcc_lo, s8, v6
	v_add_co_ci_u32_e32 v7, vcc_lo, s9, v7, vcc_lo
	global_load_b32 v3, v[6:7], off
	s_waitcnt vmcnt(0)
	v_cmp_le_f32_e32 vcc_lo, 0, v3
	v_cmp_ge_f32_e64 s0, 1.0, v3
	s_delay_alu instid0(VALU_DEP_1) | instskip(NEXT) | instid1(SALU_CYCLE_1)
	s_and_b32 s39, vcc_lo, s0
	s_and_saveexec_b32 s0, s39
	s_cbranch_execz .LBB26_52
; %bb.51:                               ;   in Loop: Header=BB26_3 Depth=1
	v_cvt_f32_u32_e32 v6, v14
	s_mov_b32 s38, exec_lo
	s_delay_alu instid0(VALU_DEP_1) | instskip(NEXT) | instid1(VALU_DEP_1)
	v_fmaak_f32 v6, 0x2f800000, v6, 0x2f800000
	v_cmp_le_f32_e32 vcc_lo, v6, v3
	v_cndmask_b32_e64 v3, 0, 1, vcc_lo
	global_store_b8 v5, v3, s[12:13]
.LBB26_52:                              ;   in Loop: Header=BB26_3 Depth=1
	s_or_b32 exec_lo, exec_lo, s0
	s_delay_alu instid0(SALU_CYCLE_1)
	s_and_not1_b32 s0, s36, exec_lo
	s_and_b32 s36, s38, exec_lo
	s_or_b32 s37, s37, exec_lo
	s_and_not1_b32 s35, s35, exec_lo
	s_and_not1_b32 s34, s34, exec_lo
	;; [unrolled: 1-line block ×3, first 2 shown]
	s_or_b32 s36, s0, s36
.LBB26_53:                              ;   in Loop: Header=BB26_3 Depth=1
	s_or_b32 exec_lo, exec_lo, s31
	s_delay_alu instid0(SALU_CYCLE_1)
	s_and_not1_b32 s30, s30, exec_lo
	s_and_b32 s31, s37, exec_lo
	s_and_not1_b32 s28, s28, exec_lo
	s_and_b32 s35, s35, exec_lo
	s_or_b32 s30, s30, s31
	s_and_not1_b32 s29, s29, exec_lo
	s_and_b32 s31, s34, exec_lo
	s_and_not1_b32 s27, s27, exec_lo
	s_and_b32 s33, s33, exec_lo
	s_mov_b32 s0, -1
	s_or_b32 s28, s28, s35
	s_or_b32 s29, s29, s31
	;; [unrolled: 1-line block ×3, first 2 shown]
	s_and_saveexec_b32 s31, s36
	s_cbranch_execz .LBB26_2
; %bb.54:                               ;   in Loop: Header=BB26_3 Depth=1
	v_add_nc_u32_e32 v0, s24, v0
	v_subrev_nc_u32_e32 v36, s24, v36
	s_and_not1_b32 s30, s30, exec_lo
	s_and_not1_b32 s28, s28, exec_lo
	;; [unrolled: 1-line block ×3, first 2 shown]
	v_cmp_le_u32_e32 vcc_lo, s16, v0
	s_and_not1_b32 s27, s27, exec_lo
	s_or_not1_b32 s0, vcc_lo, exec_lo
	s_branch .LBB26_2
.LBB26_55:
	s_or_b32 exec_lo, exec_lo, s22
	s_xor_b32 s4, s25, -1
	s_xor_b32 s5, s26, -1
	;; [unrolled: 1-line block ×3, first 2 shown]
	s_mov_b32 s2, 0
	s_and_saveexec_b32 s3, s0
	s_delay_alu instid0(SALU_CYCLE_1)
	s_xor_b32 s0, exec_lo, s3
	s_cbranch_execz .LBB26_64
; %bb.56:
	s_mov_b32 s3, 0
	s_and_saveexec_b32 s2, s5
	s_delay_alu instid0(SALU_CYCLE_1)
	s_xor_b32 s2, exec_lo, s2
	s_cbranch_execz .LBB26_62
; %bb.57:
	s_and_saveexec_b32 s5, s4
	s_delay_alu instid0(SALU_CYCLE_1)
	s_xor_b32 s4, exec_lo, s5
	s_cbranch_execz .LBB26_60
; %bb.58:
	s_and_saveexec_b32 s5, s1
	s_delay_alu instid0(SALU_CYCLE_1)
	s_xor_b32 s1, exec_lo, s5
	s_cbranch_execnz .LBB26_78
.LBB26_59:
	s_or_b32 exec_lo, exec_lo, s1
	s_delay_alu instid0(SALU_CYCLE_1)
	s_and_b32 s3, s3, exec_lo
.LBB26_60:
	s_and_not1_saveexec_b32 s1, s4
	s_cbranch_execnz .LBB26_74
.LBB26_61:
	s_or_b32 exec_lo, exec_lo, s1
	s_delay_alu instid0(SALU_CYCLE_1)
	s_and_b32 s3, s3, exec_lo
.LBB26_62:
	s_and_not1_saveexec_b32 s1, s2
	s_cbranch_execnz .LBB26_70
.LBB26_63:
	s_or_b32 exec_lo, exec_lo, s1
	s_delay_alu instid0(SALU_CYCLE_1)
	s_and_b32 s2, s3, exec_lo
.LBB26_64:
	s_and_not1_saveexec_b32 s0, s0
	s_cbranch_execnz .LBB26_68
; %bb.65:
	s_or_b32 exec_lo, exec_lo, s0
	s_delay_alu instid0(SALU_CYCLE_1)
	s_and_b32 exec_lo, exec_lo, s2
.LBB26_66:
	; divergent unreachable
.LBB26_67:
	s_nop 0
	s_sendmsg sendmsg(MSG_DEALLOC_VGPRS)
	s_endpgm
.LBB26_68:
	s_cbranch_execnz .LBB26_72
; %bb.69:
	s_or_b32 s2, s2, exec_lo
	s_or_b32 exec_lo, exec_lo, s0
	s_delay_alu instid0(SALU_CYCLE_1)
	s_and_b32 exec_lo, exec_lo, s2
	s_cbranch_execnz .LBB26_66
	s_branch .LBB26_67
.LBB26_70:
	s_cbranch_execnz .LBB26_76
; %bb.71:
	s_or_b32 s3, s3, exec_lo
	s_branch .LBB26_63
.LBB26_72:
	s_trap 2
	s_sendmsg_rtn_b32 s0, sendmsg(MSG_RTN_GET_DOORBELL)
	s_mov_b32 ttmp2, m0
	s_waitcnt lgkmcnt(0)
	s_and_b32 s0, s0, 0x3ff
	s_delay_alu instid0(SALU_CYCLE_1) | instskip(NEXT) | instid1(SALU_CYCLE_1)
	s_bitset1_b32 s0, 10
	s_mov_b32 m0, s0
	s_sendmsg sendmsg(MSG_INTERRUPT)
	s_mov_b32 m0, ttmp2
.LBB26_73:                              ; =>This Inner Loop Header: Depth=1
	s_sethalt 5
	s_branch .LBB26_73
.LBB26_74:
	s_cbranch_execnz .LBB26_80
; %bb.75:
	s_or_b32 s3, s3, exec_lo
	s_branch .LBB26_61
.LBB26_76:
	s_trap 2
	s_sendmsg_rtn_b32 s0, sendmsg(MSG_RTN_GET_DOORBELL)
	s_mov_b32 ttmp2, m0
	s_waitcnt lgkmcnt(0)
	s_and_b32 s0, s0, 0x3ff
	s_delay_alu instid0(SALU_CYCLE_1) | instskip(NEXT) | instid1(SALU_CYCLE_1)
	s_bitset1_b32 s0, 10
	s_mov_b32 m0, s0
	s_sendmsg sendmsg(MSG_INTERRUPT)
	s_mov_b32 m0, ttmp2
.LBB26_77:                              ; =>This Inner Loop Header: Depth=1
	s_sethalt 5
	s_branch .LBB26_77
.LBB26_78:
	s_cbranch_execnz .LBB26_82
; %bb.79:
	s_mov_b32 s3, exec_lo
	s_branch .LBB26_59
.LBB26_80:
	s_trap 2
	s_sendmsg_rtn_b32 s0, sendmsg(MSG_RTN_GET_DOORBELL)
	s_mov_b32 ttmp2, m0
	s_waitcnt lgkmcnt(0)
	s_and_b32 s0, s0, 0x3ff
	s_delay_alu instid0(SALU_CYCLE_1) | instskip(NEXT) | instid1(SALU_CYCLE_1)
	s_bitset1_b32 s0, 10
	s_mov_b32 m0, s0
	s_sendmsg sendmsg(MSG_INTERRUPT)
	s_mov_b32 m0, ttmp2
.LBB26_81:                              ; =>This Inner Loop Header: Depth=1
	s_sethalt 5
	s_branch .LBB26_81
.LBB26_82:
	s_trap 2
	s_sendmsg_rtn_b32 s0, sendmsg(MSG_RTN_GET_DOORBELL)
	s_mov_b32 ttmp2, m0
	s_waitcnt lgkmcnt(0)
	s_and_b32 s0, s0, 0x3ff
	s_delay_alu instid0(SALU_CYCLE_1) | instskip(NEXT) | instid1(SALU_CYCLE_1)
	s_bitset1_b32 s0, 10
	s_mov_b32 m0, s0
	s_sendmsg sendmsg(MSG_INTERRUPT)
	s_mov_b32 m0, ttmp2
.LBB26_83:                              ; =>This Inner Loop Header: Depth=1
	s_sethalt 5
	s_branch .LBB26_83
	.section	.rodata,"a",@progbits
	.p2align	6, 0x0
	.amdhsa_kernel _ZN2at4cuda12_GLOBAL__N_121kernelPointwiseApply2IZNS_6native9templates4cuda28bernoulli_tensor_cuda_kernelIafEEvRKNS_10TensorBaseES9_NS_15PhiloxCudaStateEEUliRaSB_SB_SB_RKfSD_SD_SD_E_aSC_jLi2ELi2ELi4ELi512ELi2EEEvNS0_6detail10TensorInfoIT0_T2_EENSG_IT1_SI_EESI_T_
		.amdhsa_group_segment_fixed_size 0
		.amdhsa_private_segment_fixed_size 0
		.amdhsa_kernarg_size 728
		.amdhsa_user_sgpr_count 15
		.amdhsa_user_sgpr_dispatch_ptr 0
		.amdhsa_user_sgpr_queue_ptr 0
		.amdhsa_user_sgpr_kernarg_segment_ptr 1
		.amdhsa_user_sgpr_dispatch_id 0
		.amdhsa_user_sgpr_private_segment_size 0
		.amdhsa_wavefront_size32 1
		.amdhsa_uses_dynamic_stack 0
		.amdhsa_enable_private_segment 0
		.amdhsa_system_sgpr_workgroup_id_x 1
		.amdhsa_system_sgpr_workgroup_id_y 0
		.amdhsa_system_sgpr_workgroup_id_z 0
		.amdhsa_system_sgpr_workgroup_info 0
		.amdhsa_system_vgpr_workitem_id 0
		.amdhsa_next_free_vgpr 45
		.amdhsa_next_free_sgpr 40
		.amdhsa_reserve_vcc 1
		.amdhsa_float_round_mode_32 0
		.amdhsa_float_round_mode_16_64 0
		.amdhsa_float_denorm_mode_32 3
		.amdhsa_float_denorm_mode_16_64 3
		.amdhsa_dx10_clamp 1
		.amdhsa_ieee_mode 1
		.amdhsa_fp16_overflow 0
		.amdhsa_workgroup_processor_mode 1
		.amdhsa_memory_ordered 1
		.amdhsa_forward_progress 0
		.amdhsa_shared_vgpr_count 0
		.amdhsa_exception_fp_ieee_invalid_op 0
		.amdhsa_exception_fp_denorm_src 0
		.amdhsa_exception_fp_ieee_div_zero 0
		.amdhsa_exception_fp_ieee_overflow 0
		.amdhsa_exception_fp_ieee_underflow 0
		.amdhsa_exception_fp_ieee_inexact 0
		.amdhsa_exception_int_div_zero 0
	.end_amdhsa_kernel
	.section	.text._ZN2at4cuda12_GLOBAL__N_121kernelPointwiseApply2IZNS_6native9templates4cuda28bernoulli_tensor_cuda_kernelIafEEvRKNS_10TensorBaseES9_NS_15PhiloxCudaStateEEUliRaSB_SB_SB_RKfSD_SD_SD_E_aSC_jLi2ELi2ELi4ELi512ELi2EEEvNS0_6detail10TensorInfoIT0_T2_EENSG_IT1_SI_EESI_T_,"axG",@progbits,_ZN2at4cuda12_GLOBAL__N_121kernelPointwiseApply2IZNS_6native9templates4cuda28bernoulli_tensor_cuda_kernelIafEEvRKNS_10TensorBaseES9_NS_15PhiloxCudaStateEEUliRaSB_SB_SB_RKfSD_SD_SD_E_aSC_jLi2ELi2ELi4ELi512ELi2EEEvNS0_6detail10TensorInfoIT0_T2_EENSG_IT1_SI_EESI_T_,comdat
.Lfunc_end26:
	.size	_ZN2at4cuda12_GLOBAL__N_121kernelPointwiseApply2IZNS_6native9templates4cuda28bernoulli_tensor_cuda_kernelIafEEvRKNS_10TensorBaseES9_NS_15PhiloxCudaStateEEUliRaSB_SB_SB_RKfSD_SD_SD_E_aSC_jLi2ELi2ELi4ELi512ELi2EEEvNS0_6detail10TensorInfoIT0_T2_EENSG_IT1_SI_EESI_T_, .Lfunc_end26-_ZN2at4cuda12_GLOBAL__N_121kernelPointwiseApply2IZNS_6native9templates4cuda28bernoulli_tensor_cuda_kernelIafEEvRKNS_10TensorBaseES9_NS_15PhiloxCudaStateEEUliRaSB_SB_SB_RKfSD_SD_SD_E_aSC_jLi2ELi2ELi4ELi512ELi2EEEvNS0_6detail10TensorInfoIT0_T2_EENSG_IT1_SI_EESI_T_
                                        ; -- End function
	.section	.AMDGPU.csdata,"",@progbits
; Kernel info:
; codeLenInByte = 4188
; NumSgprs: 42
; NumVgprs: 45
; ScratchSize: 0
; MemoryBound: 0
; FloatMode: 240
; IeeeMode: 1
; LDSByteSize: 0 bytes/workgroup (compile time only)
; SGPRBlocks: 5
; VGPRBlocks: 5
; NumSGPRsForWavesPerEU: 42
; NumVGPRsForWavesPerEU: 45
; Occupancy: 16
; WaveLimiterHint : 1
; COMPUTE_PGM_RSRC2:SCRATCH_EN: 0
; COMPUTE_PGM_RSRC2:USER_SGPR: 15
; COMPUTE_PGM_RSRC2:TRAP_HANDLER: 0
; COMPUTE_PGM_RSRC2:TGID_X_EN: 1
; COMPUTE_PGM_RSRC2:TGID_Y_EN: 0
; COMPUTE_PGM_RSRC2:TGID_Z_EN: 0
; COMPUTE_PGM_RSRC2:TIDIG_COMP_CNT: 0
	.section	.text._ZN2at4cuda12_GLOBAL__N_121kernelPointwiseApply2IZNS_6native9templates4cuda28bernoulli_tensor_cuda_kernelIafEEvRKNS_10TensorBaseES9_NS_15PhiloxCudaStateEEUliRaSB_SB_SB_RKfSD_SD_SD_E_aSC_jLi2ELin1ELi4ELi512ELi2EEEvNS0_6detail10TensorInfoIT0_T2_EENSG_IT1_SI_EESI_T_,"axG",@progbits,_ZN2at4cuda12_GLOBAL__N_121kernelPointwiseApply2IZNS_6native9templates4cuda28bernoulli_tensor_cuda_kernelIafEEvRKNS_10TensorBaseES9_NS_15PhiloxCudaStateEEUliRaSB_SB_SB_RKfSD_SD_SD_E_aSC_jLi2ELin1ELi4ELi512ELi2EEEvNS0_6detail10TensorInfoIT0_T2_EENSG_IT1_SI_EESI_T_,comdat
	.globl	_ZN2at4cuda12_GLOBAL__N_121kernelPointwiseApply2IZNS_6native9templates4cuda28bernoulli_tensor_cuda_kernelIafEEvRKNS_10TensorBaseES9_NS_15PhiloxCudaStateEEUliRaSB_SB_SB_RKfSD_SD_SD_E_aSC_jLi2ELin1ELi4ELi512ELi2EEEvNS0_6detail10TensorInfoIT0_T2_EENSG_IT1_SI_EESI_T_ ; -- Begin function _ZN2at4cuda12_GLOBAL__N_121kernelPointwiseApply2IZNS_6native9templates4cuda28bernoulli_tensor_cuda_kernelIafEEvRKNS_10TensorBaseES9_NS_15PhiloxCudaStateEEUliRaSB_SB_SB_RKfSD_SD_SD_E_aSC_jLi2ELin1ELi4ELi512ELi2EEEvNS0_6detail10TensorInfoIT0_T2_EENSG_IT1_SI_EESI_T_
	.p2align	8
	.type	_ZN2at4cuda12_GLOBAL__N_121kernelPointwiseApply2IZNS_6native9templates4cuda28bernoulli_tensor_cuda_kernelIafEEvRKNS_10TensorBaseES9_NS_15PhiloxCudaStateEEUliRaSB_SB_SB_RKfSD_SD_SD_E_aSC_jLi2ELin1ELi4ELi512ELi2EEEvNS0_6detail10TensorInfoIT0_T2_EENSG_IT1_SI_EESI_T_,@function
_ZN2at4cuda12_GLOBAL__N_121kernelPointwiseApply2IZNS_6native9templates4cuda28bernoulli_tensor_cuda_kernelIafEEvRKNS_10TensorBaseES9_NS_15PhiloxCudaStateEEUliRaSB_SB_SB_RKfSD_SD_SD_E_aSC_jLi2ELin1ELi4ELi512ELi2EEEvNS0_6detail10TensorInfoIT0_T2_EENSG_IT1_SI_EESI_T_: ; @_ZN2at4cuda12_GLOBAL__N_121kernelPointwiseApply2IZNS_6native9templates4cuda28bernoulli_tensor_cuda_kernelIafEEvRKNS_10TensorBaseES9_NS_15PhiloxCudaStateEEUliRaSB_SB_SB_RKfSD_SD_SD_E_aSC_jLi2ELin1ELi4ELi512ELi2EEEvNS0_6detail10TensorInfoIT0_T2_EENSG_IT1_SI_EESI_T_
; %bb.0:
	s_clause 0x1
	s_load_b32 s2, s[0:1], 0x1e4
	s_load_b32 s18, s[0:1], 0x1b0
	s_add_u32 s4, s0, 0x1d8
	s_addc_u32 s5, s1, 0
	s_waitcnt lgkmcnt(0)
	s_and_b32 s14, s2, 0xffff
	s_mov_b32 s2, exec_lo
	v_mad_u64_u32 v[1:2], null, s15, s14, v[0:1]
	s_delay_alu instid0(VALU_DEP_1) | instskip(NEXT) | instid1(VALU_DEP_1)
	v_lshlrev_b32_e32 v30, 2, v1
	v_cmpx_gt_u32_e64 s18, v30
	s_cbranch_execz .LBB27_81
; %bb.1:
	s_clause 0x4
	s_load_b32 s19, s[0:1], 0xc
	s_load_b32 s16, s[0:1], 0x1a8
	;; [unrolled: 1-line block ×3, first 2 shown]
	s_load_b64 s[2:3], s[0:1], 0x6c
	s_load_b64 s[8:9], s[0:1], 0xd8
	v_mad_u64_u32 v[2:3], null, 0xcd9e8d57, v1, 0
	s_add_u32 s17, s0, 0xd8
	s_load_b32 s15, s[4:5], 0x0
	s_load_b32 s20, s[0:1], 0x144
	s_addc_u32 s23, s1, 0
	s_load_b64 s[10:11], s[0:1], 0x0
	v_mov_b32_e32 v4, 0
                                        ; implicit-def: $sgpr26
                                        ; implicit-def: $sgpr28
                                        ; implicit-def: $sgpr27
                                        ; implicit-def: $sgpr29
                                        ; implicit-def: $sgpr31
                                        ; implicit-def: $sgpr30
                                        ; implicit-def: $sgpr33
	s_delay_alu instid0(VALU_DEP_2)
	v_mov_b32_e32 v31, v3
	s_waitcnt lgkmcnt(0)
	v_cvt_f32_u32_e32 v0, s19
	s_cmp_gt_i32 s16, 1
	s_cselect_b32 s21, -1, 0
	s_bitcmp1_b32 s6, 0
	s_delay_alu instid0(VALU_DEP_1)
	v_rcp_iflag_f32_e32 v0, v0
	s_cselect_b32 s22, -1, 0
	s_sub_i32 s4, 0, s19
	s_mul_i32 s15, s15, s14
	s_add_i32 s25, s16, 1
	s_lshl_b32 s24, s15, 2
	s_waitcnt_depctr 0xfff
	v_mul_f32_e32 v0, 0x4f7ffffe, v0
	s_delay_alu instid0(VALU_DEP_1) | instskip(NEXT) | instid1(VALU_DEP_1)
	v_cvt_u32_f32_e32 v0, v0
	v_mul_lo_u32 v5, s4, v0
	s_clause 0x1
	s_load_b64 s[12:13], s[0:1], 0x1c8
	s_load_b128 s[4:7], s[0:1], 0x1b8
	s_mov_b32 s1, 0
	s_add_i32 s0, s16, -1
	s_delay_alu instid0(SALU_CYCLE_1) | instskip(NEXT) | instid1(SALU_CYCLE_1)
	s_lshl_b64 s[14:15], s[0:1], 2
	s_add_u32 s0, s14, s17
	v_mul_hi_u32 v5, v0, v5
	s_addc_u32 s15, s15, s23
	s_add_u32 s14, s0, 8
	s_addc_u32 s15, s15, 0
                                        ; implicit-def: $sgpr23
	s_delay_alu instid0(VALU_DEP_1)
	v_add_nc_u32_e32 v32, v0, v5
	s_branch .LBB27_3
.LBB27_2:                               ;   in Loop: Header=BB27_3 Depth=1
	s_or_b32 exec_lo, exec_lo, s16
	s_delay_alu instid0(SALU_CYCLE_1) | instskip(NEXT) | instid1(SALU_CYCLE_1)
	s_and_b32 s0, exec_lo, s0
	s_or_b32 s1, s0, s1
	s_and_not1_b32 s0, s23, exec_lo
	s_and_b32 s16, s33, exec_lo
	s_and_not1_b32 s17, s27, exec_lo
	s_and_b32 s27, s30, exec_lo
	s_or_b32 s23, s0, s16
	s_or_b32 s27, s17, s27
	s_and_not1_b32 s0, s28, exec_lo
	s_and_b32 s16, s31, exec_lo
	s_and_not1_b32 s17, s26, exec_lo
	s_and_b32 s26, s29, exec_lo
	s_or_b32 s28, s0, s16
	s_or_b32 s26, s17, s26
	s_and_not1_b32 exec_lo, exec_lo, s1
	s_cbranch_execz .LBB27_69
.LBB27_3:                               ; =>This Loop Header: Depth=1
                                        ;     Child Loop BB27_8 Depth 2
                                        ;     Child Loop BB27_15 Depth 2
	;; [unrolled: 1-line block ×4, first 2 shown]
	v_sub_nc_u32_e32 v33, s18, v30
	v_mov_b32_e32 v5, 0
	s_delay_alu instid0(VALU_DEP_2)
	v_cmp_lt_i32_e32 vcc_lo, 0, v33
	s_and_saveexec_b32 s16, vcc_lo
	s_cbranch_execz .LBB27_5
; %bb.4:                                ;   in Loop: Header=BB27_3 Depth=1
	v_mul_hi_u32 v0, v30, v32
	s_delay_alu instid0(VALU_DEP_1) | instskip(SKIP_1) | instid1(VALU_DEP_2)
	v_mul_lo_u32 v3, v0, s19
	v_add_nc_u32_e32 v5, 1, v0
	v_sub_nc_u32_e32 v3, v30, v3
	s_delay_alu instid0(VALU_DEP_1) | instskip(SKIP_1) | instid1(VALU_DEP_1)
	v_subrev_nc_u32_e32 v6, s19, v3
	v_cmp_le_u32_e64 s0, s19, v3
	v_cndmask_b32_e64 v0, v0, v5, s0
	s_delay_alu instid0(VALU_DEP_3) | instskip(NEXT) | instid1(VALU_DEP_2)
	v_cndmask_b32_e64 v3, v3, v6, s0
	v_add_nc_u32_e32 v5, 1, v0
	s_delay_alu instid0(VALU_DEP_2) | instskip(NEXT) | instid1(VALU_DEP_1)
	v_cmp_le_u32_e64 s0, s19, v3
	v_cndmask_b32_e64 v3, v0, v5, s0
	s_delay_alu instid0(VALU_DEP_1) | instskip(NEXT) | instid1(VALU_DEP_1)
	v_mul_lo_u32 v0, v3, s19
	v_sub_nc_u32_e32 v0, v30, v0
	s_delay_alu instid0(VALU_DEP_1) | instskip(NEXT) | instid1(VALU_DEP_1)
	v_mul_lo_u32 v0, v0, s3
	v_mad_u64_u32 v[5:6], null, v3, s2, v[0:1]
.LBB27_5:                               ;   in Loop: Header=BB27_3 Depth=1
	s_or_b32 exec_lo, exec_lo, s16
	v_mov_b32_e32 v6, 0
	s_and_saveexec_b32 s0, vcc_lo
	s_cbranch_execz .LBB27_10
; %bb.6:                                ;   in Loop: Header=BB27_3 Depth=1
	v_dual_mov_b32 v0, 0 :: v_dual_mov_b32 v3, v30
	s_and_not1_b32 vcc_lo, exec_lo, s21
	s_cbranch_vccnz .LBB27_9
; %bb.7:                                ;   in Loop: Header=BB27_3 Depth=1
	v_dual_mov_b32 v0, 0 :: v_dual_mov_b32 v3, v30
	s_mov_b64 s[16:17], s[14:15]
	s_mov_b32 s34, s25
	s_set_inst_prefetch_distance 0x1
	.p2align	6
.LBB27_8:                               ;   Parent Loop BB27_3 Depth=1
                                        ; =>  This Inner Loop Header: Depth=2
	s_clause 0x1
	s_load_b32 s35, s[16:17], 0x0
	s_load_b32 s36, s[16:17], 0x64
	s_add_i32 s34, s34, -1
	s_waitcnt lgkmcnt(0)
	v_cvt_f32_u32_e32 v6, s35
	s_sub_i32 s37, 0, s35
	s_add_u32 s16, s16, -4
	s_addc_u32 s17, s17, -1
	s_cmp_gt_u32 s34, 2
	v_rcp_iflag_f32_e32 v6, v6
	s_waitcnt_depctr 0xfff
	v_mul_f32_e32 v6, 0x4f7ffffe, v6
	s_delay_alu instid0(VALU_DEP_1) | instskip(NEXT) | instid1(VALU_DEP_1)
	v_cvt_u32_f32_e32 v6, v6
	v_mul_lo_u32 v7, s37, v6
	s_delay_alu instid0(VALU_DEP_1) | instskip(NEXT) | instid1(VALU_DEP_1)
	v_mul_hi_u32 v7, v6, v7
	v_dual_mov_b32 v8, v3 :: v_dual_add_nc_u32 v3, v6, v7
	s_delay_alu instid0(VALU_DEP_1) | instskip(NEXT) | instid1(VALU_DEP_1)
	v_mul_hi_u32 v3, v8, v3
	v_mul_lo_u32 v6, v3, s35
	v_add_nc_u32_e32 v7, 1, v3
	s_delay_alu instid0(VALU_DEP_2) | instskip(NEXT) | instid1(VALU_DEP_1)
	v_sub_nc_u32_e32 v6, v8, v6
	v_subrev_nc_u32_e32 v9, s35, v6
	v_cmp_le_u32_e32 vcc_lo, s35, v6
	s_delay_alu instid0(VALU_DEP_2) | instskip(NEXT) | instid1(VALU_DEP_1)
	v_dual_cndmask_b32 v3, v3, v7 :: v_dual_cndmask_b32 v6, v6, v9
	v_add_nc_u32_e32 v7, 1, v3
	s_delay_alu instid0(VALU_DEP_2) | instskip(NEXT) | instid1(VALU_DEP_2)
	v_cmp_le_u32_e32 vcc_lo, s35, v6
	v_cndmask_b32_e32 v3, v3, v7, vcc_lo
	s_delay_alu instid0(VALU_DEP_1) | instskip(NEXT) | instid1(VALU_DEP_1)
	v_mul_lo_u32 v6, v3, s35
	v_sub_nc_u32_e32 v8, v8, v6
	s_delay_alu instid0(VALU_DEP_1) | instskip(NEXT) | instid1(VALU_DEP_1)
	v_mad_u64_u32 v[6:7], null, s36, v8, v[0:1]
	v_mov_b32_e32 v0, v6
	s_cbranch_scc1 .LBB27_8
.LBB27_9:                               ;   in Loop: Header=BB27_3 Depth=1
	s_set_inst_prefetch_distance 0x2
	s_delay_alu instid0(VALU_DEP_1)
	v_mad_u64_u32 v[6:7], null, s20, v3, v[0:1]
.LBB27_10:                              ;   in Loop: Header=BB27_3 Depth=1
	s_or_b32 exec_lo, exec_lo, s0
	v_or_b32_e32 v9, 1, v30
	v_cmp_lt_i32_e32 vcc_lo, 1, v33
	v_mov_b32_e32 v3, 0
	v_mov_b32_e32 v7, 0
	s_and_saveexec_b32 s16, vcc_lo
	s_cbranch_execz .LBB27_12
; %bb.11:                               ;   in Loop: Header=BB27_3 Depth=1
	v_mul_hi_u32 v0, v9, v32
	s_delay_alu instid0(VALU_DEP_1) | instskip(SKIP_1) | instid1(VALU_DEP_2)
	v_mul_lo_u32 v7, v0, s19
	v_add_nc_u32_e32 v8, 1, v0
	v_sub_nc_u32_e32 v7, v9, v7
	s_delay_alu instid0(VALU_DEP_1) | instskip(SKIP_1) | instid1(VALU_DEP_1)
	v_subrev_nc_u32_e32 v10, s19, v7
	v_cmp_le_u32_e64 s0, s19, v7
	v_cndmask_b32_e64 v0, v0, v8, s0
	s_delay_alu instid0(VALU_DEP_3) | instskip(NEXT) | instid1(VALU_DEP_2)
	v_cndmask_b32_e64 v7, v7, v10, s0
	v_add_nc_u32_e32 v8, 1, v0
	s_delay_alu instid0(VALU_DEP_2) | instskip(NEXT) | instid1(VALU_DEP_1)
	v_cmp_le_u32_e64 s0, s19, v7
	v_cndmask_b32_e64 v10, v0, v8, s0
	s_delay_alu instid0(VALU_DEP_1) | instskip(NEXT) | instid1(VALU_DEP_1)
	v_mul_lo_u32 v0, v10, s19
	v_sub_nc_u32_e32 v0, v9, v0
	s_delay_alu instid0(VALU_DEP_1) | instskip(NEXT) | instid1(VALU_DEP_1)
	v_mul_lo_u32 v0, v0, s3
	v_mad_u64_u32 v[7:8], null, v10, s2, v[0:1]
.LBB27_12:                              ;   in Loop: Header=BB27_3 Depth=1
	s_or_b32 exec_lo, exec_lo, s16
	s_and_saveexec_b32 s0, vcc_lo
	s_cbranch_execz .LBB27_17
; %bb.13:                               ;   in Loop: Header=BB27_3 Depth=1
	v_mov_b32_e32 v0, 0
	s_and_not1_b32 vcc_lo, exec_lo, s21
	s_cbranch_vccnz .LBB27_16
; %bb.14:                               ;   in Loop: Header=BB27_3 Depth=1
	v_mov_b32_e32 v0, 0
	s_mov_b64 s[16:17], s[14:15]
	s_mov_b32 s34, s25
	s_set_inst_prefetch_distance 0x1
	.p2align	6
.LBB27_15:                              ;   Parent Loop BB27_3 Depth=1
                                        ; =>  This Inner Loop Header: Depth=2
	s_clause 0x1
	s_load_b32 s35, s[16:17], 0x0
	s_load_b32 s36, s[16:17], 0x64
	s_add_i32 s34, s34, -1
	v_mov_b32_e32 v10, v9
	s_waitcnt lgkmcnt(0)
	v_cvt_f32_u32_e32 v3, s35
	s_sub_i32 s37, 0, s35
	s_add_u32 s16, s16, -4
	s_addc_u32 s17, s17, -1
	s_cmp_gt_u32 s34, 2
	v_rcp_iflag_f32_e32 v3, v3
	s_waitcnt_depctr 0xfff
	v_mul_f32_e32 v3, 0x4f7ffffe, v3
	s_delay_alu instid0(VALU_DEP_1) | instskip(NEXT) | instid1(VALU_DEP_1)
	v_cvt_u32_f32_e32 v3, v3
	v_mul_lo_u32 v8, s37, v3
	s_delay_alu instid0(VALU_DEP_1) | instskip(NEXT) | instid1(VALU_DEP_1)
	v_mul_hi_u32 v8, v3, v8
	v_add_nc_u32_e32 v3, v3, v8
	s_delay_alu instid0(VALU_DEP_1) | instskip(NEXT) | instid1(VALU_DEP_1)
	v_mul_hi_u32 v3, v10, v3
	v_mul_lo_u32 v8, v3, s35
	v_add_nc_u32_e32 v9, 1, v3
	s_delay_alu instid0(VALU_DEP_2) | instskip(NEXT) | instid1(VALU_DEP_1)
	v_sub_nc_u32_e32 v8, v10, v8
	v_subrev_nc_u32_e32 v11, s35, v8
	v_cmp_le_u32_e32 vcc_lo, s35, v8
	s_delay_alu instid0(VALU_DEP_2) | instskip(NEXT) | instid1(VALU_DEP_1)
	v_dual_cndmask_b32 v3, v3, v9 :: v_dual_cndmask_b32 v8, v8, v11
	v_add_nc_u32_e32 v9, 1, v3
	s_delay_alu instid0(VALU_DEP_2) | instskip(NEXT) | instid1(VALU_DEP_2)
	v_cmp_le_u32_e32 vcc_lo, s35, v8
	v_cndmask_b32_e32 v9, v3, v9, vcc_lo
	s_delay_alu instid0(VALU_DEP_1) | instskip(NEXT) | instid1(VALU_DEP_1)
	v_mul_lo_u32 v3, v9, s35
	v_sub_nc_u32_e32 v3, v10, v3
	s_delay_alu instid0(VALU_DEP_1) | instskip(NEXT) | instid1(VALU_DEP_1)
	v_mad_u64_u32 v[10:11], null, s36, v3, v[0:1]
	v_mov_b32_e32 v0, v10
	s_cbranch_scc1 .LBB27_15
.LBB27_16:                              ;   in Loop: Header=BB27_3 Depth=1
	s_set_inst_prefetch_distance 0x2
	s_delay_alu instid0(VALU_DEP_1) | instskip(NEXT) | instid1(VALU_DEP_1)
	v_mad_u64_u32 v[10:11], null, s20, v9, v[0:1]
	v_mov_b32_e32 v3, v10
.LBB27_17:                              ;   in Loop: Header=BB27_3 Depth=1
	s_or_b32 exec_lo, exec_lo, s0
	v_or_b32_e32 v11, 2, v30
	v_cmp_lt_i32_e32 vcc_lo, 2, v33
	v_mov_b32_e32 v8, 0
	s_and_saveexec_b32 s16, vcc_lo
	s_cbranch_execz .LBB27_19
; %bb.18:                               ;   in Loop: Header=BB27_3 Depth=1
	v_mul_hi_u32 v0, v11, v32
	s_delay_alu instid0(VALU_DEP_1) | instskip(SKIP_1) | instid1(VALU_DEP_2)
	v_mul_lo_u32 v8, v0, s19
	v_add_nc_u32_e32 v9, 1, v0
	v_sub_nc_u32_e32 v8, v11, v8
	s_delay_alu instid0(VALU_DEP_1) | instskip(SKIP_1) | instid1(VALU_DEP_1)
	v_subrev_nc_u32_e32 v10, s19, v8
	v_cmp_le_u32_e64 s0, s19, v8
	v_cndmask_b32_e64 v0, v0, v9, s0
	s_delay_alu instid0(VALU_DEP_3) | instskip(NEXT) | instid1(VALU_DEP_2)
	v_cndmask_b32_e64 v8, v8, v10, s0
	v_add_nc_u32_e32 v9, 1, v0
	s_delay_alu instid0(VALU_DEP_2) | instskip(NEXT) | instid1(VALU_DEP_1)
	v_cmp_le_u32_e64 s0, s19, v8
	v_cndmask_b32_e64 v10, v0, v9, s0
	s_delay_alu instid0(VALU_DEP_1) | instskip(NEXT) | instid1(VALU_DEP_1)
	v_mul_lo_u32 v0, v10, s19
	v_sub_nc_u32_e32 v0, v11, v0
	s_delay_alu instid0(VALU_DEP_1) | instskip(NEXT) | instid1(VALU_DEP_1)
	v_mul_lo_u32 v0, v0, s3
	v_mad_u64_u32 v[8:9], null, v10, s2, v[0:1]
.LBB27_19:                              ;   in Loop: Header=BB27_3 Depth=1
	s_or_b32 exec_lo, exec_lo, s16
	v_mov_b32_e32 v9, 0
	v_mov_b32_e32 v10, 0
	s_and_saveexec_b32 s0, vcc_lo
	s_cbranch_execz .LBB27_24
; %bb.20:                               ;   in Loop: Header=BB27_3 Depth=1
	v_mov_b32_e32 v0, 0
	s_and_not1_b32 vcc_lo, exec_lo, s21
	s_cbranch_vccnz .LBB27_23
; %bb.21:                               ;   in Loop: Header=BB27_3 Depth=1
	v_mov_b32_e32 v0, 0
	s_mov_b64 s[16:17], s[14:15]
	s_mov_b32 s34, s25
	s_set_inst_prefetch_distance 0x1
	.p2align	6
.LBB27_22:                              ;   Parent Loop BB27_3 Depth=1
                                        ; =>  This Inner Loop Header: Depth=2
	s_clause 0x1
	s_load_b32 s35, s[16:17], 0x0
	s_load_b32 s36, s[16:17], 0x64
	s_add_i32 s34, s34, -1
	v_mov_b32_e32 v12, v11
	s_waitcnt lgkmcnt(0)
	v_cvt_f32_u32_e32 v9, s35
	s_sub_i32 s37, 0, s35
	s_add_u32 s16, s16, -4
	s_addc_u32 s17, s17, -1
	s_cmp_gt_u32 s34, 2
	v_rcp_iflag_f32_e32 v9, v9
	s_waitcnt_depctr 0xfff
	v_mul_f32_e32 v9, 0x4f7ffffe, v9
	s_delay_alu instid0(VALU_DEP_1) | instskip(NEXT) | instid1(VALU_DEP_1)
	v_cvt_u32_f32_e32 v9, v9
	v_mul_lo_u32 v10, s37, v9
	s_delay_alu instid0(VALU_DEP_1) | instskip(NEXT) | instid1(VALU_DEP_1)
	v_mul_hi_u32 v10, v9, v10
	v_add_nc_u32_e32 v9, v9, v10
	s_delay_alu instid0(VALU_DEP_1) | instskip(NEXT) | instid1(VALU_DEP_1)
	v_mul_hi_u32 v9, v12, v9
	v_mul_lo_u32 v10, v9, s35
	v_add_nc_u32_e32 v11, 1, v9
	s_delay_alu instid0(VALU_DEP_2) | instskip(NEXT) | instid1(VALU_DEP_1)
	v_sub_nc_u32_e32 v10, v12, v10
	v_subrev_nc_u32_e32 v13, s35, v10
	v_cmp_le_u32_e32 vcc_lo, s35, v10
	s_delay_alu instid0(VALU_DEP_2) | instskip(NEXT) | instid1(VALU_DEP_1)
	v_dual_cndmask_b32 v9, v9, v11 :: v_dual_cndmask_b32 v10, v10, v13
	v_add_nc_u32_e32 v11, 1, v9
	s_delay_alu instid0(VALU_DEP_2) | instskip(NEXT) | instid1(VALU_DEP_2)
	v_cmp_le_u32_e32 vcc_lo, s35, v10
	v_cndmask_b32_e32 v11, v9, v11, vcc_lo
	s_delay_alu instid0(VALU_DEP_1) | instskip(NEXT) | instid1(VALU_DEP_1)
	v_mul_lo_u32 v9, v11, s35
	v_sub_nc_u32_e32 v12, v12, v9
	s_delay_alu instid0(VALU_DEP_1) | instskip(NEXT) | instid1(VALU_DEP_1)
	v_mad_u64_u32 v[9:10], null, s36, v12, v[0:1]
	v_mov_b32_e32 v0, v9
	s_cbranch_scc1 .LBB27_22
.LBB27_23:                              ;   in Loop: Header=BB27_3 Depth=1
	s_set_inst_prefetch_distance 0x2
	s_delay_alu instid0(VALU_DEP_1)
	v_mad_u64_u32 v[9:10], null, s20, v11, v[0:1]
	v_mov_b32_e32 v10, v4
.LBB27_24:                              ;   in Loop: Header=BB27_3 Depth=1
	s_or_b32 exec_lo, exec_lo, s0
	v_mov_b32_e32 v13, 0
	v_mov_b32_e32 v14, 0
	v_or_b32_e32 v15, 3, v30
	v_cmp_lt_i32_e32 vcc_lo, 3, v33
	s_delay_alu instid0(VALU_DEP_3)
	v_dual_mov_b32 v11, v13 :: v_dual_mov_b32 v12, v14
	s_and_saveexec_b32 s16, vcc_lo
	s_cbranch_execz .LBB27_26
; %bb.25:                               ;   in Loop: Header=BB27_3 Depth=1
	v_mul_hi_u32 v0, v15, v32
	s_delay_alu instid0(VALU_DEP_1) | instskip(SKIP_1) | instid1(VALU_DEP_2)
	v_mul_lo_u32 v11, v0, s19
	v_add_nc_u32_e32 v12, 1, v0
	v_sub_nc_u32_e32 v11, v15, v11
	s_delay_alu instid0(VALU_DEP_1) | instskip(SKIP_1) | instid1(VALU_DEP_1)
	v_subrev_nc_u32_e32 v16, s19, v11
	v_cmp_le_u32_e64 s0, s19, v11
	v_cndmask_b32_e64 v0, v0, v12, s0
	s_delay_alu instid0(VALU_DEP_3) | instskip(NEXT) | instid1(VALU_DEP_2)
	v_cndmask_b32_e64 v11, v11, v16, s0
	v_add_nc_u32_e32 v12, 1, v0
	s_delay_alu instid0(VALU_DEP_2) | instskip(NEXT) | instid1(VALU_DEP_1)
	v_cmp_le_u32_e64 s0, s19, v11
	v_cndmask_b32_e64 v16, v0, v12, s0
	s_delay_alu instid0(VALU_DEP_1) | instskip(NEXT) | instid1(VALU_DEP_1)
	v_mul_lo_u32 v0, v16, s19
	v_sub_nc_u32_e32 v0, v15, v0
	s_delay_alu instid0(VALU_DEP_1) | instskip(NEXT) | instid1(VALU_DEP_1)
	v_mul_lo_u32 v0, v0, s3
	v_mad_u64_u32 v[11:12], null, v16, s2, v[0:1]
	v_mov_b32_e32 v12, v4
.LBB27_26:                              ;   in Loop: Header=BB27_3 Depth=1
	s_or_b32 exec_lo, exec_lo, s16
	s_and_saveexec_b32 s0, vcc_lo
	s_cbranch_execz .LBB27_31
; %bb.27:                               ;   in Loop: Header=BB27_3 Depth=1
	v_mov_b32_e32 v0, 0
	s_and_not1_b32 vcc_lo, exec_lo, s21
	s_cbranch_vccnz .LBB27_30
; %bb.28:                               ;   in Loop: Header=BB27_3 Depth=1
	v_mov_b32_e32 v0, 0
	s_mov_b64 s[16:17], s[14:15]
	s_mov_b32 s34, s25
	s_set_inst_prefetch_distance 0x1
	.p2align	6
.LBB27_29:                              ;   Parent Loop BB27_3 Depth=1
                                        ; =>  This Inner Loop Header: Depth=2
	s_clause 0x1
	s_load_b32 s35, s[16:17], 0x0
	s_load_b32 s36, s[16:17], 0x64
	s_add_i32 s34, s34, -1
	v_mov_b32_e32 v16, v15
	s_waitcnt lgkmcnt(0)
	v_cvt_f32_u32_e32 v13, s35
	s_sub_i32 s37, 0, s35
	s_add_u32 s16, s16, -4
	s_addc_u32 s17, s17, -1
	s_cmp_gt_u32 s34, 2
	v_rcp_iflag_f32_e32 v13, v13
	s_waitcnt_depctr 0xfff
	v_mul_f32_e32 v13, 0x4f7ffffe, v13
	s_delay_alu instid0(VALU_DEP_1) | instskip(NEXT) | instid1(VALU_DEP_1)
	v_cvt_u32_f32_e32 v13, v13
	v_mul_lo_u32 v14, s37, v13
	s_delay_alu instid0(VALU_DEP_1) | instskip(NEXT) | instid1(VALU_DEP_1)
	v_mul_hi_u32 v14, v13, v14
	v_add_nc_u32_e32 v13, v13, v14
	s_delay_alu instid0(VALU_DEP_1) | instskip(NEXT) | instid1(VALU_DEP_1)
	v_mul_hi_u32 v13, v16, v13
	v_mul_lo_u32 v14, v13, s35
	v_add_nc_u32_e32 v15, 1, v13
	s_delay_alu instid0(VALU_DEP_2) | instskip(NEXT) | instid1(VALU_DEP_1)
	v_sub_nc_u32_e32 v14, v16, v14
	v_subrev_nc_u32_e32 v17, s35, v14
	v_cmp_le_u32_e32 vcc_lo, s35, v14
	s_delay_alu instid0(VALU_DEP_2) | instskip(NEXT) | instid1(VALU_DEP_1)
	v_dual_cndmask_b32 v13, v13, v15 :: v_dual_cndmask_b32 v14, v14, v17
	v_add_nc_u32_e32 v15, 1, v13
	s_delay_alu instid0(VALU_DEP_2) | instskip(NEXT) | instid1(VALU_DEP_2)
	v_cmp_le_u32_e32 vcc_lo, s35, v14
	v_cndmask_b32_e32 v15, v13, v15, vcc_lo
	s_delay_alu instid0(VALU_DEP_1) | instskip(NEXT) | instid1(VALU_DEP_1)
	v_mul_lo_u32 v13, v15, s35
	v_sub_nc_u32_e32 v16, v16, v13
	s_delay_alu instid0(VALU_DEP_1) | instskip(NEXT) | instid1(VALU_DEP_1)
	v_mad_u64_u32 v[13:14], null, s36, v16, v[0:1]
	v_mov_b32_e32 v0, v13
	s_cbranch_scc1 .LBB27_29
.LBB27_30:                              ;   in Loop: Header=BB27_3 Depth=1
	s_set_inst_prefetch_distance 0x2
	s_delay_alu instid0(VALU_DEP_1)
	v_mad_u64_u32 v[13:14], null, s20, v15, v[0:1]
	v_mov_b32_e32 v14, v4
.LBB27_31:                              ;   in Loop: Header=BB27_3 Depth=1
	s_or_b32 exec_lo, exec_lo, s0
	s_delay_alu instid0(VALU_DEP_1) | instskip(SKIP_3) | instid1(VALU_DEP_3)
	v_lshlrev_b64 v[13:14], 2, v[13:14]
	s_waitcnt lgkmcnt(0)
	v_dual_mov_b32 v18, s7 :: v_dual_mov_b32 v17, s6
	v_dual_mov_b32 v20, s5 :: v_dual_mov_b32 v19, s4
	v_add_co_u32 v13, vcc_lo, s8, v13
	s_delay_alu instid0(VALU_DEP_4)
	v_add_co_ci_u32_e32 v14, vcc_lo, s9, v14, vcc_lo
	s_and_not1_b32 vcc_lo, exec_lo, s22
	global_load_b32 v0, v[13:14], off
	s_cbranch_vccnz .LBB27_33
; %bb.32:                               ;   in Loop: Header=BB27_3 Depth=1
	v_dual_mov_b32 v14, s7 :: v_dual_mov_b32 v13, s6
	v_dual_mov_b32 v16, s5 :: v_dual_mov_b32 v15, s4
	flat_load_b64 v[13:14], v[13:14]
	flat_load_b64 v[19:20], v[15:16]
	s_waitcnt vmcnt(1) lgkmcnt(1)
	v_add_co_u32 v17, vcc_lo, v13, s12
	v_add_co_ci_u32_e32 v18, vcc_lo, s13, v14, vcc_lo
.LBB27_33:                              ;   in Loop: Header=BB27_3 Depth=1
	s_delay_alu instid0(VALU_DEP_1)
	v_alignbit_b32 v16, v18, v17, 2
	v_lshrrev_b32_e32 v15, 2, v18
	s_waitcnt vmcnt(0) lgkmcnt(0)
	v_add_nc_u32_e32 v35, 0xbb67ae85, v20
	v_add_nc_u32_e32 v36, 0x76cf5d0a, v20
	;; [unrolled: 1-line block ×3, first 2 shown]
	v_add_co_u32 v18, vcc_lo, v16, 1
	s_delay_alu instid0(VALU_DEP_1) | instskip(SKIP_4) | instid1(VALU_DEP_4)
	v_cndmask_b32_e64 v13, 0, 1, vcc_lo
	v_add_co_ci_u32_e32 v27, vcc_lo, 0, v15, vcc_lo
	v_xor3_b32 v23, v31, v19, v15
	v_add_nc_u32_e32 v38, 0x32370b8f, v20
	v_add_nc_u32_e32 v39, 0xed9eba14, v20
	v_cmp_eq_u32_e32 vcc_lo, 0, v27
	v_add_nc_u32_e32 v40, 0x1715609d, v19
	v_add_nc_u32_e32 v41, 0xa9066899, v20
	s_mov_b32 s0, exec_lo
	v_dual_cndmask_b32 v21, 0, v13 :: v_dual_add_nc_u32 v34, 0x9e3779b9, v19
	v_mad_u64_u32 v[13:14], null, 0xd2511f53, v18, 0
	s_delay_alu instid0(VALU_DEP_2) | instskip(NEXT) | instid1(VALU_DEP_2)
	v_add_nc_u32_e32 v18, v21, v1
	v_xor_b32_e32 v22, v14, v20
	s_delay_alu instid0(VALU_DEP_2) | instskip(SKIP_2) | instid1(VALU_DEP_1)
	v_cmp_eq_u32_e32 vcc_lo, 0, v18
	v_mad_u64_u32 v[14:15], null, 0xd2511f53, v16, 0
	v_cndmask_b32_e32 v21, 0, v21, vcc_lo
	v_xor_b32_e32 v16, v21, v22
	v_mad_u64_u32 v[21:22], null, 0xd2511f53, v23, 0
	v_mad_u64_u32 v[23:24], null, 0xcd9e8d57, v18, 0
	v_add_nc_u32_e32 v18, 0x3c6ef372, v19
	s_delay_alu instid0(VALU_DEP_4) | instskip(SKIP_2) | instid1(VALU_DEP_2)
	v_mad_u64_u32 v[25:26], null, 0xcd9e8d57, v16, 0
	v_xor_b32_e32 v16, v15, v20
	v_xor3_b32 v28, v35, v22, v14
	v_mad_u64_u32 v[14:15], null, 0xcd9e8d57, v16, 0
	v_xor3_b32 v16, v24, v19, v27
	v_xor3_b32 v24, v34, v26, v23
	s_delay_alu instid0(VALU_DEP_4) | instskip(NEXT) | instid1(VALU_DEP_3)
	v_mad_u64_u32 v[22:23], null, 0xcd9e8d57, v28, 0
	v_mad_u64_u32 v[26:27], null, 0xd2511f53, v16, 0
	s_delay_alu instid0(VALU_DEP_3) | instskip(SKIP_1) | instid1(VALU_DEP_4)
	v_mad_u64_u32 v[28:29], null, 0xd2511f53, v24, 0
	v_xor3_b32 v16, v2, v15, v34
	v_xor3_b32 v34, v18, v23, v14
	s_delay_alu instid0(VALU_DEP_4) | instskip(NEXT) | instid1(VALU_DEP_3)
	v_xor3_b32 v13, v35, v27, v13
	v_mad_u64_u32 v[14:15], null, 0xd2511f53, v16, 0
	v_xor3_b32 v16, v36, v29, v26
	s_delay_alu instid0(VALU_DEP_4) | instskip(NEXT) | instid1(VALU_DEP_4)
	v_mad_u64_u32 v[23:24], null, 0xd2511f53, v34, 0
	v_mad_u64_u32 v[26:27], null, 0xcd9e8d57, v13, 0
	s_delay_alu instid0(VALU_DEP_3) | instskip(SKIP_4) | instid1(VALU_DEP_4)
	v_mad_u64_u32 v[34:35], null, 0xcd9e8d57, v16, 0
	v_xor3_b32 v15, v36, v15, v21
	v_add_nc_u32_e32 v29, 0x78dde6e4, v19
	v_xor3_b32 v21, v38, v24, v14
	v_xor3_b32 v18, v18, v27, v25
	v_mad_u64_u32 v[13:14], null, 0xcd9e8d57, v15, 0
	v_xor3_b32 v35, v37, v35, v26
	s_delay_alu instid0(VALU_DEP_4) | instskip(NEXT) | instid1(VALU_DEP_4)
	v_mad_u64_u32 v[15:16], null, 0xcd9e8d57, v21, 0
	v_mad_u64_u32 v[24:25], null, 0xd2511f53, v18, 0
	s_delay_alu instid0(VALU_DEP_3) | instskip(SKIP_1) | instid1(VALU_DEP_4)
	v_mad_u64_u32 v[26:27], null, 0xd2511f53, v35, 0
	v_xor3_b32 v18, v37, v14, v22
	v_xor3_b32 v16, v29, v16, v13
	s_delay_alu instid0(VALU_DEP_2) | instskip(SKIP_2) | instid1(VALU_DEP_4)
	v_mad_u64_u32 v[13:14], null, 0xd2511f53, v18, 0
	v_xor3_b32 v18, v38, v25, v28
	v_xor3_b32 v24, v39, v27, v24
	v_mad_u64_u32 v[27:28], null, 0xd2511f53, v16, 0
	s_delay_alu instid0(VALU_DEP_3) | instskip(NEXT) | instid1(VALU_DEP_3)
	v_mad_u64_u32 v[21:22], null, 0xcd9e8d57, v18, 0
	v_mad_u64_u32 v[35:36], null, 0xcd9e8d57, v24, 0
	v_xor3_b32 v16, v39, v14, v23
	s_delay_alu instid0(VALU_DEP_4) | instskip(SKIP_2) | instid1(VALU_DEP_4)
	v_xor3_b32 v24, v41, v28, v13
	v_add_nc_u32_e32 v18, 0xb54cda56, v19
	v_add_nc_u32_e32 v23, 0x646e171e, v20
	v_mad_u64_u32 v[13:14], null, 0xcd9e8d57, v16, 0
	v_xor3_b32 v16, v29, v22, v34
	v_xor3_b32 v25, v40, v36, v21
	v_mad_u64_u32 v[36:37], null, 0xcd9e8d57, v24, 0
	v_add_nc_u32_e32 v29, 0x5384540f, v19
	s_delay_alu instid0(VALU_DEP_4) | instskip(NEXT) | instid1(VALU_DEP_4)
	v_mad_u64_u32 v[21:22], null, 0xd2511f53, v16, 0
	v_mad_u64_u32 v[38:39], null, 0xd2511f53, v25, 0
	v_xor3_b32 v15, v40, v14, v15
	v_xor3_b32 v16, v18, v37, v13
	v_add_nc_u32_e32 v40, 0x1fd5c5a3, v20
	v_add_co_u32 v34, null, 0xf1bbcdc8, v19
	v_xor3_b32 v24, v41, v22, v26
	v_xor3_b32 v26, v23, v39, v21
	v_mad_u64_u32 v[13:14], null, 0xd2511f53, v15, 0
	v_mad_u64_u32 v[21:22], null, 0xd2511f53, v16, 0
	s_delay_alu instid0(VALU_DEP_4) | instskip(NEXT) | instid1(VALU_DEP_4)
	v_mad_u64_u32 v[15:16], null, 0xcd9e8d57, v24, 0
	v_mad_u64_u32 v[24:25], null, 0xcd9e8d57, v26, 0
	s_delay_alu instid0(VALU_DEP_4) | instskip(NEXT) | instid1(VALU_DEP_4)
	v_xor3_b32 v23, v23, v14, v27
	v_xor3_b32 v26, v40, v22, v13
	s_delay_alu instid0(VALU_DEP_4) | instskip(NEXT) | instid1(VALU_DEP_3)
	v_xor3_b32 v18, v18, v16, v35
	v_mad_u64_u32 v[13:14], null, 0xcd9e8d57, v23, 0
	v_xor3_b32 v25, v29, v25, v15
	s_delay_alu instid0(VALU_DEP_4) | instskip(NEXT) | instid1(VALU_DEP_4)
	v_mad_u64_u32 v[22:23], null, 0xcd9e8d57, v26, 0
	v_mad_u64_u32 v[15:16], null, 0xd2511f53, v18, 0
	s_delay_alu instid0(VALU_DEP_3)
	v_mad_u64_u32 v[27:28], null, 0xd2511f53, v25, 0
	v_add_nc_u32_e32 v35, 0xdb3d7428, v20
	v_xor3_b32 v14, v29, v14, v36
	v_xor3_b32 v18, v34, v23, v13
	v_add_nc_u32_e32 v36, 0x96a522ad, v20
	v_xor3_b32 v16, v40, v16, v38
	v_and_b32_e32 v20, 3, v17
	v_xor3_b32 v23, v35, v28, v15
	v_mad_u64_u32 v[25:26], null, 0xd2511f53, v14, 0
	v_mad_u64_u32 v[13:14], null, 0xd2511f53, v18, 0
	v_mad_u64_u32 v[28:29], null, 0xcd9e8d57, v16, 0
	s_delay_alu instid0(VALU_DEP_4) | instskip(SKIP_1) | instid1(VALU_DEP_4)
	v_mad_u64_u32 v[15:16], null, 0xcd9e8d57, v23, 0
	v_add_nc_u32_e32 v23, 0x8ff34781, v19
                                        ; implicit-def: $vgpr18
	v_xor3_b32 v19, v14, v25, v36
	s_delay_alu instid0(VALU_DEP_2)
	v_xor3_b32 v14, v16, v28, v23
	v_cmpx_lt_i32_e32 1, v20
	s_xor_b32 s0, exec_lo, s0
	s_cbranch_execz .LBB27_39
; %bb.34:                               ;   in Loop: Header=BB27_3 Depth=1
	s_mov_b32 s16, exec_lo
                                        ; implicit-def: $vgpr18
	v_cmpx_lt_i32_e32 2, v20
	s_xor_b32 s16, exec_lo, s16
; %bb.35:                               ;   in Loop: Header=BB27_3 Depth=1
	v_xor3_b32 v16, v34, v29, v24
                                        ; implicit-def: $vgpr19
	s_delay_alu instid0(VALU_DEP_1) | instskip(NEXT) | instid1(VALU_DEP_1)
	v_mul_hi_u32 v16, 0xd2511f53, v16
	v_xor3_b32 v18, v16, v27, v36
; %bb.36:                               ;   in Loop: Header=BB27_3 Depth=1
	s_and_not1_saveexec_b32 s16, s16
; %bb.37:                               ;   in Loop: Header=BB27_3 Depth=1
	v_dual_mov_b32 v18, v15 :: v_dual_mov_b32 v15, v14
	v_dual_mov_b32 v14, v13 :: v_dual_mov_b32 v13, v19
; %bb.38:                               ;   in Loop: Header=BB27_3 Depth=1
	s_or_b32 exec_lo, exec_lo, s16
                                        ; implicit-def: $vgpr21_vgpr22
                                        ; implicit-def: $vgpr20
                                        ; implicit-def: $vgpr19
                                        ; implicit-def: $vgpr35
                                        ; implicit-def: $vgpr25_vgpr26
                                        ; implicit-def: $vgpr22_vgpr23
                                        ; implicit-def: $vgpr23
.LBB27_39:                              ;   in Loop: Header=BB27_3 Depth=1
	s_and_not1_saveexec_b32 s0, s0
	s_cbranch_execz .LBB27_43
; %bb.40:                               ;   in Loop: Header=BB27_3 Depth=1
	v_xor3_b32 v15, v35, v26, v21
	v_cmp_eq_u32_e32 vcc_lo, 1, v20
	v_mov_b32_e32 v18, v13
	s_delay_alu instid0(VALU_DEP_3) | instskip(SKIP_1) | instid1(VALU_DEP_2)
	v_mad_u64_u32 v[16:17], null, 0xcd9e8d57, v15, 0
	v_mov_b32_e32 v15, v19
	v_xor3_b32 v20, v17, v22, v23
	s_delay_alu instid0(VALU_DEP_3)
	v_mov_b32_e32 v17, v16
	s_and_saveexec_b32 s16, vcc_lo
; %bb.41:                               ;   in Loop: Header=BB27_3 Depth=1
	v_dual_mov_b32 v18, v14 :: v_dual_mov_b32 v15, v13
	v_dual_mov_b32 v17, v19 :: v_dual_mov_b32 v20, v16
; %bb.42:                               ;   in Loop: Header=BB27_3 Depth=1
	s_or_b32 exec_lo, exec_lo, s16
	s_delay_alu instid0(VALU_DEP_1)
	v_dual_mov_b32 v13, v20 :: v_dual_mov_b32 v14, v17
.LBB27_43:                              ;   in Loop: Header=BB27_3 Depth=1
	s_or_b32 exec_lo, exec_lo, s0
	v_min_i32_e32 v16, 4, v33
	s_mov_b32 s16, 0
	s_mov_b32 s38, 0
	;; [unrolled: 1-line block ×3, first 2 shown]
                                        ; implicit-def: $sgpr34
                                        ; implicit-def: $sgpr35
                                        ; implicit-def: $sgpr36
	s_mov_b32 s0, exec_lo
	v_cmpx_lt_i32_e32 2, v16
	s_xor_b32 s37, exec_lo, s0
	s_cbranch_execz .LBB27_55
; %bb.44:                               ;   in Loop: Header=BB27_3 Depth=1
	s_mov_b32 s0, -1
	s_mov_b32 s39, 0
	s_mov_b32 s35, exec_lo
                                        ; implicit-def: $sgpr17
                                        ; implicit-def: $sgpr34
	v_cmpx_lt_i32_e32 3, v16
	s_cbranch_execz .LBB27_50
; %bb.45:                               ;   in Loop: Header=BB27_3 Depth=1
	s_mov_b32 s0, 0
	s_mov_b32 s39, -1
	s_mov_b32 s36, exec_lo
                                        ; implicit-def: $sgpr17
                                        ; implicit-def: $sgpr34
	v_cmpx_eq_u32_e32 4, v16
	s_cbranch_execz .LBB27_49
; %bb.46:                               ;   in Loop: Header=BB27_3 Depth=1
	v_cmp_le_f32_e32 vcc_lo, 0, v0
	v_cmp_ge_f32_e64 s0, 1.0, v0
	s_mov_b32 s17, 0
	s_delay_alu instid0(VALU_DEP_1)
	s_and_b32 s39, vcc_lo, s0
	s_mov_b32 s0, 0
	s_and_saveexec_b32 s34, s39
	s_cbranch_execz .LBB27_48
; %bb.47:                               ;   in Loop: Header=BB27_3 Depth=1
	v_cvt_f32_u32_e32 v17, v18
	v_add_co_u32 v11, vcc_lo, s10, v11
	v_add_co_ci_u32_e32 v12, vcc_lo, s11, v12, vcc_lo
	s_delay_alu instid0(VALU_DEP_3) | instskip(SKIP_1) | instid1(VALU_DEP_1)
	v_fmaak_f32 v17, 0x2f800000, v17, 0x2f800000
	s_mov_b32 s0, exec_lo
	v_cmp_le_f32_e32 vcc_lo, v17, v0
	v_cndmask_b32_e64 v0, 0, 1, vcc_lo
	global_store_b8 v[11:12], v0, off
.LBB27_48:                              ;   in Loop: Header=BB27_3 Depth=1
	s_or_b32 exec_lo, exec_lo, s34
	s_mov_b32 s34, -1
	s_xor_b32 s39, exec_lo, -1
	s_and_b32 s0, s0, exec_lo
.LBB27_49:                              ;   in Loop: Header=BB27_3 Depth=1
	s_or_b32 exec_lo, exec_lo, s36
	s_delay_alu instid0(SALU_CYCLE_1)
	s_and_b32 s39, s39, exec_lo
	s_or_not1_b32 s0, s0, exec_lo
.LBB27_50:                              ;   in Loop: Header=BB27_3 Depth=1
	s_or_b32 exec_lo, exec_lo, s35
	s_mov_b32 s36, s17
	s_and_saveexec_b32 s35, s0
	s_cbranch_execz .LBB27_54
; %bb.51:                               ;   in Loop: Header=BB27_3 Depth=1
	v_lshlrev_b64 v[9:10], 2, v[9:10]
	s_delay_alu instid0(VALU_DEP_1) | instskip(NEXT) | instid1(VALU_DEP_2)
	v_add_co_u32 v9, vcc_lo, s8, v9
	v_add_co_ci_u32_e32 v10, vcc_lo, s9, v10, vcc_lo
	global_load_b32 v0, v[9:10], off
	s_waitcnt vmcnt(0)
	v_cmp_le_f32_e32 vcc_lo, 0, v0
	v_cmp_ge_f32_e64 s0, 1.0, v0
	s_delay_alu instid0(VALU_DEP_1) | instskip(SKIP_2) | instid1(SALU_CYCLE_1)
	s_and_b32 s36, vcc_lo, s0
	s_mov_b32 s0, 0
	s_and_saveexec_b32 s38, s36
	s_xor_b32 s36, exec_lo, s38
	s_cbranch_execz .LBB27_53
; %bb.52:                               ;   in Loop: Header=BB27_3 Depth=1
	v_cvt_f32_u32_e32 v9, v15
	s_mov_b32 s0, exec_lo
	s_delay_alu instid0(VALU_DEP_1) | instskip(NEXT) | instid1(VALU_DEP_1)
	v_fmaak_f32 v9, 0x2f800000, v9, 0x2f800000
	v_cmp_le_f32_e32 vcc_lo, v9, v0
	v_cndmask_b32_e64 v0, 0, 1, vcc_lo
	global_store_b8 v8, v0, s[10:11]
.LBB27_53:                              ;   in Loop: Header=BB27_3 Depth=1
	s_or_b32 exec_lo, exec_lo, s36
	s_delay_alu instid0(SALU_CYCLE_1)
	s_and_not1_b32 s36, s17, exec_lo
	s_or_b32 s17, s17, exec_lo
	s_and_not1_b32 s34, s34, exec_lo
	s_and_b32 s38, s0, exec_lo
.LBB27_54:                              ;   in Loop: Header=BB27_3 Depth=1
	s_or_b32 exec_lo, exec_lo, s35
	s_delay_alu instid0(SALU_CYCLE_1)
	s_and_b32 s36, s36, exec_lo
	s_and_b32 s35, s17, exec_lo
	;; [unrolled: 1-line block ×5, first 2 shown]
.LBB27_55:                              ;   in Loop: Header=BB27_3 Depth=1
	s_and_not1_saveexec_b32 s0, s37
; %bb.56:                               ;   in Loop: Header=BB27_3 Depth=1
	v_cmp_lt_i32_e32 vcc_lo, 1, v16
	s_and_not1_b32 s37, s38, exec_lo
	s_mov_b32 s16, exec_lo
	s_and_not1_b32 s36, s36, exec_lo
	s_and_not1_b32 s35, s35, exec_lo
	s_and_b32 s38, vcc_lo, exec_lo
	s_and_not1_b32 s34, s34, exec_lo
	s_or_b32 s38, s37, s38
; %bb.57:                               ;   in Loop: Header=BB27_3 Depth=1
	s_or_b32 exec_lo, exec_lo, s0
	s_mov_b32 s0, 0
	s_mov_b32 s37, s36
	s_and_saveexec_b32 s39, s38
	s_cbranch_execnz .LBB27_60
; %bb.58:                               ;   in Loop: Header=BB27_3 Depth=1
	s_or_b32 exec_lo, exec_lo, s39
	s_and_saveexec_b32 s38, s16
	s_cbranch_execnz .LBB27_63
.LBB27_59:                              ;   in Loop: Header=BB27_3 Depth=1
	s_or_b32 exec_lo, exec_lo, s38
	s_and_saveexec_b32 s16, s0
	s_cbranch_execnz .LBB27_64
	s_branch .LBB27_67
.LBB27_60:                              ;   in Loop: Header=BB27_3 Depth=1
	v_lshlrev_b64 v[8:9], 2, v[3:4]
	s_mov_b32 s38, 0
	s_delay_alu instid0(VALU_DEP_1) | instskip(NEXT) | instid1(VALU_DEP_2)
	v_add_co_u32 v8, vcc_lo, s8, v8
	v_add_co_ci_u32_e32 v9, vcc_lo, s9, v9, vcc_lo
	global_load_b32 v0, v[8:9], off
	s_waitcnt vmcnt(0)
	v_cmp_le_f32_e32 vcc_lo, 0, v0
	v_cmp_ge_f32_e64 s0, 1.0, v0
	s_delay_alu instid0(VALU_DEP_1) | instskip(NEXT) | instid1(SALU_CYCLE_1)
	s_and_b32 s0, vcc_lo, s0
	s_and_saveexec_b32 s37, s0
	s_delay_alu instid0(SALU_CYCLE_1)
	s_xor_b32 s0, exec_lo, s37
	s_cbranch_execz .LBB27_62
; %bb.61:                               ;   in Loop: Header=BB27_3 Depth=1
	v_cvt_f32_u32_e32 v3, v14
	s_mov_b32 s38, exec_lo
	s_delay_alu instid0(VALU_DEP_1) | instskip(NEXT) | instid1(VALU_DEP_1)
	v_fmaak_f32 v3, 0x2f800000, v3, 0x2f800000
	v_cmp_le_f32_e32 vcc_lo, v3, v0
	v_cndmask_b32_e64 v0, 0, 1, vcc_lo
	global_store_b8 v7, v0, s[10:11]
.LBB27_62:                              ;   in Loop: Header=BB27_3 Depth=1
	s_or_b32 exec_lo, exec_lo, s0
	s_delay_alu instid0(SALU_CYCLE_1)
	s_and_not1_b32 s37, s36, exec_lo
	s_or_b32 s36, s36, exec_lo
	s_and_not1_b32 s35, s35, exec_lo
	s_and_not1_b32 s34, s34, exec_lo
	s_and_b32 s0, s38, exec_lo
	s_and_not1_b32 s16, s16, exec_lo
	s_or_b32 exec_lo, exec_lo, s39
	s_and_saveexec_b32 s38, s16
	s_cbranch_execz .LBB27_59
.LBB27_63:                              ;   in Loop: Header=BB27_3 Depth=1
	v_cmp_eq_u32_e32 vcc_lo, 1, v16
	s_and_not1_b32 s0, s0, exec_lo
	s_and_not1_b32 s37, s37, exec_lo
	;; [unrolled: 1-line block ×4, first 2 shown]
	s_and_b32 s16, vcc_lo, exec_lo
	s_and_not1_b32 s34, s34, exec_lo
	s_or_b32 s17, s17, exec_lo
	s_or_b32 s0, s0, s16
	s_or_b32 exec_lo, exec_lo, s38
	s_and_saveexec_b32 s16, s0
	s_cbranch_execz .LBB27_67
.LBB27_64:                              ;   in Loop: Header=BB27_3 Depth=1
	v_mov_b32_e32 v7, v4
	s_mov_b32 s38, 0
	s_delay_alu instid0(VALU_DEP_1) | instskip(NEXT) | instid1(VALU_DEP_1)
	v_lshlrev_b64 v[6:7], 2, v[6:7]
	v_add_co_u32 v6, vcc_lo, s8, v6
	s_delay_alu instid0(VALU_DEP_2) | instskip(SKIP_4) | instid1(VALU_DEP_1)
	v_add_co_ci_u32_e32 v7, vcc_lo, s9, v7, vcc_lo
	global_load_b32 v0, v[6:7], off
	s_waitcnt vmcnt(0)
	v_cmp_le_f32_e32 vcc_lo, 0, v0
	v_cmp_ge_f32_e64 s0, 1.0, v0
	s_and_b32 s39, vcc_lo, s0
	s_delay_alu instid0(SALU_CYCLE_1)
	s_and_saveexec_b32 s0, s39
	s_cbranch_execz .LBB27_66
; %bb.65:                               ;   in Loop: Header=BB27_3 Depth=1
	v_cvt_f32_u32_e32 v3, v13
	s_mov_b32 s38, exec_lo
	s_delay_alu instid0(VALU_DEP_1) | instskip(NEXT) | instid1(VALU_DEP_1)
	v_fmaak_f32 v3, 0x2f800000, v3, 0x2f800000
	v_cmp_le_f32_e32 vcc_lo, v3, v0
	v_cndmask_b32_e64 v0, 0, 1, vcc_lo
	global_store_b8 v5, v0, s[10:11]
.LBB27_66:                              ;   in Loop: Header=BB27_3 Depth=1
	s_or_b32 exec_lo, exec_lo, s0
	s_delay_alu instid0(SALU_CYCLE_1)
	s_and_not1_b32 s0, s17, exec_lo
	s_and_b32 s17, s38, exec_lo
	s_or_b32 s37, s37, exec_lo
	s_and_not1_b32 s36, s36, exec_lo
	s_and_not1_b32 s35, s35, exec_lo
	;; [unrolled: 1-line block ×3, first 2 shown]
	s_or_b32 s17, s0, s17
.LBB27_67:                              ;   in Loop: Header=BB27_3 Depth=1
	s_or_b32 exec_lo, exec_lo, s16
	s_delay_alu instid0(SALU_CYCLE_1)
	s_and_not1_b32 s16, s33, exec_lo
	s_and_b32 s33, s37, exec_lo
	s_and_not1_b32 s30, s30, exec_lo
	s_and_b32 s36, s36, exec_lo
	s_or_b32 s33, s16, s33
	s_and_not1_b32 s16, s31, exec_lo
	s_and_b32 s31, s35, exec_lo
	s_and_not1_b32 s29, s29, exec_lo
	s_and_b32 s34, s34, exec_lo
	s_mov_b32 s0, -1
	s_or_b32 s30, s30, s36
	s_or_b32 s31, s16, s31
	s_or_b32 s29, s29, s34
	s_and_saveexec_b32 s16, s17
	s_cbranch_execz .LBB27_2
; %bb.68:                               ;   in Loop: Header=BB27_3 Depth=1
	v_add_nc_u32_e32 v30, s24, v30
	s_and_not1_b32 s33, s33, exec_lo
	s_and_not1_b32 s30, s30, exec_lo
	;; [unrolled: 1-line block ×4, first 2 shown]
	v_cmp_le_u32_e32 vcc_lo, s18, v30
	s_or_not1_b32 s0, vcc_lo, exec_lo
	s_branch .LBB27_2
.LBB27_69:
	s_or_b32 exec_lo, exec_lo, s1
	s_xor_b32 s3, s27, -1
	s_xor_b32 s4, s28, -1
	;; [unrolled: 1-line block ×3, first 2 shown]
	s_mov_b32 s1, 0
	s_and_saveexec_b32 s2, s0
	s_delay_alu instid0(SALU_CYCLE_1)
	s_xor_b32 s0, exec_lo, s2
	s_cbranch_execz .LBB27_78
; %bb.70:
	s_mov_b32 s2, 0
	s_and_saveexec_b32 s1, s4
	s_delay_alu instid0(SALU_CYCLE_1)
	s_xor_b32 s1, exec_lo, s1
	s_cbranch_execz .LBB27_76
; %bb.71:
	s_and_saveexec_b32 s4, s3
	s_delay_alu instid0(SALU_CYCLE_1)
	s_xor_b32 s3, exec_lo, s4
	s_cbranch_execz .LBB27_74
; %bb.72:
	s_and_saveexec_b32 s4, s23
	s_delay_alu instid0(SALU_CYCLE_1)
	s_xor_b32 s4, exec_lo, s4
	s_cbranch_execnz .LBB27_92
.LBB27_73:
	s_or_b32 exec_lo, exec_lo, s4
	s_delay_alu instid0(SALU_CYCLE_1)
	s_and_b32 s2, s2, exec_lo
.LBB27_74:
	s_and_not1_saveexec_b32 s3, s3
	s_cbranch_execnz .LBB27_88
.LBB27_75:
	s_or_b32 exec_lo, exec_lo, s3
	s_delay_alu instid0(SALU_CYCLE_1)
	s_and_b32 s2, s2, exec_lo
.LBB27_76:
	s_and_not1_saveexec_b32 s1, s1
	s_cbranch_execnz .LBB27_84
.LBB27_77:
	s_or_b32 exec_lo, exec_lo, s1
	s_delay_alu instid0(SALU_CYCLE_1)
	s_and_b32 s1, s2, exec_lo
.LBB27_78:
	s_and_not1_saveexec_b32 s0, s0
	s_cbranch_execnz .LBB27_82
; %bb.79:
	s_or_b32 exec_lo, exec_lo, s0
	s_delay_alu instid0(SALU_CYCLE_1)
	s_and_b32 exec_lo, exec_lo, s1
.LBB27_80:
	; divergent unreachable
.LBB27_81:
	s_nop 0
	s_sendmsg sendmsg(MSG_DEALLOC_VGPRS)
	s_endpgm
.LBB27_82:
	s_cbranch_execnz .LBB27_86
; %bb.83:
	s_or_b32 s1, s1, exec_lo
	s_or_b32 exec_lo, exec_lo, s0
	s_delay_alu instid0(SALU_CYCLE_1)
	s_and_b32 exec_lo, exec_lo, s1
	s_cbranch_execnz .LBB27_80
	s_branch .LBB27_81
.LBB27_84:
	s_cbranch_execnz .LBB27_90
; %bb.85:
	s_or_b32 s2, s2, exec_lo
	s_branch .LBB27_77
.LBB27_86:
	s_trap 2
	s_sendmsg_rtn_b32 s0, sendmsg(MSG_RTN_GET_DOORBELL)
	s_mov_b32 ttmp2, m0
	s_waitcnt lgkmcnt(0)
	s_and_b32 s0, s0, 0x3ff
	s_delay_alu instid0(SALU_CYCLE_1) | instskip(NEXT) | instid1(SALU_CYCLE_1)
	s_bitset1_b32 s0, 10
	s_mov_b32 m0, s0
	s_sendmsg sendmsg(MSG_INTERRUPT)
	s_mov_b32 m0, ttmp2
.LBB27_87:                              ; =>This Inner Loop Header: Depth=1
	s_sethalt 5
	s_branch .LBB27_87
.LBB27_88:
	s_cbranch_execnz .LBB27_94
; %bb.89:
	s_or_b32 s2, s2, exec_lo
	s_branch .LBB27_75
.LBB27_90:
	s_trap 2
	s_sendmsg_rtn_b32 s0, sendmsg(MSG_RTN_GET_DOORBELL)
	s_mov_b32 ttmp2, m0
	s_waitcnt lgkmcnt(0)
	s_and_b32 s0, s0, 0x3ff
	s_delay_alu instid0(SALU_CYCLE_1) | instskip(NEXT) | instid1(SALU_CYCLE_1)
	s_bitset1_b32 s0, 10
	s_mov_b32 m0, s0
	s_sendmsg sendmsg(MSG_INTERRUPT)
	s_mov_b32 m0, ttmp2
.LBB27_91:                              ; =>This Inner Loop Header: Depth=1
	s_sethalt 5
	s_branch .LBB27_91
.LBB27_92:
	s_cbranch_execnz .LBB27_96
; %bb.93:
	s_mov_b32 s2, exec_lo
	s_branch .LBB27_73
.LBB27_94:
	s_trap 2
	s_sendmsg_rtn_b32 s0, sendmsg(MSG_RTN_GET_DOORBELL)
	s_mov_b32 ttmp2, m0
	s_waitcnt lgkmcnt(0)
	s_and_b32 s0, s0, 0x3ff
	s_delay_alu instid0(SALU_CYCLE_1) | instskip(NEXT) | instid1(SALU_CYCLE_1)
	s_bitset1_b32 s0, 10
	s_mov_b32 m0, s0
	s_sendmsg sendmsg(MSG_INTERRUPT)
	s_mov_b32 m0, ttmp2
.LBB27_95:                              ; =>This Inner Loop Header: Depth=1
	s_sethalt 5
	s_branch .LBB27_95
.LBB27_96:
	s_trap 2
	s_sendmsg_rtn_b32 s0, sendmsg(MSG_RTN_GET_DOORBELL)
	s_mov_b32 ttmp2, m0
	s_waitcnt lgkmcnt(0)
	s_and_b32 s0, s0, 0x3ff
	s_delay_alu instid0(SALU_CYCLE_1) | instskip(NEXT) | instid1(SALU_CYCLE_1)
	s_bitset1_b32 s0, 10
	s_mov_b32 m0, s0
	s_sendmsg sendmsg(MSG_INTERRUPT)
	s_mov_b32 m0, ttmp2
.LBB27_97:                              ; =>This Inner Loop Header: Depth=1
	s_sethalt 5
	s_branch .LBB27_97
	.section	.rodata,"a",@progbits
	.p2align	6, 0x0
	.amdhsa_kernel _ZN2at4cuda12_GLOBAL__N_121kernelPointwiseApply2IZNS_6native9templates4cuda28bernoulli_tensor_cuda_kernelIafEEvRKNS_10TensorBaseES9_NS_15PhiloxCudaStateEEUliRaSB_SB_SB_RKfSD_SD_SD_E_aSC_jLi2ELin1ELi4ELi512ELi2EEEvNS0_6detail10TensorInfoIT0_T2_EENSG_IT1_SI_EESI_T_
		.amdhsa_group_segment_fixed_size 0
		.amdhsa_private_segment_fixed_size 0
		.amdhsa_kernarg_size 728
		.amdhsa_user_sgpr_count 15
		.amdhsa_user_sgpr_dispatch_ptr 0
		.amdhsa_user_sgpr_queue_ptr 0
		.amdhsa_user_sgpr_kernarg_segment_ptr 1
		.amdhsa_user_sgpr_dispatch_id 0
		.amdhsa_user_sgpr_private_segment_size 0
		.amdhsa_wavefront_size32 1
		.amdhsa_uses_dynamic_stack 0
		.amdhsa_enable_private_segment 0
		.amdhsa_system_sgpr_workgroup_id_x 1
		.amdhsa_system_sgpr_workgroup_id_y 0
		.amdhsa_system_sgpr_workgroup_id_z 0
		.amdhsa_system_sgpr_workgroup_info 0
		.amdhsa_system_vgpr_workitem_id 0
		.amdhsa_next_free_vgpr 42
		.amdhsa_next_free_sgpr 40
		.amdhsa_reserve_vcc 1
		.amdhsa_float_round_mode_32 0
		.amdhsa_float_round_mode_16_64 0
		.amdhsa_float_denorm_mode_32 3
		.amdhsa_float_denorm_mode_16_64 3
		.amdhsa_dx10_clamp 1
		.amdhsa_ieee_mode 1
		.amdhsa_fp16_overflow 0
		.amdhsa_workgroup_processor_mode 1
		.amdhsa_memory_ordered 1
		.amdhsa_forward_progress 0
		.amdhsa_shared_vgpr_count 0
		.amdhsa_exception_fp_ieee_invalid_op 0
		.amdhsa_exception_fp_denorm_src 0
		.amdhsa_exception_fp_ieee_div_zero 0
		.amdhsa_exception_fp_ieee_overflow 0
		.amdhsa_exception_fp_ieee_underflow 0
		.amdhsa_exception_fp_ieee_inexact 0
		.amdhsa_exception_int_div_zero 0
	.end_amdhsa_kernel
	.section	.text._ZN2at4cuda12_GLOBAL__N_121kernelPointwiseApply2IZNS_6native9templates4cuda28bernoulli_tensor_cuda_kernelIafEEvRKNS_10TensorBaseES9_NS_15PhiloxCudaStateEEUliRaSB_SB_SB_RKfSD_SD_SD_E_aSC_jLi2ELin1ELi4ELi512ELi2EEEvNS0_6detail10TensorInfoIT0_T2_EENSG_IT1_SI_EESI_T_,"axG",@progbits,_ZN2at4cuda12_GLOBAL__N_121kernelPointwiseApply2IZNS_6native9templates4cuda28bernoulli_tensor_cuda_kernelIafEEvRKNS_10TensorBaseES9_NS_15PhiloxCudaStateEEUliRaSB_SB_SB_RKfSD_SD_SD_E_aSC_jLi2ELin1ELi4ELi512ELi2EEEvNS0_6detail10TensorInfoIT0_T2_EENSG_IT1_SI_EESI_T_,comdat
.Lfunc_end27:
	.size	_ZN2at4cuda12_GLOBAL__N_121kernelPointwiseApply2IZNS_6native9templates4cuda28bernoulli_tensor_cuda_kernelIafEEvRKNS_10TensorBaseES9_NS_15PhiloxCudaStateEEUliRaSB_SB_SB_RKfSD_SD_SD_E_aSC_jLi2ELin1ELi4ELi512ELi2EEEvNS0_6detail10TensorInfoIT0_T2_EENSG_IT1_SI_EESI_T_, .Lfunc_end27-_ZN2at4cuda12_GLOBAL__N_121kernelPointwiseApply2IZNS_6native9templates4cuda28bernoulli_tensor_cuda_kernelIafEEvRKNS_10TensorBaseES9_NS_15PhiloxCudaStateEEUliRaSB_SB_SB_RKfSD_SD_SD_E_aSC_jLi2ELin1ELi4ELi512ELi2EEEvNS0_6detail10TensorInfoIT0_T2_EENSG_IT1_SI_EESI_T_
                                        ; -- End function
	.section	.AMDGPU.csdata,"",@progbits
; Kernel info:
; codeLenInByte = 4776
; NumSgprs: 42
; NumVgprs: 42
; ScratchSize: 0
; MemoryBound: 0
; FloatMode: 240
; IeeeMode: 1
; LDSByteSize: 0 bytes/workgroup (compile time only)
; SGPRBlocks: 5
; VGPRBlocks: 5
; NumSGPRsForWavesPerEU: 42
; NumVGPRsForWavesPerEU: 42
; Occupancy: 16
; WaveLimiterHint : 1
; COMPUTE_PGM_RSRC2:SCRATCH_EN: 0
; COMPUTE_PGM_RSRC2:USER_SGPR: 15
; COMPUTE_PGM_RSRC2:TRAP_HANDLER: 0
; COMPUTE_PGM_RSRC2:TGID_X_EN: 1
; COMPUTE_PGM_RSRC2:TGID_Y_EN: 0
; COMPUTE_PGM_RSRC2:TGID_Z_EN: 0
; COMPUTE_PGM_RSRC2:TIDIG_COMP_CNT: 0
	.section	.text._ZN2at4cuda12_GLOBAL__N_121kernelPointwiseApply2IZNS_6native9templates4cuda28bernoulli_tensor_cuda_kernelIafEEvRKNS_10TensorBaseES9_NS_15PhiloxCudaStateEEUliRaSB_SB_SB_RKfSD_SD_SD_E_aSC_jLin1ELi1ELi4ELi512ELi2EEEvNS0_6detail10TensorInfoIT0_T2_EENSG_IT1_SI_EESI_T_,"axG",@progbits,_ZN2at4cuda12_GLOBAL__N_121kernelPointwiseApply2IZNS_6native9templates4cuda28bernoulli_tensor_cuda_kernelIafEEvRKNS_10TensorBaseES9_NS_15PhiloxCudaStateEEUliRaSB_SB_SB_RKfSD_SD_SD_E_aSC_jLin1ELi1ELi4ELi512ELi2EEEvNS0_6detail10TensorInfoIT0_T2_EENSG_IT1_SI_EESI_T_,comdat
	.globl	_ZN2at4cuda12_GLOBAL__N_121kernelPointwiseApply2IZNS_6native9templates4cuda28bernoulli_tensor_cuda_kernelIafEEvRKNS_10TensorBaseES9_NS_15PhiloxCudaStateEEUliRaSB_SB_SB_RKfSD_SD_SD_E_aSC_jLin1ELi1ELi4ELi512ELi2EEEvNS0_6detail10TensorInfoIT0_T2_EENSG_IT1_SI_EESI_T_ ; -- Begin function _ZN2at4cuda12_GLOBAL__N_121kernelPointwiseApply2IZNS_6native9templates4cuda28bernoulli_tensor_cuda_kernelIafEEvRKNS_10TensorBaseES9_NS_15PhiloxCudaStateEEUliRaSB_SB_SB_RKfSD_SD_SD_E_aSC_jLin1ELi1ELi4ELi512ELi2EEEvNS0_6detail10TensorInfoIT0_T2_EENSG_IT1_SI_EESI_T_
	.p2align	8
	.type	_ZN2at4cuda12_GLOBAL__N_121kernelPointwiseApply2IZNS_6native9templates4cuda28bernoulli_tensor_cuda_kernelIafEEvRKNS_10TensorBaseES9_NS_15PhiloxCudaStateEEUliRaSB_SB_SB_RKfSD_SD_SD_E_aSC_jLin1ELi1ELi4ELi512ELi2EEEvNS0_6detail10TensorInfoIT0_T2_EENSG_IT1_SI_EESI_T_,@function
_ZN2at4cuda12_GLOBAL__N_121kernelPointwiseApply2IZNS_6native9templates4cuda28bernoulli_tensor_cuda_kernelIafEEvRKNS_10TensorBaseES9_NS_15PhiloxCudaStateEEUliRaSB_SB_SB_RKfSD_SD_SD_E_aSC_jLin1ELi1ELi4ELi512ELi2EEEvNS0_6detail10TensorInfoIT0_T2_EENSG_IT1_SI_EESI_T_: ; @_ZN2at4cuda12_GLOBAL__N_121kernelPointwiseApply2IZNS_6native9templates4cuda28bernoulli_tensor_cuda_kernelIafEEvRKNS_10TensorBaseES9_NS_15PhiloxCudaStateEEUliRaSB_SB_SB_RKfSD_SD_SD_E_aSC_jLin1ELi1ELi4ELi512ELi2EEEvNS0_6detail10TensorInfoIT0_T2_EENSG_IT1_SI_EESI_T_
; %bb.0:
	s_clause 0x1
	s_load_b32 s4, s[0:1], 0x1e4
	s_load_b32 s20, s[0:1], 0x1b0
	s_add_u32 s2, s0, 0x1d8
	s_addc_u32 s3, s1, 0
	s_waitcnt lgkmcnt(0)
	s_and_b32 s14, s4, 0xffff
	s_mov_b32 s4, exec_lo
	v_mad_u64_u32 v[1:2], null, s15, s14, v[0:1]
	s_delay_alu instid0(VALU_DEP_1) | instskip(NEXT) | instid1(VALU_DEP_1)
	v_lshlrev_b32_e32 v29, 2, v1
	v_cmpx_gt_u32_e64 s20, v29
	s_cbranch_execz .LBB28_73
; %bb.1:
	s_load_b32 s16, s[0:1], 0xd0
	s_load_b32 s2, s[2:3], 0x0
	s_clause 0x6
	s_load_b32 s3, s[0:1], 0x1d0
	s_load_b64 s[8:9], s[0:1], 0xd8
	s_load_b64 s[10:11], s[0:1], 0x1c8
	s_load_b32 s21, s[0:1], 0x144
	s_load_b128 s[4:7], s[0:1], 0x1b8
	s_load_b32 s22, s[0:1], 0x6c
	s_load_b64 s[12:13], s[0:1], 0x0
	v_mad_u64_u32 v[2:3], null, 0xcd9e8d57, v1, 0
	s_mov_b32 s15, 0
	v_mov_b32_e32 v4, 0
                                        ; implicit-def: $sgpr27
                                        ; implicit-def: $sgpr29
                                        ; implicit-def: $sgpr28
                                        ; implicit-def: $sgpr30
                                        ; implicit-def: $sgpr33
                                        ; implicit-def: $sgpr31
                                        ; implicit-def: $sgpr34
	s_delay_alu instid0(VALU_DEP_2)
	v_mov_b32_e32 v30, v3
	s_waitcnt lgkmcnt(0)
	s_cmp_gt_i32 s16, 1
	s_mul_i32 s2, s2, s14
	s_cselect_b32 s23, -1, 0
	s_bitcmp1_b32 s3, 0
	s_cselect_b32 s24, -1, 0
	s_add_i32 s14, s16, -1
	s_lshl_b32 s25, s2, 2
	s_lshl_b64 s[2:3], s[14:15], 2
	s_add_i32 s26, s16, 1
	s_add_u32 s0, s2, s0
	s_addc_u32 s1, s3, s1
	s_add_u32 s16, s0, 8
	s_addc_u32 s17, s1, 0
                                        ; implicit-def: $sgpr14
	s_branch .LBB28_3
.LBB28_2:                               ;   in Loop: Header=BB28_3 Depth=1
	s_or_b32 exec_lo, exec_lo, s1
	s_delay_alu instid0(SALU_CYCLE_1) | instskip(NEXT) | instid1(SALU_CYCLE_1)
	s_and_b32 s0, exec_lo, s0
	s_or_b32 s15, s0, s15
	s_and_not1_b32 s0, s14, exec_lo
	s_and_b32 s1, s34, exec_lo
	s_and_not1_b32 s2, s28, exec_lo
	s_and_b32 s3, s31, exec_lo
	s_or_b32 s14, s0, s1
	s_or_b32 s28, s2, s3
	s_and_not1_b32 s0, s29, exec_lo
	s_and_b32 s1, s33, exec_lo
	s_and_not1_b32 s2, s27, exec_lo
	s_and_b32 s3, s30, exec_lo
	s_or_b32 s29, s0, s1
	s_or_b32 s27, s2, s3
	s_and_not1_b32 exec_lo, exec_lo, s15
	s_cbranch_execz .LBB28_61
.LBB28_3:                               ; =>This Loop Header: Depth=1
                                        ;     Child Loop BB28_6 Depth 2
                                        ;     Child Loop BB28_11 Depth 2
	;; [unrolled: 1-line block ×4, first 2 shown]
	v_sub_nc_u32_e32 v31, s20, v29
	v_mov_b32_e32 v5, 0
	s_delay_alu instid0(VALU_DEP_2) | instskip(NEXT) | instid1(VALU_DEP_1)
	v_cmp_lt_i32_e64 s0, 0, v31
	s_and_saveexec_b32 s1, s0
	s_cbranch_execz .LBB28_8
; %bb.4:                                ;   in Loop: Header=BB28_3 Depth=1
	v_dual_mov_b32 v0, 0 :: v_dual_mov_b32 v3, v29
	s_and_not1_b32 vcc_lo, exec_lo, s23
	s_cbranch_vccnz .LBB28_7
; %bb.5:                                ;   in Loop: Header=BB28_3 Depth=1
	v_dual_mov_b32 v0, 0 :: v_dual_mov_b32 v3, v29
	s_mov_b64 s[2:3], s[16:17]
	s_mov_b32 s18, s26
	s_set_inst_prefetch_distance 0x1
	.p2align	6
.LBB28_6:                               ;   Parent Loop BB28_3 Depth=1
                                        ; =>  This Inner Loop Header: Depth=2
	s_clause 0x1
	s_load_b32 s19, s[2:3], 0x0
	s_load_b32 s35, s[2:3], 0x64
	v_mov_b32_e32 v7, v3
	s_add_i32 s18, s18, -1
	s_waitcnt lgkmcnt(0)
	v_cvt_f32_u32_e32 v5, s19
	s_sub_i32 s36, 0, s19
	s_add_u32 s2, s2, -4
	s_addc_u32 s3, s3, -1
	s_cmp_gt_u32 s18, 2
	v_rcp_iflag_f32_e32 v5, v5
	s_waitcnt_depctr 0xfff
	v_mul_f32_e32 v5, 0x4f7ffffe, v5
	s_delay_alu instid0(VALU_DEP_1) | instskip(NEXT) | instid1(VALU_DEP_1)
	v_cvt_u32_f32_e32 v5, v5
	v_mul_lo_u32 v6, s36, v5
	s_delay_alu instid0(VALU_DEP_1) | instskip(NEXT) | instid1(VALU_DEP_1)
	v_mul_hi_u32 v6, v5, v6
	v_add_nc_u32_e32 v3, v5, v6
	s_delay_alu instid0(VALU_DEP_1) | instskip(NEXT) | instid1(VALU_DEP_1)
	v_mul_hi_u32 v3, v7, v3
	v_add_nc_u32_e32 v6, 1, v3
	v_mul_lo_u32 v5, v3, s19
	s_delay_alu instid0(VALU_DEP_1) | instskip(NEXT) | instid1(VALU_DEP_1)
	v_sub_nc_u32_e32 v5, v7, v5
	v_subrev_nc_u32_e32 v8, s19, v5
	v_cmp_le_u32_e32 vcc_lo, s19, v5
	v_cndmask_b32_e32 v3, v3, v6, vcc_lo
	s_delay_alu instid0(VALU_DEP_1) | instskip(NEXT) | instid1(VALU_DEP_1)
	v_dual_cndmask_b32 v5, v5, v8 :: v_dual_add_nc_u32 v6, 1, v3
	v_cmp_le_u32_e32 vcc_lo, s19, v5
	s_delay_alu instid0(VALU_DEP_2) | instskip(NEXT) | instid1(VALU_DEP_1)
	v_cndmask_b32_e32 v3, v3, v6, vcc_lo
	v_mul_lo_u32 v5, v3, s19
	s_delay_alu instid0(VALU_DEP_1) | instskip(NEXT) | instid1(VALU_DEP_1)
	v_sub_nc_u32_e32 v7, v7, v5
	v_mad_u64_u32 v[5:6], null, s35, v7, v[0:1]
	s_delay_alu instid0(VALU_DEP_1)
	v_mov_b32_e32 v0, v5
	s_cbranch_scc1 .LBB28_6
.LBB28_7:                               ;   in Loop: Header=BB28_3 Depth=1
	s_set_inst_prefetch_distance 0x2
	s_delay_alu instid0(VALU_DEP_1)
	v_mad_u64_u32 v[5:6], null, s22, v3, v[0:1]
.LBB28_8:                               ;   in Loop: Header=BB28_3 Depth=1
	s_or_b32 exec_lo, exec_lo, s1
	v_mov_b32_e32 v6, 0
	v_mov_b32_e32 v7, 0
	v_cmp_lt_i32_e64 s1, 1, v31
	s_delay_alu instid0(VALU_DEP_1)
	s_and_saveexec_b32 s18, s1
	s_cbranch_execz .LBB28_13
; %bb.9:                                ;   in Loop: Header=BB28_3 Depth=1
	v_or_b32_e32 v3, 1, v29
	v_mov_b32_e32 v0, 0
	s_and_not1_b32 vcc_lo, exec_lo, s23
	s_cbranch_vccnz .LBB28_12
; %bb.10:                               ;   in Loop: Header=BB28_3 Depth=1
	v_mov_b32_e32 v0, 0
	s_mov_b64 s[2:3], s[16:17]
	s_mov_b32 s19, s26
	s_set_inst_prefetch_distance 0x1
	.p2align	6
.LBB28_11:                              ;   Parent Loop BB28_3 Depth=1
                                        ; =>  This Inner Loop Header: Depth=2
	s_clause 0x1
	s_load_b32 s35, s[2:3], 0x0
	s_load_b32 s36, s[2:3], 0x64
	s_add_i32 s19, s19, -1
	s_waitcnt lgkmcnt(0)
	v_cvt_f32_u32_e32 v6, s35
	s_sub_i32 s37, 0, s35
	s_add_u32 s2, s2, -4
	s_addc_u32 s3, s3, -1
	s_cmp_gt_u32 s19, 2
	v_rcp_iflag_f32_e32 v6, v6
	s_waitcnt_depctr 0xfff
	v_mul_f32_e32 v6, 0x4f7ffffe, v6
	s_delay_alu instid0(VALU_DEP_1) | instskip(NEXT) | instid1(VALU_DEP_1)
	v_cvt_u32_f32_e32 v6, v6
	v_mul_lo_u32 v7, s37, v6
	s_delay_alu instid0(VALU_DEP_1) | instskip(NEXT) | instid1(VALU_DEP_1)
	v_mul_hi_u32 v7, v6, v7
	v_dual_mov_b32 v8, v3 :: v_dual_add_nc_u32 v3, v6, v7
	s_delay_alu instid0(VALU_DEP_1) | instskip(NEXT) | instid1(VALU_DEP_1)
	v_mul_hi_u32 v3, v8, v3
	v_mul_lo_u32 v6, v3, s35
	v_add_nc_u32_e32 v7, 1, v3
	s_delay_alu instid0(VALU_DEP_2) | instskip(NEXT) | instid1(VALU_DEP_1)
	v_sub_nc_u32_e32 v6, v8, v6
	v_subrev_nc_u32_e32 v9, s35, v6
	v_cmp_le_u32_e32 vcc_lo, s35, v6
	s_delay_alu instid0(VALU_DEP_2) | instskip(NEXT) | instid1(VALU_DEP_1)
	v_dual_cndmask_b32 v3, v3, v7 :: v_dual_cndmask_b32 v6, v6, v9
	v_add_nc_u32_e32 v7, 1, v3
	s_delay_alu instid0(VALU_DEP_2) | instskip(NEXT) | instid1(VALU_DEP_2)
	v_cmp_le_u32_e32 vcc_lo, s35, v6
	v_cndmask_b32_e32 v3, v3, v7, vcc_lo
	s_delay_alu instid0(VALU_DEP_1) | instskip(NEXT) | instid1(VALU_DEP_1)
	v_mul_lo_u32 v6, v3, s35
	v_sub_nc_u32_e32 v8, v8, v6
	s_delay_alu instid0(VALU_DEP_1) | instskip(NEXT) | instid1(VALU_DEP_1)
	v_mad_u64_u32 v[6:7], null, s36, v8, v[0:1]
	v_mov_b32_e32 v0, v6
	s_cbranch_scc1 .LBB28_11
.LBB28_12:                              ;   in Loop: Header=BB28_3 Depth=1
	s_set_inst_prefetch_distance 0x2
	s_delay_alu instid0(VALU_DEP_1)
	v_mad_u64_u32 v[6:7], null, s22, v3, v[0:1]
	v_mov_b32_e32 v7, v4
.LBB28_13:                              ;   in Loop: Header=BB28_3 Depth=1
	s_or_b32 exec_lo, exec_lo, s18
	v_mov_b32_e32 v8, 0
	v_mov_b32_e32 v9, 0
	v_cmp_lt_i32_e64 s2, 2, v31
	s_delay_alu instid0(VALU_DEP_1)
	s_and_saveexec_b32 s3, s2
	s_cbranch_execz .LBB28_18
; %bb.14:                               ;   in Loop: Header=BB28_3 Depth=1
	v_or_b32_e32 v3, 2, v29
	v_mov_b32_e32 v0, 0
	s_and_not1_b32 vcc_lo, exec_lo, s23
	s_cbranch_vccnz .LBB28_17
; %bb.15:                               ;   in Loop: Header=BB28_3 Depth=1
	v_mov_b32_e32 v0, 0
	s_mov_b64 s[18:19], s[16:17]
	s_mov_b32 s35, s26
	s_set_inst_prefetch_distance 0x1
	.p2align	6
.LBB28_16:                              ;   Parent Loop BB28_3 Depth=1
                                        ; =>  This Inner Loop Header: Depth=2
	s_clause 0x1
	s_load_b32 s36, s[18:19], 0x0
	s_load_b32 s37, s[18:19], 0x64
	s_add_i32 s35, s35, -1
	s_waitcnt lgkmcnt(0)
	v_cvt_f32_u32_e32 v8, s36
	s_sub_i32 s38, 0, s36
	s_add_u32 s18, s18, -4
	s_addc_u32 s19, s19, -1
	s_cmp_gt_u32 s35, 2
	v_rcp_iflag_f32_e32 v8, v8
	s_waitcnt_depctr 0xfff
	v_mul_f32_e32 v8, 0x4f7ffffe, v8
	s_delay_alu instid0(VALU_DEP_1) | instskip(NEXT) | instid1(VALU_DEP_1)
	v_cvt_u32_f32_e32 v8, v8
	v_mul_lo_u32 v9, s38, v8
	s_delay_alu instid0(VALU_DEP_1) | instskip(NEXT) | instid1(VALU_DEP_1)
	v_mul_hi_u32 v9, v8, v9
	v_dual_mov_b32 v10, v3 :: v_dual_add_nc_u32 v3, v8, v9
	s_delay_alu instid0(VALU_DEP_1) | instskip(NEXT) | instid1(VALU_DEP_1)
	v_mul_hi_u32 v3, v10, v3
	v_mul_lo_u32 v8, v3, s36
	v_add_nc_u32_e32 v9, 1, v3
	s_delay_alu instid0(VALU_DEP_2) | instskip(NEXT) | instid1(VALU_DEP_1)
	v_sub_nc_u32_e32 v8, v10, v8
	v_subrev_nc_u32_e32 v11, s36, v8
	v_cmp_le_u32_e32 vcc_lo, s36, v8
	s_delay_alu instid0(VALU_DEP_2) | instskip(NEXT) | instid1(VALU_DEP_1)
	v_dual_cndmask_b32 v3, v3, v9 :: v_dual_cndmask_b32 v8, v8, v11
	v_add_nc_u32_e32 v9, 1, v3
	s_delay_alu instid0(VALU_DEP_2) | instskip(NEXT) | instid1(VALU_DEP_2)
	v_cmp_le_u32_e32 vcc_lo, s36, v8
	v_cndmask_b32_e32 v3, v3, v9, vcc_lo
	s_delay_alu instid0(VALU_DEP_1) | instskip(NEXT) | instid1(VALU_DEP_1)
	v_mul_lo_u32 v8, v3, s36
	v_sub_nc_u32_e32 v10, v10, v8
	s_delay_alu instid0(VALU_DEP_1) | instskip(NEXT) | instid1(VALU_DEP_1)
	v_mad_u64_u32 v[8:9], null, s37, v10, v[0:1]
	v_mov_b32_e32 v0, v8
	s_cbranch_scc1 .LBB28_16
.LBB28_17:                              ;   in Loop: Header=BB28_3 Depth=1
	s_set_inst_prefetch_distance 0x2
	s_delay_alu instid0(VALU_DEP_1)
	v_mad_u64_u32 v[8:9], null, s22, v3, v[0:1]
	v_mov_b32_e32 v9, v4
.LBB28_18:                              ;   in Loop: Header=BB28_3 Depth=1
	s_or_b32 exec_lo, exec_lo, s3
	v_mov_b32_e32 v12, 0
	v_mov_b32_e32 v13, 0
	v_cmp_lt_i32_e64 s3, 3, v31
	s_delay_alu instid0(VALU_DEP_1)
	s_and_saveexec_b32 s35, s3
	s_cbranch_execz .LBB28_23
; %bb.19:                               ;   in Loop: Header=BB28_3 Depth=1
	v_or_b32_e32 v3, 3, v29
	v_mov_b32_e32 v0, 0
	s_and_not1_b32 vcc_lo, exec_lo, s23
	s_cbranch_vccnz .LBB28_22
; %bb.20:                               ;   in Loop: Header=BB28_3 Depth=1
	v_mov_b32_e32 v0, 0
	s_mov_b64 s[18:19], s[16:17]
	s_mov_b32 s36, s26
	s_set_inst_prefetch_distance 0x1
	.p2align	6
.LBB28_21:                              ;   Parent Loop BB28_3 Depth=1
                                        ; =>  This Inner Loop Header: Depth=2
	s_clause 0x1
	s_load_b32 s37, s[18:19], 0x0
	s_load_b32 s38, s[18:19], 0x64
	s_add_i32 s36, s36, -1
	s_waitcnt lgkmcnt(0)
	v_cvt_f32_u32_e32 v10, s37
	s_sub_i32 s39, 0, s37
	s_add_u32 s18, s18, -4
	s_addc_u32 s19, s19, -1
	s_cmp_gt_u32 s36, 2
	v_rcp_iflag_f32_e32 v10, v10
	s_waitcnt_depctr 0xfff
	v_mul_f32_e32 v10, 0x4f7ffffe, v10
	s_delay_alu instid0(VALU_DEP_1) | instskip(NEXT) | instid1(VALU_DEP_1)
	v_cvt_u32_f32_e32 v10, v10
	v_mul_lo_u32 v11, s39, v10
	s_delay_alu instid0(VALU_DEP_1) | instskip(NEXT) | instid1(VALU_DEP_1)
	v_mul_hi_u32 v11, v10, v11
	v_dual_mov_b32 v12, v3 :: v_dual_add_nc_u32 v3, v10, v11
	s_delay_alu instid0(VALU_DEP_1) | instskip(NEXT) | instid1(VALU_DEP_1)
	v_mul_hi_u32 v3, v12, v3
	v_mul_lo_u32 v10, v3, s37
	v_add_nc_u32_e32 v11, 1, v3
	s_delay_alu instid0(VALU_DEP_2) | instskip(NEXT) | instid1(VALU_DEP_1)
	v_sub_nc_u32_e32 v10, v12, v10
	v_subrev_nc_u32_e32 v13, s37, v10
	v_cmp_le_u32_e32 vcc_lo, s37, v10
	s_delay_alu instid0(VALU_DEP_2) | instskip(NEXT) | instid1(VALU_DEP_1)
	v_dual_cndmask_b32 v3, v3, v11 :: v_dual_cndmask_b32 v10, v10, v13
	v_add_nc_u32_e32 v11, 1, v3
	s_delay_alu instid0(VALU_DEP_2) | instskip(NEXT) | instid1(VALU_DEP_2)
	v_cmp_le_u32_e32 vcc_lo, s37, v10
	v_cndmask_b32_e32 v3, v3, v11, vcc_lo
	s_delay_alu instid0(VALU_DEP_1) | instskip(NEXT) | instid1(VALU_DEP_1)
	v_mul_lo_u32 v10, v3, s37
	v_sub_nc_u32_e32 v12, v12, v10
	s_delay_alu instid0(VALU_DEP_1) | instskip(NEXT) | instid1(VALU_DEP_1)
	v_mad_u64_u32 v[10:11], null, s38, v12, v[0:1]
	v_mov_b32_e32 v0, v10
	s_cbranch_scc1 .LBB28_21
.LBB28_22:                              ;   in Loop: Header=BB28_3 Depth=1
	s_set_inst_prefetch_distance 0x2
	s_delay_alu instid0(VALU_DEP_1)
	v_mad_u64_u32 v[12:13], null, s22, v3, v[0:1]
	v_mov_b32_e32 v13, v4
.LBB28_23:                              ;   in Loop: Header=BB28_3 Depth=1
	s_or_b32 exec_lo, exec_lo, s35
	v_mul_lo_u32 v0, v29, s21
	v_mov_b32_e32 v19, s5
	v_dual_mov_b32 v17, s7 :: v_dual_mov_b32 v16, s6
	v_mov_b32_e32 v18, s4
	s_delay_alu instid0(VALU_DEP_4) | instskip(NEXT) | instid1(VALU_DEP_1)
	v_add_nc_u32_e32 v32, s21, v0
	v_add_nc_u32_e32 v33, s21, v32
	s_delay_alu instid0(VALU_DEP_1) | instskip(NEXT) | instid1(VALU_DEP_1)
	v_add_nc_u32_e32 v3, s21, v33
	v_cndmask_b32_e64 v3, 0, v3, s3
	s_delay_alu instid0(VALU_DEP_1) | instskip(NEXT) | instid1(VALU_DEP_1)
	v_lshlrev_b64 v[10:11], 2, v[3:4]
	v_add_co_u32 v10, vcc_lo, s8, v10
	s_delay_alu instid0(VALU_DEP_2)
	v_add_co_ci_u32_e32 v11, vcc_lo, s9, v11, vcc_lo
	s_and_not1_b32 vcc_lo, exec_lo, s24
	global_load_b32 v3, v[10:11], off
	s_cbranch_vccnz .LBB28_25
; %bb.24:                               ;   in Loop: Header=BB28_3 Depth=1
	v_dual_mov_b32 v11, s7 :: v_dual_mov_b32 v10, s6
	v_dual_mov_b32 v15, s5 :: v_dual_mov_b32 v14, s4
	flat_load_b64 v[10:11], v[10:11]
	flat_load_b64 v[18:19], v[14:15]
	s_waitcnt vmcnt(1) lgkmcnt(1)
	v_add_co_u32 v16, vcc_lo, v10, s10
	v_add_co_ci_u32_e32 v17, vcc_lo, s11, v11, vcc_lo
.LBB28_25:                              ;   in Loop: Header=BB28_3 Depth=1
	s_delay_alu instid0(VALU_DEP_1)
	v_alignbit_b32 v20, v17, v16, 2
	v_lshrrev_b32_e32 v14, 2, v17
	s_waitcnt vmcnt(0) lgkmcnt(0)
	v_add_nc_u32_e32 v35, 0xbb67ae85, v19
	v_add_nc_u32_e32 v36, 0x3c6ef372, v18
	;; [unrolled: 1-line block ×3, first 2 shown]
	v_add_co_u32 v15, vcc_lo, v20, 1
	s_delay_alu instid0(VALU_DEP_1) | instskip(SKIP_4) | instid1(VALU_DEP_4)
	v_cndmask_b32_e64 v10, 0, 1, vcc_lo
	v_add_co_ci_u32_e32 v17, vcc_lo, 0, v14, vcc_lo
	v_xor3_b32 v22, v30, v18, v14
	v_add_nc_u32_e32 v39, 0xed9eba14, v19
	v_add_nc_u32_e32 v40, 0x1fd5c5a3, v19
	v_cmp_eq_u32_e32 vcc_lo, 0, v17
	s_mov_b32 s3, exec_lo
	v_dual_cndmask_b32 v21, 0, v10 :: v_dual_add_nc_u32 v38, 0x32370b8f, v19
	v_mad_u64_u32 v[10:11], null, 0xd2511f53, v15, 0
	v_mad_u64_u32 v[14:15], null, 0xd2511f53, v20, 0
	s_delay_alu instid0(VALU_DEP_3) | instskip(NEXT) | instid1(VALU_DEP_3)
	v_add_nc_u32_e32 v24, v21, v1
	v_xor_b32_e32 v11, v11, v19
	s_delay_alu instid0(VALU_DEP_2) | instskip(SKIP_1) | instid1(VALU_DEP_1)
	v_cmp_eq_u32_e32 vcc_lo, 0, v24
	v_dual_cndmask_b32 v21, 0, v21 :: v_dual_add_nc_u32 v34, 0x9e3779b9, v18
	v_xor_b32_e32 v11, v21, v11
	v_mad_u64_u32 v[20:21], null, 0xd2511f53, v22, 0
	v_mad_u64_u32 v[22:23], null, 0xcd9e8d57, v24, 0
	s_delay_alu instid0(VALU_DEP_3) | instskip(SKIP_1) | instid1(VALU_DEP_4)
	v_mad_u64_u32 v[24:25], null, 0xcd9e8d57, v11, 0
	v_xor_b32_e32 v11, v15, v19
	v_xor3_b32 v26, v35, v21, v14
	s_delay_alu instid0(VALU_DEP_2) | instskip(SKIP_2) | instid1(VALU_DEP_4)
	v_mad_u64_u32 v[14:15], null, 0xcd9e8d57, v11, 0
	v_xor3_b32 v11, v23, v18, v17
	v_xor3_b32 v17, v34, v25, v22
	v_mad_u64_u32 v[21:22], null, 0xcd9e8d57, v26, 0
	s_delay_alu instid0(VALU_DEP_3) | instskip(NEXT) | instid1(VALU_DEP_3)
	v_mad_u64_u32 v[25:26], null, 0xd2511f53, v11, 0
	v_mad_u64_u32 v[27:28], null, 0xd2511f53, v17, 0
	v_xor3_b32 v11, v2, v15, v34
	s_delay_alu instid0(VALU_DEP_4) | instskip(SKIP_2) | instid1(VALU_DEP_4)
	v_xor3_b32 v22, v36, v22, v14
	v_add_nc_u32_e32 v17, 0xdaa66d2b, v18
	v_xor3_b32 v26, v35, v26, v10
	v_mad_u64_u32 v[14:15], null, 0xd2511f53, v11, 0
	v_xor3_b32 v28, v37, v28, v25
	v_mad_u64_u32 v[10:11], null, 0xd2511f53, v22, 0
	s_delay_alu instid0(VALU_DEP_4) | instskip(NEXT) | instid1(VALU_DEP_3)
	v_mad_u64_u32 v[22:23], null, 0xcd9e8d57, v26, 0
	v_mad_u64_u32 v[25:26], null, 0xcd9e8d57, v28, 0
	v_xor3_b32 v20, v37, v15, v20
	v_add_nc_u32_e32 v28, 0x78dde6e4, v18
	v_xor3_b32 v11, v38, v11, v14
	s_delay_alu instid0(VALU_DEP_3) | instskip(SKIP_2) | instid1(VALU_DEP_4)
	v_mad_u64_u32 v[14:15], null, 0xcd9e8d57, v20, 0
	v_xor3_b32 v20, v36, v23, v24
	v_xor3_b32 v24, v17, v26, v22
	v_mad_u64_u32 v[22:23], null, 0xcd9e8d57, v11, 0
	s_delay_alu instid0(VALU_DEP_3) | instskip(NEXT) | instid1(VALU_DEP_3)
	v_mad_u64_u32 v[34:35], null, 0xd2511f53, v20, 0
	v_mad_u64_u32 v[36:37], null, 0xd2511f53, v24, 0
	v_xor3_b32 v11, v17, v15, v21
	s_delay_alu instid0(VALU_DEP_4) | instskip(SKIP_2) | instid1(VALU_DEP_4)
	v_xor3_b32 v20, v28, v23, v14
	v_add_nc_u32_e32 v17, 0x1715609d, v18
	v_add_nc_u32_e32 v24, 0xa9066899, v19
	v_mad_u64_u32 v[14:15], null, 0xd2511f53, v11, 0
	v_xor3_b32 v11, v38, v35, v27
	v_xor3_b32 v23, v39, v37, v34
	v_mad_u64_u32 v[26:27], null, 0xd2511f53, v20, 0
	v_add_nc_u32_e32 v35, 0xb54cda56, v18
	s_delay_alu instid0(VALU_DEP_4) | instskip(NEXT) | instid1(VALU_DEP_4)
	v_mad_u64_u32 v[20:21], null, 0xcd9e8d57, v11, 0
	v_mad_u64_u32 v[37:38], null, 0xcd9e8d57, v23, 0
	v_xor3_b32 v15, v39, v15, v10
	v_xor3_b32 v23, v24, v27, v14
	v_add_nc_u32_e32 v34, 0x646e171e, v19
	v_xor3_b32 v25, v28, v21, v25
	s_delay_alu instid0(VALU_DEP_4) | instskip(SKIP_2) | instid1(VALU_DEP_4)
	v_mad_u64_u32 v[10:11], null, 0xcd9e8d57, v15, 0
	v_xor3_b32 v27, v17, v38, v20
	v_mad_u64_u32 v[14:15], null, 0xcd9e8d57, v23, 0
	v_mad_u64_u32 v[20:21], null, 0xd2511f53, v25, 0
	s_delay_alu instid0(VALU_DEP_3) | instskip(SKIP_3) | instid1(VALU_DEP_3)
	v_mad_u64_u32 v[38:39], null, 0xd2511f53, v27, 0
	v_xor3_b32 v17, v17, v11, v22
	v_add_nc_u32_e32 v25, 0x5384540f, v18
	v_xor3_b32 v15, v35, v15, v10
	v_mad_u64_u32 v[10:11], null, 0xd2511f53, v17, 0
	v_xor3_b32 v17, v24, v21, v36
	v_xor3_b32 v22, v34, v39, v20
	s_delay_alu instid0(VALU_DEP_4) | instskip(NEXT) | instid1(VALU_DEP_3)
	v_mad_u64_u32 v[20:21], null, 0xd2511f53, v15, 0
	v_mad_u64_u32 v[27:28], null, 0xcd9e8d57, v17, 0
	s_delay_alu instid0(VALU_DEP_3) | instskip(SKIP_1) | instid1(VALU_DEP_4)
	v_mad_u64_u32 v[23:24], null, 0xcd9e8d57, v22, 0
	v_xor3_b32 v15, v34, v11, v26
	v_xor3_b32 v17, v40, v21, v10
	v_add_co_u32 v34, null, 0xf1bbcdc8, v18
	s_delay_alu instid0(VALU_DEP_3) | instskip(SKIP_4) | instid1(VALU_DEP_4)
	v_mad_u64_u32 v[10:11], null, 0xcd9e8d57, v15, 0
	v_xor3_b32 v15, v35, v28, v37
	v_xor3_b32 v24, v25, v24, v27
	v_mad_u64_u32 v[21:22], null, 0xcd9e8d57, v17, 0
	v_add_nc_u32_e32 v35, 0xdb3d7428, v19
	v_mad_u64_u32 v[36:37], null, 0xd2511f53, v15, 0
	s_delay_alu instid0(VALU_DEP_4) | instskip(SKIP_4) | instid1(VALU_DEP_4)
	v_mad_u64_u32 v[26:27], null, 0xd2511f53, v24, 0
	v_xor3_b32 v11, v25, v11, v14
	v_xor3_b32 v14, v34, v22, v10
	v_add_nc_u32_e32 v22, 0x8ff34781, v18
	v_xor3_b32 v15, v40, v37, v38
	v_mad_u64_u32 v[24:25], null, 0xd2511f53, v11, 0
	v_xor3_b32 v17, v35, v27, v36
	v_mad_u64_u32 v[10:11], null, 0xd2511f53, v14, 0
	s_delay_alu instid0(VALU_DEP_4) | instskip(NEXT) | instid1(VALU_DEP_3)
	v_mad_u64_u32 v[27:28], null, 0xcd9e8d57, v15, 0
	v_mad_u64_u32 v[14:15], null, 0xcd9e8d57, v17, 0
	v_add_nc_u32_e32 v36, 0x96a522ad, v19
	v_and_b32_e32 v19, 3, v16
                                        ; implicit-def: $vgpr17
	s_delay_alu instid0(VALU_DEP_2) | instskip(NEXT) | instid1(VALU_DEP_4)
	v_xor3_b32 v18, v11, v24, v36
	v_xor3_b32 v11, v15, v27, v22
	s_delay_alu instid0(VALU_DEP_3)
	v_cmpx_lt_i32_e32 1, v19
	s_xor_b32 s3, exec_lo, s3
	s_cbranch_execz .LBB28_31
; %bb.26:                               ;   in Loop: Header=BB28_3 Depth=1
	s_mov_b32 s18, exec_lo
                                        ; implicit-def: $vgpr17
	v_cmpx_lt_i32_e32 2, v19
	s_xor_b32 s18, exec_lo, s18
; %bb.27:                               ;   in Loop: Header=BB28_3 Depth=1
	v_xor3_b32 v15, v34, v28, v23
                                        ; implicit-def: $vgpr18
	s_delay_alu instid0(VALU_DEP_1) | instskip(NEXT) | instid1(VALU_DEP_1)
	v_mul_hi_u32 v15, 0xd2511f53, v15
	v_xor3_b32 v17, v15, v26, v36
; %bb.28:                               ;   in Loop: Header=BB28_3 Depth=1
	s_and_not1_saveexec_b32 s18, s18
; %bb.29:                               ;   in Loop: Header=BB28_3 Depth=1
	v_dual_mov_b32 v17, v14 :: v_dual_mov_b32 v14, v11
	v_mov_b32_e32 v11, v10
	v_mov_b32_e32 v10, v18
; %bb.30:                               ;   in Loop: Header=BB28_3 Depth=1
	s_or_b32 exec_lo, exec_lo, s18
                                        ; implicit-def: $vgpr20_vgpr21
                                        ; implicit-def: $vgpr19
                                        ; implicit-def: $vgpr18
                                        ; implicit-def: $vgpr35
                                        ; implicit-def: $vgpr24_vgpr25
                                        ; implicit-def: $vgpr21_vgpr22
                                        ; implicit-def: $vgpr22
.LBB28_31:                              ;   in Loop: Header=BB28_3 Depth=1
	s_and_not1_saveexec_b32 s3, s3
	s_cbranch_execz .LBB28_35
; %bb.32:                               ;   in Loop: Header=BB28_3 Depth=1
	v_xor3_b32 v14, v35, v25, v20
	v_cmp_eq_u32_e32 vcc_lo, 1, v19
	s_delay_alu instid0(VALU_DEP_2) | instskip(SKIP_2) | instid1(VALU_DEP_3)
	v_mad_u64_u32 v[15:16], null, 0xcd9e8d57, v14, 0
	v_mov_b32_e32 v17, v10
	v_mov_b32_e32 v14, v18
	v_xor3_b32 v19, v16, v21, v22
	s_delay_alu instid0(VALU_DEP_4)
	v_mov_b32_e32 v16, v15
	s_and_saveexec_b32 s18, vcc_lo
; %bb.33:                               ;   in Loop: Header=BB28_3 Depth=1
	v_dual_mov_b32 v17, v11 :: v_dual_mov_b32 v14, v10
	v_dual_mov_b32 v16, v18 :: v_dual_mov_b32 v19, v15
; %bb.34:                               ;   in Loop: Header=BB28_3 Depth=1
	s_or_b32 exec_lo, exec_lo, s18
	s_delay_alu instid0(VALU_DEP_1)
	v_dual_mov_b32 v10, v19 :: v_dual_mov_b32 v11, v16
.LBB28_35:                              ;   in Loop: Header=BB28_3 Depth=1
	s_or_b32 exec_lo, exec_lo, s3
	v_min_i32_e32 v15, 4, v31
	s_mov_b32 s18, 0
	s_mov_b32 s38, 0
	s_mov_b32 s3, 0
	s_mov_b32 s37, exec_lo
                                        ; implicit-def: $sgpr19
                                        ; implicit-def: $sgpr35
                                        ; implicit-def: $sgpr36
	v_cmpx_lt_i32_e32 2, v15
	s_xor_b32 s37, exec_lo, s37
	s_cbranch_execz .LBB28_47
; %bb.36:                               ;   in Loop: Header=BB28_3 Depth=1
	s_mov_b32 s36, -1
	s_mov_b32 s39, 0
	s_mov_b32 s35, exec_lo
                                        ; implicit-def: $sgpr19
                                        ; implicit-def: $sgpr3
	v_cmpx_lt_i32_e32 3, v15
	s_cbranch_execz .LBB28_42
; %bb.37:                               ;   in Loop: Header=BB28_3 Depth=1
	s_mov_b32 s40, 0
	s_mov_b32 s39, -1
	s_mov_b32 s36, exec_lo
                                        ; implicit-def: $sgpr19
                                        ; implicit-def: $sgpr3
	v_cmpx_eq_u32_e32 4, v15
	s_cbranch_execz .LBB28_41
; %bb.38:                               ;   in Loop: Header=BB28_3 Depth=1
	v_cmp_le_f32_e32 vcc_lo, 0, v3
	v_cmp_ge_f32_e64 s3, 1.0, v3
	s_mov_b32 s19, 0
	s_delay_alu instid0(VALU_DEP_1) | instskip(NEXT) | instid1(SALU_CYCLE_1)
	s_and_b32 s39, vcc_lo, s3
	s_and_saveexec_b32 s3, s39
	s_cbranch_execz .LBB28_40
; %bb.39:                               ;   in Loop: Header=BB28_3 Depth=1
	v_cvt_f32_u32_e32 v16, v17
	v_add_co_u32 v12, vcc_lo, s12, v12
	v_add_co_ci_u32_e32 v13, vcc_lo, s13, v13, vcc_lo
	s_delay_alu instid0(VALU_DEP_3) | instskip(SKIP_1) | instid1(VALU_DEP_1)
	v_fmaak_f32 v16, 0x2f800000, v16, 0x2f800000
	s_mov_b32 s40, exec_lo
	v_cmp_le_f32_e32 vcc_lo, v16, v3
	v_cndmask_b32_e64 v3, 0, 1, vcc_lo
	global_store_b8 v[12:13], v3, off
.LBB28_40:                              ;   in Loop: Header=BB28_3 Depth=1
	s_or_b32 exec_lo, exec_lo, s3
	s_mov_b32 s3, -1
	s_xor_b32 s39, exec_lo, -1
	s_and_b32 s40, s40, exec_lo
.LBB28_41:                              ;   in Loop: Header=BB28_3 Depth=1
	s_or_b32 exec_lo, exec_lo, s36
	s_delay_alu instid0(SALU_CYCLE_1)
	s_and_b32 s39, s39, exec_lo
	s_or_not1_b32 s36, s40, exec_lo
.LBB28_42:                              ;   in Loop: Header=BB28_3 Depth=1
	s_or_b32 exec_lo, exec_lo, s35
	s_mov_b32 s40, s19
	s_and_saveexec_b32 s35, s36
	s_cbranch_execz .LBB28_46
; %bb.43:                               ;   in Loop: Header=BB28_3 Depth=1
	v_cndmask_b32_e64 v3, 0, v33, s2
	s_mov_b32 s36, 0
	s_delay_alu instid0(VALU_DEP_1) | instskip(NEXT) | instid1(VALU_DEP_1)
	v_lshlrev_b64 v[12:13], 2, v[3:4]
	v_add_co_u32 v12, vcc_lo, s8, v12
	s_delay_alu instid0(VALU_DEP_2) | instskip(SKIP_4) | instid1(VALU_DEP_1)
	v_add_co_ci_u32_e32 v13, vcc_lo, s9, v13, vcc_lo
	global_load_b32 v3, v[12:13], off
	s_waitcnt vmcnt(0)
	v_cmp_le_f32_e32 vcc_lo, 0, v3
	v_cmp_ge_f32_e64 s2, 1.0, v3
	s_and_b32 s2, vcc_lo, s2
	s_delay_alu instid0(SALU_CYCLE_1) | instskip(NEXT) | instid1(SALU_CYCLE_1)
	s_and_saveexec_b32 s38, s2
	s_xor_b32 s2, exec_lo, s38
	s_cbranch_execz .LBB28_45
; %bb.44:                               ;   in Loop: Header=BB28_3 Depth=1
	v_cvt_f32_u32_e32 v12, v14
	v_add_co_u32 v8, vcc_lo, s12, v8
	v_add_co_ci_u32_e32 v9, vcc_lo, s13, v9, vcc_lo
	s_delay_alu instid0(VALU_DEP_3) | instskip(SKIP_1) | instid1(VALU_DEP_1)
	v_fmaak_f32 v12, 0x2f800000, v12, 0x2f800000
	s_mov_b32 s36, exec_lo
	v_cmp_le_f32_e32 vcc_lo, v12, v3
	v_cndmask_b32_e64 v3, 0, 1, vcc_lo
	global_store_b8 v[8:9], v3, off
.LBB28_45:                              ;   in Loop: Header=BB28_3 Depth=1
	s_or_b32 exec_lo, exec_lo, s2
	s_delay_alu instid0(SALU_CYCLE_1)
	s_and_not1_b32 s40, s19, exec_lo
	s_or_b32 s19, s19, exec_lo
	s_and_not1_b32 s3, s3, exec_lo
	s_and_b32 s38, s36, exec_lo
.LBB28_46:                              ;   in Loop: Header=BB28_3 Depth=1
	s_or_b32 exec_lo, exec_lo, s35
	s_delay_alu instid0(SALU_CYCLE_1)
	s_and_b32 s36, s40, exec_lo
	s_and_b32 s35, s19, exec_lo
	;; [unrolled: 1-line block ×5, first 2 shown]
.LBB28_47:                              ;   in Loop: Header=BB28_3 Depth=1
	s_and_not1_saveexec_b32 s2, s37
; %bb.48:                               ;   in Loop: Header=BB28_3 Depth=1
	v_cmp_lt_i32_e32 vcc_lo, 1, v15
	s_and_not1_b32 s37, s38, exec_lo
	s_mov_b32 s18, exec_lo
	s_and_not1_b32 s36, s36, exec_lo
	s_and_not1_b32 s35, s35, exec_lo
	s_and_b32 s38, vcc_lo, exec_lo
	s_and_not1_b32 s19, s19, exec_lo
	s_or_b32 s38, s37, s38
; %bb.49:                               ;   in Loop: Header=BB28_3 Depth=1
	s_or_b32 exec_lo, exec_lo, s2
	s_mov_b32 s37, 0
	s_mov_b32 s2, s36
	s_and_saveexec_b32 s39, s38
	s_cbranch_execnz .LBB28_52
; %bb.50:                               ;   in Loop: Header=BB28_3 Depth=1
	s_or_b32 exec_lo, exec_lo, s39
	s_and_saveexec_b32 s1, s18
	s_cbranch_execnz .LBB28_55
.LBB28_51:                              ;   in Loop: Header=BB28_3 Depth=1
	s_or_b32 exec_lo, exec_lo, s1
	s_and_saveexec_b32 s1, s37
	s_cbranch_execnz .LBB28_56
	s_branch .LBB28_59
.LBB28_52:                              ;   in Loop: Header=BB28_3 Depth=1
	v_cndmask_b32_e64 v3, 0, v32, s1
	s_delay_alu instid0(VALU_DEP_1) | instskip(NEXT) | instid1(VALU_DEP_1)
	v_lshlrev_b64 v[8:9], 2, v[3:4]
	v_add_co_u32 v8, vcc_lo, s8, v8
	s_delay_alu instid0(VALU_DEP_2) | instskip(SKIP_4) | instid1(VALU_DEP_1)
	v_add_co_ci_u32_e32 v9, vcc_lo, s9, v9, vcc_lo
	global_load_b32 v3, v[8:9], off
	s_waitcnt vmcnt(0)
	v_cmp_le_f32_e32 vcc_lo, 0, v3
	v_cmp_ge_f32_e64 s1, 1.0, v3
	s_and_b32 s1, vcc_lo, s1
	s_delay_alu instid0(SALU_CYCLE_1) | instskip(NEXT) | instid1(SALU_CYCLE_1)
	s_and_saveexec_b32 s2, s1
	s_xor_b32 s1, exec_lo, s2
	s_cbranch_execz .LBB28_54
; %bb.53:                               ;   in Loop: Header=BB28_3 Depth=1
	v_cvt_f32_u32_e32 v8, v11
	v_add_co_u32 v6, vcc_lo, s12, v6
	v_add_co_ci_u32_e32 v7, vcc_lo, s13, v7, vcc_lo
	s_delay_alu instid0(VALU_DEP_3) | instskip(SKIP_1) | instid1(VALU_DEP_1)
	v_fmaak_f32 v8, 0x2f800000, v8, 0x2f800000
	s_mov_b32 s37, exec_lo
	v_cmp_le_f32_e32 vcc_lo, v8, v3
	v_cndmask_b32_e64 v3, 0, 1, vcc_lo
	global_store_b8 v[6:7], v3, off
.LBB28_54:                              ;   in Loop: Header=BB28_3 Depth=1
	s_or_b32 exec_lo, exec_lo, s1
	s_delay_alu instid0(SALU_CYCLE_1)
	s_and_not1_b32 s2, s36, exec_lo
	s_or_b32 s36, s36, exec_lo
	s_and_not1_b32 s35, s35, exec_lo
	s_and_not1_b32 s19, s19, exec_lo
	s_and_b32 s37, s37, exec_lo
	s_and_not1_b32 s18, s18, exec_lo
	s_or_b32 exec_lo, exec_lo, s39
	s_and_saveexec_b32 s1, s18
	s_cbranch_execz .LBB28_51
.LBB28_55:                              ;   in Loop: Header=BB28_3 Depth=1
	v_cmp_eq_u32_e32 vcc_lo, 1, v15
	s_and_not1_b32 s18, s37, exec_lo
	s_and_not1_b32 s2, s2, exec_lo
	;; [unrolled: 1-line block ×4, first 2 shown]
	s_and_b32 s37, vcc_lo, exec_lo
	s_and_not1_b32 s19, s19, exec_lo
	s_or_b32 s3, s3, exec_lo
	s_or_b32 s37, s18, s37
	s_or_b32 exec_lo, exec_lo, s1
	s_and_saveexec_b32 s1, s37
	s_cbranch_execz .LBB28_59
.LBB28_56:                              ;   in Loop: Header=BB28_3 Depth=1
	v_cndmask_b32_e64 v3, 0, v0, s0
	s_mov_b32 s18, 0
	s_delay_alu instid0(VALU_DEP_1) | instskip(NEXT) | instid1(VALU_DEP_1)
	v_lshlrev_b64 v[6:7], 2, v[3:4]
	v_add_co_u32 v6, vcc_lo, s8, v6
	s_delay_alu instid0(VALU_DEP_2) | instskip(SKIP_4) | instid1(VALU_DEP_1)
	v_add_co_ci_u32_e32 v7, vcc_lo, s9, v7, vcc_lo
	global_load_b32 v0, v[6:7], off
	s_waitcnt vmcnt(0)
	v_cmp_le_f32_e32 vcc_lo, 0, v0
	v_cmp_ge_f32_e64 s0, 1.0, v0
	s_and_b32 s37, vcc_lo, s0
	s_delay_alu instid0(SALU_CYCLE_1)
	s_and_saveexec_b32 s0, s37
	s_cbranch_execz .LBB28_58
; %bb.57:                               ;   in Loop: Header=BB28_3 Depth=1
	v_cvt_f32_u32_e32 v3, v10
	s_mov_b32 s18, exec_lo
	s_delay_alu instid0(VALU_DEP_1) | instskip(NEXT) | instid1(VALU_DEP_1)
	v_fmaak_f32 v3, 0x2f800000, v3, 0x2f800000
	v_cmp_le_f32_e32 vcc_lo, v3, v0
	v_cndmask_b32_e64 v0, 0, 1, vcc_lo
	global_store_b8 v5, v0, s[12:13]
.LBB28_58:                              ;   in Loop: Header=BB28_3 Depth=1
	s_or_b32 exec_lo, exec_lo, s0
	s_delay_alu instid0(SALU_CYCLE_1)
	s_and_not1_b32 s0, s3, exec_lo
	s_and_b32 s3, s18, exec_lo
	s_or_b32 s2, s2, exec_lo
	s_and_not1_b32 s36, s36, exec_lo
	s_and_not1_b32 s35, s35, exec_lo
	;; [unrolled: 1-line block ×3, first 2 shown]
	s_or_b32 s3, s0, s3
.LBB28_59:                              ;   in Loop: Header=BB28_3 Depth=1
	s_or_b32 exec_lo, exec_lo, s1
	s_delay_alu instid0(SALU_CYCLE_1)
	s_and_not1_b32 s1, s34, exec_lo
	s_and_b32 s2, s2, exec_lo
	s_and_not1_b32 s18, s31, exec_lo
	s_and_b32 s31, s36, exec_lo
	s_or_b32 s34, s1, s2
	s_or_b32 s31, s18, s31
	s_and_not1_b32 s1, s33, exec_lo
	s_and_b32 s2, s35, exec_lo
	s_and_not1_b32 s18, s30, exec_lo
	s_and_b32 s19, s19, exec_lo
	s_mov_b32 s0, -1
	s_or_b32 s33, s1, s2
	s_or_b32 s30, s18, s19
	s_and_saveexec_b32 s1, s3
	s_cbranch_execz .LBB28_2
; %bb.60:                               ;   in Loop: Header=BB28_3 Depth=1
	v_add_nc_u32_e32 v29, s25, v29
	s_and_not1_b32 s34, s34, exec_lo
	s_and_not1_b32 s31, s31, exec_lo
	;; [unrolled: 1-line block ×4, first 2 shown]
	v_cmp_le_u32_e32 vcc_lo, s20, v29
	s_or_not1_b32 s0, vcc_lo, exec_lo
	s_branch .LBB28_2
.LBB28_61:
	s_or_b32 exec_lo, exec_lo, s15
	s_xor_b32 s3, s28, -1
	s_xor_b32 s4, s29, -1
	;; [unrolled: 1-line block ×3, first 2 shown]
	s_mov_b32 s1, 0
	s_and_saveexec_b32 s2, s0
	s_delay_alu instid0(SALU_CYCLE_1)
	s_xor_b32 s0, exec_lo, s2
	s_cbranch_execz .LBB28_70
; %bb.62:
	s_mov_b32 s2, 0
	s_and_saveexec_b32 s1, s4
	s_delay_alu instid0(SALU_CYCLE_1)
	s_xor_b32 s1, exec_lo, s1
	s_cbranch_execz .LBB28_68
; %bb.63:
	s_and_saveexec_b32 s4, s3
	s_delay_alu instid0(SALU_CYCLE_1)
	s_xor_b32 s3, exec_lo, s4
	s_cbranch_execz .LBB28_66
; %bb.64:
	s_and_saveexec_b32 s4, s14
	s_delay_alu instid0(SALU_CYCLE_1)
	s_xor_b32 s4, exec_lo, s4
	s_cbranch_execnz .LBB28_84
.LBB28_65:
	s_or_b32 exec_lo, exec_lo, s4
	s_delay_alu instid0(SALU_CYCLE_1)
	s_and_b32 s2, s2, exec_lo
.LBB28_66:
	s_and_not1_saveexec_b32 s3, s3
	s_cbranch_execnz .LBB28_80
.LBB28_67:
	s_or_b32 exec_lo, exec_lo, s3
	s_delay_alu instid0(SALU_CYCLE_1)
	s_and_b32 s2, s2, exec_lo
.LBB28_68:
	s_and_not1_saveexec_b32 s1, s1
	s_cbranch_execnz .LBB28_76
.LBB28_69:
	s_or_b32 exec_lo, exec_lo, s1
	s_delay_alu instid0(SALU_CYCLE_1)
	s_and_b32 s1, s2, exec_lo
.LBB28_70:
	s_and_not1_saveexec_b32 s0, s0
	s_cbranch_execnz .LBB28_74
; %bb.71:
	s_or_b32 exec_lo, exec_lo, s0
	s_delay_alu instid0(SALU_CYCLE_1)
	s_and_b32 exec_lo, exec_lo, s1
.LBB28_72:
	; divergent unreachable
.LBB28_73:
	s_nop 0
	s_sendmsg sendmsg(MSG_DEALLOC_VGPRS)
	s_endpgm
.LBB28_74:
	s_cbranch_execnz .LBB28_78
; %bb.75:
	s_or_b32 s1, s1, exec_lo
	s_or_b32 exec_lo, exec_lo, s0
	s_delay_alu instid0(SALU_CYCLE_1)
	s_and_b32 exec_lo, exec_lo, s1
	s_cbranch_execnz .LBB28_72
	s_branch .LBB28_73
.LBB28_76:
	s_cbranch_execnz .LBB28_82
; %bb.77:
	s_or_b32 s2, s2, exec_lo
	s_branch .LBB28_69
.LBB28_78:
	s_trap 2
	s_sendmsg_rtn_b32 s0, sendmsg(MSG_RTN_GET_DOORBELL)
	s_mov_b32 ttmp2, m0
	s_waitcnt lgkmcnt(0)
	s_and_b32 s0, s0, 0x3ff
	s_delay_alu instid0(SALU_CYCLE_1) | instskip(NEXT) | instid1(SALU_CYCLE_1)
	s_bitset1_b32 s0, 10
	s_mov_b32 m0, s0
	s_sendmsg sendmsg(MSG_INTERRUPT)
	s_mov_b32 m0, ttmp2
.LBB28_79:                              ; =>This Inner Loop Header: Depth=1
	s_sethalt 5
	s_branch .LBB28_79
.LBB28_80:
	s_cbranch_execnz .LBB28_86
; %bb.81:
	s_or_b32 s2, s2, exec_lo
	s_branch .LBB28_67
.LBB28_82:
	s_trap 2
	s_sendmsg_rtn_b32 s0, sendmsg(MSG_RTN_GET_DOORBELL)
	s_mov_b32 ttmp2, m0
	s_waitcnt lgkmcnt(0)
	s_and_b32 s0, s0, 0x3ff
	s_delay_alu instid0(SALU_CYCLE_1) | instskip(NEXT) | instid1(SALU_CYCLE_1)
	s_bitset1_b32 s0, 10
	s_mov_b32 m0, s0
	s_sendmsg sendmsg(MSG_INTERRUPT)
	s_mov_b32 m0, ttmp2
.LBB28_83:                              ; =>This Inner Loop Header: Depth=1
	s_sethalt 5
	s_branch .LBB28_83
.LBB28_84:
	s_cbranch_execnz .LBB28_88
; %bb.85:
	s_mov_b32 s2, exec_lo
	s_branch .LBB28_65
.LBB28_86:
	s_trap 2
	s_sendmsg_rtn_b32 s0, sendmsg(MSG_RTN_GET_DOORBELL)
	s_mov_b32 ttmp2, m0
	s_waitcnt lgkmcnt(0)
	s_and_b32 s0, s0, 0x3ff
	s_delay_alu instid0(SALU_CYCLE_1) | instskip(NEXT) | instid1(SALU_CYCLE_1)
	s_bitset1_b32 s0, 10
	s_mov_b32 m0, s0
	s_sendmsg sendmsg(MSG_INTERRUPT)
	s_mov_b32 m0, ttmp2
.LBB28_87:                              ; =>This Inner Loop Header: Depth=1
	s_sethalt 5
	s_branch .LBB28_87
.LBB28_88:
	s_trap 2
	s_sendmsg_rtn_b32 s0, sendmsg(MSG_RTN_GET_DOORBELL)
	s_mov_b32 ttmp2, m0
	s_waitcnt lgkmcnt(0)
	s_and_b32 s0, s0, 0x3ff
	s_delay_alu instid0(SALU_CYCLE_1) | instskip(NEXT) | instid1(SALU_CYCLE_1)
	s_bitset1_b32 s0, 10
	s_mov_b32 m0, s0
	s_sendmsg sendmsg(MSG_INTERRUPT)
	s_mov_b32 m0, ttmp2
.LBB28_89:                              ; =>This Inner Loop Header: Depth=1
	s_sethalt 5
	s_branch .LBB28_89
	.section	.rodata,"a",@progbits
	.p2align	6, 0x0
	.amdhsa_kernel _ZN2at4cuda12_GLOBAL__N_121kernelPointwiseApply2IZNS_6native9templates4cuda28bernoulli_tensor_cuda_kernelIafEEvRKNS_10TensorBaseES9_NS_15PhiloxCudaStateEEUliRaSB_SB_SB_RKfSD_SD_SD_E_aSC_jLin1ELi1ELi4ELi512ELi2EEEvNS0_6detail10TensorInfoIT0_T2_EENSG_IT1_SI_EESI_T_
		.amdhsa_group_segment_fixed_size 0
		.amdhsa_private_segment_fixed_size 0
		.amdhsa_kernarg_size 728
		.amdhsa_user_sgpr_count 15
		.amdhsa_user_sgpr_dispatch_ptr 0
		.amdhsa_user_sgpr_queue_ptr 0
		.amdhsa_user_sgpr_kernarg_segment_ptr 1
		.amdhsa_user_sgpr_dispatch_id 0
		.amdhsa_user_sgpr_private_segment_size 0
		.amdhsa_wavefront_size32 1
		.amdhsa_uses_dynamic_stack 0
		.amdhsa_enable_private_segment 0
		.amdhsa_system_sgpr_workgroup_id_x 1
		.amdhsa_system_sgpr_workgroup_id_y 0
		.amdhsa_system_sgpr_workgroup_id_z 0
		.amdhsa_system_sgpr_workgroup_info 0
		.amdhsa_system_vgpr_workitem_id 0
		.amdhsa_next_free_vgpr 41
		.amdhsa_next_free_sgpr 41
		.amdhsa_reserve_vcc 1
		.amdhsa_float_round_mode_32 0
		.amdhsa_float_round_mode_16_64 0
		.amdhsa_float_denorm_mode_32 3
		.amdhsa_float_denorm_mode_16_64 3
		.amdhsa_dx10_clamp 1
		.amdhsa_ieee_mode 1
		.amdhsa_fp16_overflow 0
		.amdhsa_workgroup_processor_mode 1
		.amdhsa_memory_ordered 1
		.amdhsa_forward_progress 0
		.amdhsa_shared_vgpr_count 0
		.amdhsa_exception_fp_ieee_invalid_op 0
		.amdhsa_exception_fp_denorm_src 0
		.amdhsa_exception_fp_ieee_div_zero 0
		.amdhsa_exception_fp_ieee_overflow 0
		.amdhsa_exception_fp_ieee_underflow 0
		.amdhsa_exception_fp_ieee_inexact 0
		.amdhsa_exception_int_div_zero 0
	.end_amdhsa_kernel
	.section	.text._ZN2at4cuda12_GLOBAL__N_121kernelPointwiseApply2IZNS_6native9templates4cuda28bernoulli_tensor_cuda_kernelIafEEvRKNS_10TensorBaseES9_NS_15PhiloxCudaStateEEUliRaSB_SB_SB_RKfSD_SD_SD_E_aSC_jLin1ELi1ELi4ELi512ELi2EEEvNS0_6detail10TensorInfoIT0_T2_EENSG_IT1_SI_EESI_T_,"axG",@progbits,_ZN2at4cuda12_GLOBAL__N_121kernelPointwiseApply2IZNS_6native9templates4cuda28bernoulli_tensor_cuda_kernelIafEEvRKNS_10TensorBaseES9_NS_15PhiloxCudaStateEEUliRaSB_SB_SB_RKfSD_SD_SD_E_aSC_jLin1ELi1ELi4ELi512ELi2EEEvNS0_6detail10TensorInfoIT0_T2_EENSG_IT1_SI_EESI_T_,comdat
.Lfunc_end28:
	.size	_ZN2at4cuda12_GLOBAL__N_121kernelPointwiseApply2IZNS_6native9templates4cuda28bernoulli_tensor_cuda_kernelIafEEvRKNS_10TensorBaseES9_NS_15PhiloxCudaStateEEUliRaSB_SB_SB_RKfSD_SD_SD_E_aSC_jLin1ELi1ELi4ELi512ELi2EEEvNS0_6detail10TensorInfoIT0_T2_EENSG_IT1_SI_EESI_T_, .Lfunc_end28-_ZN2at4cuda12_GLOBAL__N_121kernelPointwiseApply2IZNS_6native9templates4cuda28bernoulli_tensor_cuda_kernelIafEEvRKNS_10TensorBaseES9_NS_15PhiloxCudaStateEEUliRaSB_SB_SB_RKfSD_SD_SD_E_aSC_jLin1ELi1ELi4ELi512ELi2EEEvNS0_6detail10TensorInfoIT0_T2_EENSG_IT1_SI_EESI_T_
                                        ; -- End function
	.section	.AMDGPU.csdata,"",@progbits
; Kernel info:
; codeLenInByte = 4216
; NumSgprs: 43
; NumVgprs: 41
; ScratchSize: 0
; MemoryBound: 0
; FloatMode: 240
; IeeeMode: 1
; LDSByteSize: 0 bytes/workgroup (compile time only)
; SGPRBlocks: 5
; VGPRBlocks: 5
; NumSGPRsForWavesPerEU: 43
; NumVGPRsForWavesPerEU: 41
; Occupancy: 16
; WaveLimiterHint : 1
; COMPUTE_PGM_RSRC2:SCRATCH_EN: 0
; COMPUTE_PGM_RSRC2:USER_SGPR: 15
; COMPUTE_PGM_RSRC2:TRAP_HANDLER: 0
; COMPUTE_PGM_RSRC2:TGID_X_EN: 1
; COMPUTE_PGM_RSRC2:TGID_Y_EN: 0
; COMPUTE_PGM_RSRC2:TGID_Z_EN: 0
; COMPUTE_PGM_RSRC2:TIDIG_COMP_CNT: 0
	.section	.text._ZN2at4cuda12_GLOBAL__N_121kernelPointwiseApply2IZNS_6native9templates4cuda28bernoulli_tensor_cuda_kernelIafEEvRKNS_10TensorBaseES9_NS_15PhiloxCudaStateEEUliRaSB_SB_SB_RKfSD_SD_SD_E_aSC_jLin1ELi2ELi4ELi512ELi2EEEvNS0_6detail10TensorInfoIT0_T2_EENSG_IT1_SI_EESI_T_,"axG",@progbits,_ZN2at4cuda12_GLOBAL__N_121kernelPointwiseApply2IZNS_6native9templates4cuda28bernoulli_tensor_cuda_kernelIafEEvRKNS_10TensorBaseES9_NS_15PhiloxCudaStateEEUliRaSB_SB_SB_RKfSD_SD_SD_E_aSC_jLin1ELi2ELi4ELi512ELi2EEEvNS0_6detail10TensorInfoIT0_T2_EENSG_IT1_SI_EESI_T_,comdat
	.globl	_ZN2at4cuda12_GLOBAL__N_121kernelPointwiseApply2IZNS_6native9templates4cuda28bernoulli_tensor_cuda_kernelIafEEvRKNS_10TensorBaseES9_NS_15PhiloxCudaStateEEUliRaSB_SB_SB_RKfSD_SD_SD_E_aSC_jLin1ELi2ELi4ELi512ELi2EEEvNS0_6detail10TensorInfoIT0_T2_EENSG_IT1_SI_EESI_T_ ; -- Begin function _ZN2at4cuda12_GLOBAL__N_121kernelPointwiseApply2IZNS_6native9templates4cuda28bernoulli_tensor_cuda_kernelIafEEvRKNS_10TensorBaseES9_NS_15PhiloxCudaStateEEUliRaSB_SB_SB_RKfSD_SD_SD_E_aSC_jLin1ELi2ELi4ELi512ELi2EEEvNS0_6detail10TensorInfoIT0_T2_EENSG_IT1_SI_EESI_T_
	.p2align	8
	.type	_ZN2at4cuda12_GLOBAL__N_121kernelPointwiseApply2IZNS_6native9templates4cuda28bernoulli_tensor_cuda_kernelIafEEvRKNS_10TensorBaseES9_NS_15PhiloxCudaStateEEUliRaSB_SB_SB_RKfSD_SD_SD_E_aSC_jLin1ELi2ELi4ELi512ELi2EEEvNS0_6detail10TensorInfoIT0_T2_EENSG_IT1_SI_EESI_T_,@function
_ZN2at4cuda12_GLOBAL__N_121kernelPointwiseApply2IZNS_6native9templates4cuda28bernoulli_tensor_cuda_kernelIafEEvRKNS_10TensorBaseES9_NS_15PhiloxCudaStateEEUliRaSB_SB_SB_RKfSD_SD_SD_E_aSC_jLin1ELi2ELi4ELi512ELi2EEEvNS0_6detail10TensorInfoIT0_T2_EENSG_IT1_SI_EESI_T_: ; @_ZN2at4cuda12_GLOBAL__N_121kernelPointwiseApply2IZNS_6native9templates4cuda28bernoulli_tensor_cuda_kernelIafEEvRKNS_10TensorBaseES9_NS_15PhiloxCudaStateEEUliRaSB_SB_SB_RKfSD_SD_SD_E_aSC_jLin1ELi2ELi4ELi512ELi2EEEvNS0_6detail10TensorInfoIT0_T2_EENSG_IT1_SI_EESI_T_
; %bb.0:
	s_clause 0x1
	s_load_b32 s2, s[0:1], 0x1e4
	s_load_b32 s20, s[0:1], 0x1b0
	s_add_u32 s4, s0, 0x1d8
	s_addc_u32 s5, s1, 0
	s_waitcnt lgkmcnt(0)
	s_and_b32 s12, s2, 0xffff
	s_mov_b32 s2, exec_lo
	v_mad_u64_u32 v[1:2], null, s15, s12, v[0:1]
	s_delay_alu instid0(VALU_DEP_1) | instskip(NEXT) | instid1(VALU_DEP_1)
	v_lshlrev_b32_e32 v32, 2, v1
	v_cmpx_gt_u32_e64 s20, v32
	s_cbranch_execz .LBB29_81
; %bb.1:
	s_clause 0x3
	s_load_b32 s21, s[0:1], 0xe4
	s_load_b32 s18, s[0:1], 0xd0
	s_load_b64 s[2:3], s[0:1], 0x144
	s_load_b32 s6, s[0:1], 0x1d0
	v_mad_u64_u32 v[2:3], null, 0xcd9e8d57, v1, 0
	s_load_b32 s16, s[4:5], 0x0
	s_clause 0x2
	s_load_b32 s22, s[0:1], 0x6c
	s_load_b64 s[8:9], s[0:1], 0xd8
	s_load_b64 s[14:15], s[0:1], 0x0
	v_mov_b32_e32 v4, 0
                                        ; implicit-def: $sgpr26
                                        ; implicit-def: $sgpr28
                                        ; implicit-def: $sgpr27
                                        ; implicit-def: $sgpr29
                                        ; implicit-def: $sgpr31
                                        ; implicit-def: $sgpr30
                                        ; implicit-def: $sgpr33
	s_delay_alu instid0(VALU_DEP_2)
	v_mov_b32_e32 v33, v3
	s_waitcnt lgkmcnt(0)
	v_cvt_f32_u32_e32 v0, s21
	s_cmp_gt_i32 s18, 1
	s_cselect_b32 s23, -1, 0
	s_bitcmp1_b32 s6, 0
	s_delay_alu instid0(VALU_DEP_1)
	v_rcp_iflag_f32_e32 v0, v0
	s_cselect_b32 s24, -1, 0
	s_sub_i32 s13, 0, s21
	s_clause 0x1
	s_load_b64 s[10:11], s[0:1], 0x1c8
	s_load_b128 s[4:7], s[0:1], 0x1b8
	s_mul_i32 s16, s16, s12
	s_add_i32 s12, s18, -1
	s_lshl_b32 s25, s16, 2
	s_waitcnt_depctr 0xfff
	v_mul_f32_e32 v0, 0x4f7ffffe, v0
	s_delay_alu instid0(VALU_DEP_1) | instskip(NEXT) | instid1(VALU_DEP_1)
	v_cvt_u32_f32_e32 v0, v0
	v_mul_lo_u32 v5, s13, v0
	s_mov_b32 s13, 0
	s_delay_alu instid0(SALU_CYCLE_1) | instskip(SKIP_4) | instid1(VALU_DEP_1)
	s_lshl_b64 s[16:17], s[12:13], 2
	s_add_i32 s12, s18, 1
	s_add_u32 s0, s16, s0
	s_addc_u32 s1, s17, s1
	s_add_u32 s16, s0, 8
	v_mul_hi_u32 v5, v0, v5
	s_addc_u32 s17, s1, 0
                                        ; implicit-def: $sgpr1
	s_delay_alu instid0(VALU_DEP_1)
	v_add_nc_u32_e32 v34, v0, v5
	s_branch .LBB29_3
.LBB29_2:                               ;   in Loop: Header=BB29_3 Depth=1
	s_or_b32 exec_lo, exec_lo, s18
	s_delay_alu instid0(SALU_CYCLE_1) | instskip(NEXT) | instid1(SALU_CYCLE_1)
	s_and_b32 s0, exec_lo, s0
	s_or_b32 s13, s0, s13
	s_and_not1_b32 s0, s1, exec_lo
	s_and_b32 s1, s33, exec_lo
	s_and_not1_b32 s18, s27, exec_lo
	s_and_b32 s19, s30, exec_lo
	s_or_b32 s1, s0, s1
	s_or_b32 s27, s18, s19
	s_and_not1_b32 s0, s28, exec_lo
	s_and_b32 s18, s31, exec_lo
	s_and_not1_b32 s19, s26, exec_lo
	s_and_b32 s26, s29, exec_lo
	s_or_b32 s28, s0, s18
	s_or_b32 s26, s19, s26
	s_and_not1_b32 exec_lo, exec_lo, s13
	s_cbranch_execz .LBB29_69
.LBB29_3:                               ; =>This Loop Header: Depth=1
                                        ;     Child Loop BB29_6 Depth 2
                                        ;     Child Loop BB29_13 Depth 2
	;; [unrolled: 1-line block ×4, first 2 shown]
	v_sub_nc_u32_e32 v35, s20, v32
	v_mov_b32_e32 v5, 0
	s_delay_alu instid0(VALU_DEP_2) | instskip(NEXT) | instid1(VALU_DEP_1)
	v_cmp_lt_i32_e64 s0, 0, v35
	s_and_saveexec_b32 s34, s0
	s_cbranch_execz .LBB29_8
; %bb.4:                                ;   in Loop: Header=BB29_3 Depth=1
	v_dual_mov_b32 v0, 0 :: v_dual_mov_b32 v3, v32
	s_and_not1_b32 vcc_lo, exec_lo, s23
	s_cbranch_vccnz .LBB29_7
; %bb.5:                                ;   in Loop: Header=BB29_3 Depth=1
	v_dual_mov_b32 v0, 0 :: v_dual_mov_b32 v3, v32
	s_mov_b64 s[18:19], s[16:17]
	s_mov_b32 s35, s12
	s_set_inst_prefetch_distance 0x1
	.p2align	6
.LBB29_6:                               ;   Parent Loop BB29_3 Depth=1
                                        ; =>  This Inner Loop Header: Depth=2
	s_clause 0x1
	s_load_b32 s36, s[18:19], 0x0
	s_load_b32 s37, s[18:19], 0x64
	v_mov_b32_e32 v7, v3
	s_add_i32 s35, s35, -1
	s_waitcnt lgkmcnt(0)
	v_cvt_f32_u32_e32 v5, s36
	s_sub_i32 s38, 0, s36
	s_add_u32 s18, s18, -4
	s_addc_u32 s19, s19, -1
	s_cmp_gt_u32 s35, 2
	v_rcp_iflag_f32_e32 v5, v5
	s_waitcnt_depctr 0xfff
	v_mul_f32_e32 v5, 0x4f7ffffe, v5
	s_delay_alu instid0(VALU_DEP_1) | instskip(NEXT) | instid1(VALU_DEP_1)
	v_cvt_u32_f32_e32 v5, v5
	v_mul_lo_u32 v6, s38, v5
	s_delay_alu instid0(VALU_DEP_1) | instskip(NEXT) | instid1(VALU_DEP_1)
	v_mul_hi_u32 v6, v5, v6
	v_add_nc_u32_e32 v3, v5, v6
	s_delay_alu instid0(VALU_DEP_1) | instskip(NEXT) | instid1(VALU_DEP_1)
	v_mul_hi_u32 v3, v7, v3
	v_add_nc_u32_e32 v6, 1, v3
	v_mul_lo_u32 v5, v3, s36
	s_delay_alu instid0(VALU_DEP_1) | instskip(NEXT) | instid1(VALU_DEP_1)
	v_sub_nc_u32_e32 v5, v7, v5
	v_subrev_nc_u32_e32 v8, s36, v5
	v_cmp_le_u32_e32 vcc_lo, s36, v5
	v_cndmask_b32_e32 v3, v3, v6, vcc_lo
	s_delay_alu instid0(VALU_DEP_1) | instskip(NEXT) | instid1(VALU_DEP_1)
	v_dual_cndmask_b32 v5, v5, v8 :: v_dual_add_nc_u32 v6, 1, v3
	v_cmp_le_u32_e32 vcc_lo, s36, v5
	s_delay_alu instid0(VALU_DEP_2) | instskip(NEXT) | instid1(VALU_DEP_1)
	v_cndmask_b32_e32 v3, v3, v6, vcc_lo
	v_mul_lo_u32 v5, v3, s36
	s_delay_alu instid0(VALU_DEP_1) | instskip(NEXT) | instid1(VALU_DEP_1)
	v_sub_nc_u32_e32 v7, v7, v5
	v_mad_u64_u32 v[5:6], null, s37, v7, v[0:1]
	s_delay_alu instid0(VALU_DEP_1)
	v_mov_b32_e32 v0, v5
	s_cbranch_scc1 .LBB29_6
.LBB29_7:                               ;   in Loop: Header=BB29_3 Depth=1
	s_set_inst_prefetch_distance 0x2
	s_delay_alu instid0(VALU_DEP_1)
	v_mad_u64_u32 v[5:6], null, s22, v3, v[0:1]
.LBB29_8:                               ;   in Loop: Header=BB29_3 Depth=1
	s_or_b32 exec_lo, exec_lo, s34
	v_mov_b32_e32 v8, 0
	v_mov_b32_e32 v6, 0
	s_and_saveexec_b32 s18, s0
	s_cbranch_execz .LBB29_10
; %bb.9:                                ;   in Loop: Header=BB29_3 Depth=1
	v_mul_hi_u32 v0, v32, v34
	s_delay_alu instid0(VALU_DEP_1) | instskip(NEXT) | instid1(VALU_DEP_1)
	v_mul_lo_u32 v3, v0, s21
	v_sub_nc_u32_e32 v3, v32, v3
	s_delay_alu instid0(VALU_DEP_1) | instskip(SKIP_1) | instid1(VALU_DEP_2)
	v_subrev_nc_u32_e32 v7, s21, v3
	v_cmp_le_u32_e32 vcc_lo, s21, v3
	v_dual_cndmask_b32 v3, v3, v7 :: v_dual_add_nc_u32 v6, 1, v0
	s_delay_alu instid0(VALU_DEP_1) | instskip(NEXT) | instid1(VALU_DEP_2)
	v_cndmask_b32_e32 v0, v0, v6, vcc_lo
	v_cmp_le_u32_e32 vcc_lo, s21, v3
	s_delay_alu instid0(VALU_DEP_2) | instskip(NEXT) | instid1(VALU_DEP_1)
	v_add_nc_u32_e32 v6, 1, v0
	v_cndmask_b32_e32 v3, v0, v6, vcc_lo
	s_delay_alu instid0(VALU_DEP_1) | instskip(NEXT) | instid1(VALU_DEP_1)
	v_mul_lo_u32 v0, v3, s21
	v_sub_nc_u32_e32 v0, v32, v0
	s_delay_alu instid0(VALU_DEP_1) | instskip(NEXT) | instid1(VALU_DEP_1)
	v_mul_lo_u32 v0, v0, s3
	v_mad_u64_u32 v[6:7], null, v3, s2, v[0:1]
.LBB29_10:                              ;   in Loop: Header=BB29_3 Depth=1
	s_or_b32 exec_lo, exec_lo, s18
	v_or_b32_e32 v7, 1, v32
	v_cmp_lt_i32_e64 s0, 1, v35
	s_delay_alu instid0(VALU_DEP_1)
	s_and_saveexec_b32 s34, s0
	s_cbranch_execz .LBB29_15
; %bb.11:                               ;   in Loop: Header=BB29_3 Depth=1
	s_delay_alu instid0(VALU_DEP_2)
	v_dual_mov_b32 v0, 0 :: v_dual_mov_b32 v3, v7
	s_and_not1_b32 vcc_lo, exec_lo, s23
	s_cbranch_vccnz .LBB29_14
; %bb.12:                               ;   in Loop: Header=BB29_3 Depth=1
	v_dual_mov_b32 v0, 0 :: v_dual_mov_b32 v3, v7
	s_mov_b64 s[18:19], s[16:17]
	s_mov_b32 s35, s12
	s_set_inst_prefetch_distance 0x1
	.p2align	6
.LBB29_13:                              ;   Parent Loop BB29_3 Depth=1
                                        ; =>  This Inner Loop Header: Depth=2
	s_clause 0x1
	s_load_b32 s36, s[18:19], 0x0
	s_load_b32 s37, s[18:19], 0x64
	s_add_i32 s35, s35, -1
	s_waitcnt lgkmcnt(0)
	v_cvt_f32_u32_e32 v8, s36
	s_sub_i32 s38, 0, s36
	s_add_u32 s18, s18, -4
	s_addc_u32 s19, s19, -1
	s_cmp_gt_u32 s35, 2
	v_rcp_iflag_f32_e32 v8, v8
	s_waitcnt_depctr 0xfff
	v_mul_f32_e32 v8, 0x4f7ffffe, v8
	s_delay_alu instid0(VALU_DEP_1) | instskip(NEXT) | instid1(VALU_DEP_1)
	v_cvt_u32_f32_e32 v8, v8
	v_mul_lo_u32 v9, s38, v8
	s_delay_alu instid0(VALU_DEP_1) | instskip(NEXT) | instid1(VALU_DEP_1)
	v_mul_hi_u32 v9, v8, v9
	v_dual_mov_b32 v10, v3 :: v_dual_add_nc_u32 v3, v8, v9
	s_delay_alu instid0(VALU_DEP_1) | instskip(NEXT) | instid1(VALU_DEP_1)
	v_mul_hi_u32 v3, v10, v3
	v_mul_lo_u32 v8, v3, s36
	v_add_nc_u32_e32 v9, 1, v3
	s_delay_alu instid0(VALU_DEP_2) | instskip(NEXT) | instid1(VALU_DEP_1)
	v_sub_nc_u32_e32 v8, v10, v8
	v_subrev_nc_u32_e32 v11, s36, v8
	v_cmp_le_u32_e32 vcc_lo, s36, v8
	s_delay_alu instid0(VALU_DEP_2) | instskip(NEXT) | instid1(VALU_DEP_1)
	v_dual_cndmask_b32 v3, v3, v9 :: v_dual_cndmask_b32 v8, v8, v11
	v_add_nc_u32_e32 v9, 1, v3
	s_delay_alu instid0(VALU_DEP_2) | instskip(NEXT) | instid1(VALU_DEP_2)
	v_cmp_le_u32_e32 vcc_lo, s36, v8
	v_cndmask_b32_e32 v3, v3, v9, vcc_lo
	s_delay_alu instid0(VALU_DEP_1) | instskip(NEXT) | instid1(VALU_DEP_1)
	v_mul_lo_u32 v8, v3, s36
	v_sub_nc_u32_e32 v10, v10, v8
	s_delay_alu instid0(VALU_DEP_1) | instskip(NEXT) | instid1(VALU_DEP_1)
	v_mad_u64_u32 v[8:9], null, s37, v10, v[0:1]
	v_mov_b32_e32 v0, v8
	s_cbranch_scc1 .LBB29_13
.LBB29_14:                              ;   in Loop: Header=BB29_3 Depth=1
	s_set_inst_prefetch_distance 0x2
	s_delay_alu instid0(VALU_DEP_1)
	v_mad_u64_u32 v[8:9], null, s22, v3, v[0:1]
.LBB29_15:                              ;   in Loop: Header=BB29_3 Depth=1
	s_or_b32 exec_lo, exec_lo, s34
	v_mov_b32_e32 v3, 0
	s_and_saveexec_b32 s18, s0
	s_cbranch_execz .LBB29_17
; %bb.16:                               ;   in Loop: Header=BB29_3 Depth=1
	v_mul_hi_u32 v0, v7, v34
	s_delay_alu instid0(VALU_DEP_1) | instskip(SKIP_1) | instid1(VALU_DEP_2)
	v_mul_lo_u32 v3, v0, s21
	v_add_nc_u32_e32 v9, 1, v0
	v_sub_nc_u32_e32 v3, v7, v3
	s_delay_alu instid0(VALU_DEP_1) | instskip(SKIP_1) | instid1(VALU_DEP_2)
	v_subrev_nc_u32_e32 v10, s21, v3
	v_cmp_le_u32_e32 vcc_lo, s21, v3
	v_dual_cndmask_b32 v0, v0, v9 :: v_dual_cndmask_b32 v3, v3, v10
	s_delay_alu instid0(VALU_DEP_1) | instskip(NEXT) | instid1(VALU_DEP_2)
	v_add_nc_u32_e32 v9, 1, v0
	v_cmp_le_u32_e32 vcc_lo, s21, v3
	s_delay_alu instid0(VALU_DEP_2) | instskip(NEXT) | instid1(VALU_DEP_1)
	v_cndmask_b32_e32 v3, v0, v9, vcc_lo
	v_mul_lo_u32 v0, v3, s21
	s_delay_alu instid0(VALU_DEP_1) | instskip(NEXT) | instid1(VALU_DEP_1)
	v_sub_nc_u32_e32 v0, v7, v0
	v_mul_lo_u32 v0, v0, s3
	s_delay_alu instid0(VALU_DEP_1) | instskip(NEXT) | instid1(VALU_DEP_1)
	v_mad_u64_u32 v[9:10], null, v3, s2, v[0:1]
	v_mov_b32_e32 v3, v9
.LBB29_17:                              ;   in Loop: Header=BB29_3 Depth=1
	s_or_b32 exec_lo, exec_lo, s18
	v_mov_b32_e32 v9, 0
	v_or_b32_e32 v7, 2, v32
	v_mov_b32_e32 v10, 0
	v_cmp_lt_i32_e64 s0, 2, v35
	s_delay_alu instid0(VALU_DEP_1)
	s_and_saveexec_b32 s34, s0
	s_cbranch_execz .LBB29_22
; %bb.18:                               ;   in Loop: Header=BB29_3 Depth=1
	v_dual_mov_b32 v0, 0 :: v_dual_mov_b32 v11, v7
	s_and_not1_b32 vcc_lo, exec_lo, s23
	s_cbranch_vccnz .LBB29_21
; %bb.19:                               ;   in Loop: Header=BB29_3 Depth=1
	v_dual_mov_b32 v0, 0 :: v_dual_mov_b32 v11, v7
	s_mov_b64 s[18:19], s[16:17]
	s_mov_b32 s35, s12
	s_set_inst_prefetch_distance 0x1
	.p2align	6
.LBB29_20:                              ;   Parent Loop BB29_3 Depth=1
                                        ; =>  This Inner Loop Header: Depth=2
	s_clause 0x1
	s_load_b32 s36, s[18:19], 0x0
	s_load_b32 s37, s[18:19], 0x64
	s_add_i32 s35, s35, -1
	v_mov_b32_e32 v12, v11
	s_waitcnt lgkmcnt(0)
	v_cvt_f32_u32_e32 v9, s36
	s_sub_i32 s38, 0, s36
	s_add_u32 s18, s18, -4
	s_addc_u32 s19, s19, -1
	s_cmp_gt_u32 s35, 2
	v_rcp_iflag_f32_e32 v9, v9
	s_waitcnt_depctr 0xfff
	v_mul_f32_e32 v9, 0x4f7ffffe, v9
	s_delay_alu instid0(VALU_DEP_1) | instskip(NEXT) | instid1(VALU_DEP_1)
	v_cvt_u32_f32_e32 v9, v9
	v_mul_lo_u32 v10, s38, v9
	s_delay_alu instid0(VALU_DEP_1) | instskip(NEXT) | instid1(VALU_DEP_1)
	v_mul_hi_u32 v10, v9, v10
	v_add_nc_u32_e32 v9, v9, v10
	s_delay_alu instid0(VALU_DEP_1) | instskip(NEXT) | instid1(VALU_DEP_1)
	v_mul_hi_u32 v9, v12, v9
	v_mul_lo_u32 v10, v9, s36
	v_add_nc_u32_e32 v11, 1, v9
	s_delay_alu instid0(VALU_DEP_2) | instskip(NEXT) | instid1(VALU_DEP_1)
	v_sub_nc_u32_e32 v10, v12, v10
	v_subrev_nc_u32_e32 v13, s36, v10
	v_cmp_le_u32_e32 vcc_lo, s36, v10
	s_delay_alu instid0(VALU_DEP_2) | instskip(NEXT) | instid1(VALU_DEP_1)
	v_dual_cndmask_b32 v9, v9, v11 :: v_dual_cndmask_b32 v10, v10, v13
	v_add_nc_u32_e32 v11, 1, v9
	s_delay_alu instid0(VALU_DEP_2) | instskip(NEXT) | instid1(VALU_DEP_2)
	v_cmp_le_u32_e32 vcc_lo, s36, v10
	v_cndmask_b32_e32 v11, v9, v11, vcc_lo
	s_delay_alu instid0(VALU_DEP_1) | instskip(NEXT) | instid1(VALU_DEP_1)
	v_mul_lo_u32 v9, v11, s36
	v_sub_nc_u32_e32 v12, v12, v9
	s_delay_alu instid0(VALU_DEP_1) | instskip(NEXT) | instid1(VALU_DEP_1)
	v_mad_u64_u32 v[9:10], null, s37, v12, v[0:1]
	v_mov_b32_e32 v0, v9
	s_cbranch_scc1 .LBB29_20
.LBB29_21:                              ;   in Loop: Header=BB29_3 Depth=1
	s_set_inst_prefetch_distance 0x2
	s_delay_alu instid0(VALU_DEP_1)
	v_mad_u64_u32 v[9:10], null, s22, v11, v[0:1]
	v_mov_b32_e32 v10, v4
.LBB29_22:                              ;   in Loop: Header=BB29_3 Depth=1
	s_or_b32 exec_lo, exec_lo, s34
	v_mov_b32_e32 v15, 0
	v_mov_b32_e32 v16, 0
	s_delay_alu instid0(VALU_DEP_1)
	v_dual_mov_b32 v11, v15 :: v_dual_mov_b32 v12, v16
	s_and_saveexec_b32 s18, s0
	s_cbranch_execz .LBB29_24
; %bb.23:                               ;   in Loop: Header=BB29_3 Depth=1
	v_mul_hi_u32 v0, v7, v34
	s_delay_alu instid0(VALU_DEP_1) | instskip(NEXT) | instid1(VALU_DEP_1)
	v_mul_lo_u32 v11, v0, s21
	v_sub_nc_u32_e32 v11, v7, v11
	s_delay_alu instid0(VALU_DEP_1) | instskip(SKIP_1) | instid1(VALU_DEP_2)
	v_subrev_nc_u32_e32 v13, s21, v11
	v_cmp_le_u32_e32 vcc_lo, s21, v11
	v_dual_cndmask_b32 v11, v11, v13 :: v_dual_add_nc_u32 v12, 1, v0
	s_delay_alu instid0(VALU_DEP_1) | instskip(NEXT) | instid1(VALU_DEP_2)
	v_cndmask_b32_e32 v0, v0, v12, vcc_lo
	v_cmp_le_u32_e32 vcc_lo, s21, v11
	s_delay_alu instid0(VALU_DEP_2) | instskip(NEXT) | instid1(VALU_DEP_1)
	v_add_nc_u32_e32 v12, 1, v0
	v_cndmask_b32_e32 v13, v0, v12, vcc_lo
	s_delay_alu instid0(VALU_DEP_1) | instskip(NEXT) | instid1(VALU_DEP_1)
	v_mul_lo_u32 v0, v13, s21
	v_sub_nc_u32_e32 v0, v7, v0
	s_delay_alu instid0(VALU_DEP_1) | instskip(NEXT) | instid1(VALU_DEP_1)
	v_mul_lo_u32 v0, v0, s3
	v_mad_u64_u32 v[11:12], null, v13, s2, v[0:1]
	v_mov_b32_e32 v12, v4
.LBB29_24:                              ;   in Loop: Header=BB29_3 Depth=1
	s_or_b32 exec_lo, exec_lo, s18
	v_or_b32_e32 v7, 3, v32
	v_cmp_lt_i32_e64 s0, 3, v35
	s_delay_alu instid0(VALU_DEP_1)
	s_and_saveexec_b32 s34, s0
	s_cbranch_execz .LBB29_29
; %bb.25:                               ;   in Loop: Header=BB29_3 Depth=1
	s_delay_alu instid0(VALU_DEP_2)
	v_dual_mov_b32 v0, 0 :: v_dual_mov_b32 v13, v7
	s_and_not1_b32 vcc_lo, exec_lo, s23
	s_cbranch_vccnz .LBB29_28
; %bb.26:                               ;   in Loop: Header=BB29_3 Depth=1
	v_dual_mov_b32 v0, 0 :: v_dual_mov_b32 v13, v7
	s_mov_b64 s[18:19], s[16:17]
	s_mov_b32 s35, s12
	s_set_inst_prefetch_distance 0x1
	.p2align	6
.LBB29_27:                              ;   Parent Loop BB29_3 Depth=1
                                        ; =>  This Inner Loop Header: Depth=2
	s_clause 0x1
	s_load_b32 s36, s[18:19], 0x0
	s_load_b32 s37, s[18:19], 0x64
	s_add_i32 s35, s35, -1
	s_waitcnt lgkmcnt(0)
	v_cvt_f32_u32_e32 v14, s36
	s_sub_i32 s38, 0, s36
	s_add_u32 s18, s18, -4
	s_addc_u32 s19, s19, -1
	s_cmp_gt_u32 s35, 2
	v_rcp_iflag_f32_e32 v14, v14
	s_waitcnt_depctr 0xfff
	v_mul_f32_e32 v14, 0x4f7ffffe, v14
	s_delay_alu instid0(VALU_DEP_1) | instskip(NEXT) | instid1(VALU_DEP_1)
	v_cvt_u32_f32_e32 v14, v14
	v_mul_lo_u32 v15, s38, v14
	s_delay_alu instid0(VALU_DEP_1) | instskip(NEXT) | instid1(VALU_DEP_1)
	v_mul_hi_u32 v15, v14, v15
	v_dual_mov_b32 v16, v13 :: v_dual_add_nc_u32 v13, v14, v15
	s_delay_alu instid0(VALU_DEP_1) | instskip(NEXT) | instid1(VALU_DEP_1)
	v_mul_hi_u32 v13, v16, v13
	v_mul_lo_u32 v14, v13, s36
	v_add_nc_u32_e32 v15, 1, v13
	s_delay_alu instid0(VALU_DEP_2) | instskip(NEXT) | instid1(VALU_DEP_1)
	v_sub_nc_u32_e32 v14, v16, v14
	v_subrev_nc_u32_e32 v17, s36, v14
	v_cmp_le_u32_e32 vcc_lo, s36, v14
	s_delay_alu instid0(VALU_DEP_2) | instskip(NEXT) | instid1(VALU_DEP_1)
	v_dual_cndmask_b32 v13, v13, v15 :: v_dual_cndmask_b32 v14, v14, v17
	v_add_nc_u32_e32 v15, 1, v13
	s_delay_alu instid0(VALU_DEP_2) | instskip(NEXT) | instid1(VALU_DEP_2)
	v_cmp_le_u32_e32 vcc_lo, s36, v14
	v_cndmask_b32_e32 v13, v13, v15, vcc_lo
	s_delay_alu instid0(VALU_DEP_1) | instskip(NEXT) | instid1(VALU_DEP_1)
	v_mul_lo_u32 v14, v13, s36
	v_sub_nc_u32_e32 v16, v16, v14
	s_delay_alu instid0(VALU_DEP_1) | instskip(NEXT) | instid1(VALU_DEP_1)
	v_mad_u64_u32 v[14:15], null, s37, v16, v[0:1]
	v_mov_b32_e32 v0, v14
	s_cbranch_scc1 .LBB29_27
.LBB29_28:                              ;   in Loop: Header=BB29_3 Depth=1
	s_set_inst_prefetch_distance 0x2
	s_delay_alu instid0(VALU_DEP_1)
	v_mad_u64_u32 v[15:16], null, s22, v13, v[0:1]
	v_mov_b32_e32 v16, v4
.LBB29_29:                              ;   in Loop: Header=BB29_3 Depth=1
	s_or_b32 exec_lo, exec_lo, s34
	v_mov_b32_e32 v13, 0
	v_mov_b32_e32 v14, 0
	s_and_saveexec_b32 s18, s0
	s_cbranch_execz .LBB29_31
; %bb.30:                               ;   in Loop: Header=BB29_3 Depth=1
	v_mul_hi_u32 v0, v7, v34
	s_delay_alu instid0(VALU_DEP_1) | instskip(NEXT) | instid1(VALU_DEP_1)
	v_mul_lo_u32 v13, v0, s21
	v_sub_nc_u32_e32 v13, v7, v13
	s_delay_alu instid0(VALU_DEP_1) | instskip(SKIP_1) | instid1(VALU_DEP_2)
	v_subrev_nc_u32_e32 v17, s21, v13
	v_cmp_le_u32_e32 vcc_lo, s21, v13
	v_dual_cndmask_b32 v13, v13, v17 :: v_dual_add_nc_u32 v14, 1, v0
	s_delay_alu instid0(VALU_DEP_1) | instskip(NEXT) | instid1(VALU_DEP_2)
	v_cndmask_b32_e32 v0, v0, v14, vcc_lo
	v_cmp_le_u32_e32 vcc_lo, s21, v13
	s_delay_alu instid0(VALU_DEP_2) | instskip(NEXT) | instid1(VALU_DEP_1)
	v_add_nc_u32_e32 v14, 1, v0
	v_cndmask_b32_e32 v17, v0, v14, vcc_lo
	s_delay_alu instid0(VALU_DEP_1) | instskip(NEXT) | instid1(VALU_DEP_1)
	v_mul_lo_u32 v0, v17, s21
	v_sub_nc_u32_e32 v0, v7, v0
	s_delay_alu instid0(VALU_DEP_1) | instskip(NEXT) | instid1(VALU_DEP_1)
	v_mul_lo_u32 v0, v0, s3
	v_mad_u64_u32 v[13:14], null, v17, s2, v[0:1]
	v_mov_b32_e32 v14, v4
.LBB29_31:                              ;   in Loop: Header=BB29_3 Depth=1
	s_or_b32 exec_lo, exec_lo, s18
	s_delay_alu instid0(VALU_DEP_1) | instskip(SKIP_3) | instid1(VALU_DEP_3)
	v_lshlrev_b64 v[13:14], 2, v[13:14]
	s_waitcnt lgkmcnt(0)
	v_dual_mov_b32 v20, s7 :: v_dual_mov_b32 v19, s6
	v_dual_mov_b32 v22, s5 :: v_dual_mov_b32 v21, s4
	v_add_co_u32 v13, vcc_lo, s8, v13
	s_delay_alu instid0(VALU_DEP_4)
	v_add_co_ci_u32_e32 v14, vcc_lo, s9, v14, vcc_lo
	s_and_not1_b32 vcc_lo, exec_lo, s24
	global_load_b32 v0, v[13:14], off
	s_cbranch_vccnz .LBB29_33
; %bb.32:                               ;   in Loop: Header=BB29_3 Depth=1
	v_dual_mov_b32 v14, s7 :: v_dual_mov_b32 v13, s6
	v_dual_mov_b32 v18, s5 :: v_dual_mov_b32 v17, s4
	flat_load_b64 v[13:14], v[13:14]
	flat_load_b64 v[21:22], v[17:18]
	s_waitcnt vmcnt(1) lgkmcnt(1)
	v_add_co_u32 v19, vcc_lo, v13, s10
	v_add_co_ci_u32_e32 v20, vcc_lo, s11, v14, vcc_lo
.LBB29_33:                              ;   in Loop: Header=BB29_3 Depth=1
	s_delay_alu instid0(VALU_DEP_1)
	v_alignbit_b32 v7, v20, v19, 2
	v_lshrrev_b32_e32 v17, 2, v20
	s_waitcnt vmcnt(0) lgkmcnt(0)
	v_add_nc_u32_e32 v37, 0xbb67ae85, v22
	v_add_nc_u32_e32 v38, 0x3c6ef372, v21
	;; [unrolled: 1-line block ×3, first 2 shown]
	v_add_co_u32 v18, vcc_lo, v7, 1
	s_delay_alu instid0(VALU_DEP_1) | instskip(SKIP_4) | instid1(VALU_DEP_4)
	v_cndmask_b32_e64 v13, 0, 1, vcc_lo
	v_add_co_ci_u32_e32 v20, vcc_lo, 0, v17, vcc_lo
	v_xor3_b32 v25, v33, v21, v17
	v_add_nc_u32_e32 v41, 0xed9eba14, v22
	v_add_nc_u32_e32 v42, 0x1fd5c5a3, v22
	v_cmp_eq_u32_e32 vcc_lo, 0, v20
	s_mov_b32 s0, exec_lo
	v_dual_cndmask_b32 v23, 0, v13 :: v_dual_add_nc_u32 v40, 0x32370b8f, v22
	v_mad_u64_u32 v[13:14], null, 0xd2511f53, v18, 0
	v_mad_u64_u32 v[17:18], null, 0xd2511f53, v7, 0
	s_delay_alu instid0(VALU_DEP_3) | instskip(NEXT) | instid1(VALU_DEP_3)
	v_add_nc_u32_e32 v27, v23, v1
	v_xor_b32_e32 v14, v14, v22
	s_delay_alu instid0(VALU_DEP_2) | instskip(SKIP_1) | instid1(VALU_DEP_1)
	v_cmp_eq_u32_e32 vcc_lo, 0, v27
	v_dual_cndmask_b32 v23, 0, v23 :: v_dual_add_nc_u32 v36, 0x9e3779b9, v21
	v_xor_b32_e32 v7, v23, v14
	v_mad_u64_u32 v[23:24], null, 0xd2511f53, v25, 0
	v_mad_u64_u32 v[25:26], null, 0xcd9e8d57, v27, 0
	s_delay_alu instid0(VALU_DEP_3) | instskip(SKIP_1) | instid1(VALU_DEP_4)
	v_mad_u64_u32 v[27:28], null, 0xcd9e8d57, v7, 0
	v_xor_b32_e32 v7, v18, v22
	v_xor3_b32 v14, v37, v24, v17
	s_delay_alu instid0(VALU_DEP_2) | instskip(SKIP_2) | instid1(VALU_DEP_4)
	v_mad_u64_u32 v[17:18], null, 0xcd9e8d57, v7, 0
	v_xor3_b32 v7, v26, v21, v20
	v_xor3_b32 v20, v36, v28, v25
	v_mad_u64_u32 v[24:25], null, 0xcd9e8d57, v14, 0
	s_delay_alu instid0(VALU_DEP_3) | instskip(NEXT) | instid1(VALU_DEP_3)
	v_mad_u64_u32 v[28:29], null, 0xd2511f53, v7, 0
	v_mad_u64_u32 v[30:31], null, 0xd2511f53, v20, 0
	v_xor3_b32 v7, v2, v18, v36
	s_delay_alu instid0(VALU_DEP_4) | instskip(SKIP_1) | instid1(VALU_DEP_3)
	v_xor3_b32 v25, v38, v25, v17
	v_add_nc_u32_e32 v20, 0xdaa66d2b, v21
	v_mad_u64_u32 v[17:18], null, 0xd2511f53, v7, 0
	v_xor3_b32 v7, v37, v29, v13
	v_xor3_b32 v31, v39, v31, v28
	v_mad_u64_u32 v[13:14], null, 0xd2511f53, v25, 0
	s_delay_alu instid0(VALU_DEP_3) | instskip(NEXT) | instid1(VALU_DEP_3)
	v_mad_u64_u32 v[25:26], null, 0xcd9e8d57, v7, 0
	v_mad_u64_u32 v[28:29], null, 0xcd9e8d57, v31, 0
	v_xor3_b32 v7, v39, v18, v23
	s_delay_alu instid0(VALU_DEP_4) | instskip(SKIP_1) | instid1(VALU_DEP_3)
	v_xor3_b32 v14, v40, v14, v17
	v_add_nc_u32_e32 v31, 0x78dde6e4, v21
	v_mad_u64_u32 v[17:18], null, 0xcd9e8d57, v7, 0
	v_xor3_b32 v7, v38, v26, v27
	v_xor3_b32 v23, v20, v29, v25
	v_mad_u64_u32 v[25:26], null, 0xcd9e8d57, v14, 0
	v_add_nc_u32_e32 v27, 0xa9066899, v22
	s_delay_alu instid0(VALU_DEP_4) | instskip(NEXT) | instid1(VALU_DEP_4)
	v_mad_u64_u32 v[36:37], null, 0xd2511f53, v7, 0
	v_mad_u64_u32 v[38:39], null, 0xd2511f53, v23, 0
	v_xor3_b32 v7, v20, v18, v24
	v_xor3_b32 v14, v31, v26, v17
	v_add_nc_u32_e32 v20, 0x1715609d, v21
	s_delay_alu instid0(VALU_DEP_3) | instskip(SKIP_4) | instid1(VALU_DEP_4)
	v_mad_u64_u32 v[17:18], null, 0xd2511f53, v7, 0
	v_xor3_b32 v7, v40, v37, v30
	v_xor3_b32 v26, v41, v39, v36
	v_mad_u64_u32 v[29:30], null, 0xd2511f53, v14, 0
	v_add_nc_u32_e32 v37, 0xb54cda56, v21
	v_mad_u64_u32 v[23:24], null, 0xcd9e8d57, v7, 0
	s_delay_alu instid0(VALU_DEP_4) | instskip(SKIP_3) | instid1(VALU_DEP_3)
	v_mad_u64_u32 v[39:40], null, 0xcd9e8d57, v26, 0
	v_xor3_b32 v7, v41, v18, v13
	v_xor3_b32 v26, v27, v30, v17
	v_add_nc_u32_e32 v36, 0x646e171e, v22
	v_mad_u64_u32 v[13:14], null, 0xcd9e8d57, v7, 0
	v_xor3_b32 v7, v31, v24, v28
	v_xor3_b32 v28, v20, v40, v23
	v_mad_u64_u32 v[17:18], null, 0xcd9e8d57, v26, 0
	s_delay_alu instid0(VALU_DEP_3) | instskip(NEXT) | instid1(VALU_DEP_3)
	v_mad_u64_u32 v[23:24], null, 0xd2511f53, v7, 0
	v_mad_u64_u32 v[40:41], null, 0xd2511f53, v28, 0
	v_xor3_b32 v7, v20, v14, v25
	s_delay_alu instid0(VALU_DEP_4) | instskip(SKIP_1) | instid1(VALU_DEP_3)
	v_xor3_b32 v18, v37, v18, v13
	v_add_nc_u32_e32 v20, 0x5384540f, v21
	v_mad_u64_u32 v[13:14], null, 0xd2511f53, v7, 0
	v_xor3_b32 v7, v27, v24, v38
	v_xor3_b32 v25, v36, v41, v23
	v_mad_u64_u32 v[23:24], null, 0xd2511f53, v18, 0
	s_delay_alu instid0(VALU_DEP_3) | instskip(NEXT) | instid1(VALU_DEP_3)
	v_mad_u64_u32 v[30:31], null, 0xcd9e8d57, v7, 0
	v_mad_u64_u32 v[26:27], null, 0xcd9e8d57, v25, 0
	v_xor3_b32 v7, v36, v14, v29
	s_delay_alu instid0(VALU_DEP_4) | instskip(SKIP_1) | instid1(VALU_DEP_3)
	v_xor3_b32 v18, v42, v24, v13
	v_add_co_u32 v36, null, 0xf1bbcdc8, v21
	v_mad_u64_u32 v[13:14], null, 0xcd9e8d57, v7, 0
	v_xor3_b32 v7, v37, v31, v39
	v_xor3_b32 v27, v20, v27, v30
	v_mad_u64_u32 v[24:25], null, 0xcd9e8d57, v18, 0
	v_add_nc_u32_e32 v37, 0xdb3d7428, v22
	s_delay_alu instid0(VALU_DEP_4) | instskip(NEXT) | instid1(VALU_DEP_4)
	v_mad_u64_u32 v[38:39], null, 0xd2511f53, v7, 0
	v_mad_u64_u32 v[29:30], null, 0xd2511f53, v27, 0
	v_xor3_b32 v7, v20, v14, v17
	v_xor3_b32 v17, v36, v25, v13
	v_add_nc_u32_e32 v25, 0x96a522ad, v22
	v_add_nc_u32_e32 v22, 0x8ff34781, v21
	v_and_b32_e32 v21, 3, v19
	v_mad_u64_u32 v[27:28], null, 0xd2511f53, v7, 0
	v_xor3_b32 v7, v42, v39, v40
	v_xor3_b32 v20, v37, v30, v38
	v_mad_u64_u32 v[13:14], null, 0xd2511f53, v17, 0
	s_delay_alu instid0(VALU_DEP_3) | instskip(NEXT) | instid1(VALU_DEP_3)
	v_mad_u64_u32 v[30:31], null, 0xcd9e8d57, v7, 0
	v_mad_u64_u32 v[17:18], null, 0xcd9e8d57, v20, 0
                                        ; implicit-def: $vgpr20
	s_delay_alu instid0(VALU_DEP_3) | instskip(NEXT) | instid1(VALU_DEP_2)
	v_xor3_b32 v14, v14, v27, v25
	v_xor3_b32 v7, v18, v30, v22
	v_cmpx_lt_i32_e32 1, v21
	s_xor_b32 s0, exec_lo, s0
	s_cbranch_execz .LBB29_39
; %bb.34:                               ;   in Loop: Header=BB29_3 Depth=1
	s_mov_b32 s18, exec_lo
                                        ; implicit-def: $vgpr20
	v_cmpx_lt_i32_e32 2, v21
	s_xor_b32 s18, exec_lo, s18
; %bb.35:                               ;   in Loop: Header=BB29_3 Depth=1
	v_xor3_b32 v14, v36, v31, v26
	s_delay_alu instid0(VALU_DEP_1) | instskip(NEXT) | instid1(VALU_DEP_1)
	v_mul_hi_u32 v14, 0xd2511f53, v14
	v_xor3_b32 v20, v14, v29, v25
                                        ; implicit-def: $vgpr14
; %bb.36:                               ;   in Loop: Header=BB29_3 Depth=1
	s_and_not1_saveexec_b32 s18, s18
; %bb.37:                               ;   in Loop: Header=BB29_3 Depth=1
	v_dual_mov_b32 v20, v17 :: v_dual_mov_b32 v17, v7
	v_mov_b32_e32 v7, v13
	v_mov_b32_e32 v13, v14
; %bb.38:                               ;   in Loop: Header=BB29_3 Depth=1
	s_or_b32 exec_lo, exec_lo, s18
                                        ; implicit-def: $vgpr23_vgpr24
                                        ; implicit-def: $vgpr21
                                        ; implicit-def: $vgpr14
                                        ; implicit-def: $vgpr37
                                        ; implicit-def: $vgpr27_vgpr28
                                        ; implicit-def: $vgpr22
                                        ; implicit-def: $vgpr24_vgpr25
.LBB29_39:                              ;   in Loop: Header=BB29_3 Depth=1
	s_and_not1_saveexec_b32 s0, s0
	s_cbranch_execz .LBB29_43
; %bb.40:                               ;   in Loop: Header=BB29_3 Depth=1
	v_xor3_b32 v17, v37, v28, v23
	v_cmp_eq_u32_e32 vcc_lo, 1, v21
	v_mov_b32_e32 v20, v13
	s_delay_alu instid0(VALU_DEP_3) | instskip(SKIP_1) | instid1(VALU_DEP_2)
	v_mad_u64_u32 v[18:19], null, 0xcd9e8d57, v17, 0
	v_mov_b32_e32 v17, v14
	v_xor3_b32 v21, v19, v24, v22
	s_delay_alu instid0(VALU_DEP_3)
	v_mov_b32_e32 v19, v18
	s_and_saveexec_b32 s18, vcc_lo
; %bb.41:                               ;   in Loop: Header=BB29_3 Depth=1
	v_dual_mov_b32 v20, v7 :: v_dual_mov_b32 v17, v13
	v_mov_b32_e32 v19, v14
	v_mov_b32_e32 v21, v18
; %bb.42:                               ;   in Loop: Header=BB29_3 Depth=1
	s_or_b32 exec_lo, exec_lo, s18
	s_delay_alu instid0(VALU_DEP_1) | instskip(NEXT) | instid1(VALU_DEP_3)
	v_mov_b32_e32 v13, v21
	v_mov_b32_e32 v7, v19
.LBB29_43:                              ;   in Loop: Header=BB29_3 Depth=1
	s_or_b32 exec_lo, exec_lo, s0
	v_min_i32_e32 v14, 4, v35
	s_mov_b32 s18, 0
	s_mov_b32 s38, 0
	s_mov_b32 s19, 0
                                        ; implicit-def: $sgpr34
                                        ; implicit-def: $sgpr35
                                        ; implicit-def: $sgpr36
	s_mov_b32 s0, exec_lo
	v_cmpx_lt_i32_e32 2, v14
	s_xor_b32 s37, exec_lo, s0
	s_cbranch_execz .LBB29_55
; %bb.44:                               ;   in Loop: Header=BB29_3 Depth=1
	s_mov_b32 s0, -1
	s_mov_b32 s39, 0
	s_mov_b32 s35, exec_lo
                                        ; implicit-def: $sgpr19
                                        ; implicit-def: $sgpr34
	v_cmpx_lt_i32_e32 3, v14
	s_cbranch_execz .LBB29_50
; %bb.45:                               ;   in Loop: Header=BB29_3 Depth=1
	s_mov_b32 s0, 0
	s_mov_b32 s39, -1
	s_mov_b32 s36, exec_lo
                                        ; implicit-def: $sgpr19
                                        ; implicit-def: $sgpr34
	v_cmpx_eq_u32_e32 4, v14
	s_cbranch_execz .LBB29_49
; %bb.46:                               ;   in Loop: Header=BB29_3 Depth=1
	v_cmp_le_f32_e32 vcc_lo, 0, v0
	v_cmp_ge_f32_e64 s0, 1.0, v0
	s_mov_b32 s19, 0
	s_delay_alu instid0(VALU_DEP_1)
	s_and_b32 s39, vcc_lo, s0
	s_mov_b32 s0, 0
	s_and_saveexec_b32 s34, s39
	s_cbranch_execz .LBB29_48
; %bb.47:                               ;   in Loop: Header=BB29_3 Depth=1
	v_cvt_f32_u32_e32 v18, v20
	v_add_co_u32 v15, vcc_lo, s14, v15
	v_add_co_ci_u32_e32 v16, vcc_lo, s15, v16, vcc_lo
	s_delay_alu instid0(VALU_DEP_3) | instskip(SKIP_1) | instid1(VALU_DEP_1)
	v_fmaak_f32 v18, 0x2f800000, v18, 0x2f800000
	s_mov_b32 s0, exec_lo
	v_cmp_le_f32_e32 vcc_lo, v18, v0
	v_cndmask_b32_e64 v0, 0, 1, vcc_lo
	global_store_b8 v[15:16], v0, off
.LBB29_48:                              ;   in Loop: Header=BB29_3 Depth=1
	s_or_b32 exec_lo, exec_lo, s34
	s_mov_b32 s34, -1
	s_xor_b32 s39, exec_lo, -1
	s_and_b32 s0, s0, exec_lo
.LBB29_49:                              ;   in Loop: Header=BB29_3 Depth=1
	s_or_b32 exec_lo, exec_lo, s36
	s_delay_alu instid0(SALU_CYCLE_1)
	s_and_b32 s39, s39, exec_lo
	s_or_not1_b32 s0, s0, exec_lo
.LBB29_50:                              ;   in Loop: Header=BB29_3 Depth=1
	s_or_b32 exec_lo, exec_lo, s35
	s_mov_b32 s36, s19
	s_and_saveexec_b32 s35, s0
	s_cbranch_execz .LBB29_54
; %bb.51:                               ;   in Loop: Header=BB29_3 Depth=1
	v_lshlrev_b64 v[11:12], 2, v[11:12]
	s_delay_alu instid0(VALU_DEP_1) | instskip(NEXT) | instid1(VALU_DEP_2)
	v_add_co_u32 v11, vcc_lo, s8, v11
	v_add_co_ci_u32_e32 v12, vcc_lo, s9, v12, vcc_lo
	global_load_b32 v0, v[11:12], off
	s_waitcnt vmcnt(0)
	v_cmp_le_f32_e32 vcc_lo, 0, v0
	v_cmp_ge_f32_e64 s0, 1.0, v0
	s_delay_alu instid0(VALU_DEP_1) | instskip(SKIP_2) | instid1(SALU_CYCLE_1)
	s_and_b32 s36, vcc_lo, s0
	s_mov_b32 s0, 0
	s_and_saveexec_b32 s38, s36
	s_xor_b32 s36, exec_lo, s38
	s_cbranch_execz .LBB29_53
; %bb.52:                               ;   in Loop: Header=BB29_3 Depth=1
	v_cvt_f32_u32_e32 v11, v17
	v_add_co_u32 v9, vcc_lo, s14, v9
	v_add_co_ci_u32_e32 v10, vcc_lo, s15, v10, vcc_lo
	s_delay_alu instid0(VALU_DEP_3) | instskip(SKIP_1) | instid1(VALU_DEP_1)
	v_fmaak_f32 v11, 0x2f800000, v11, 0x2f800000
	s_mov_b32 s0, exec_lo
	v_cmp_le_f32_e32 vcc_lo, v11, v0
	v_cndmask_b32_e64 v0, 0, 1, vcc_lo
	global_store_b8 v[9:10], v0, off
.LBB29_53:                              ;   in Loop: Header=BB29_3 Depth=1
	s_or_b32 exec_lo, exec_lo, s36
	s_delay_alu instid0(SALU_CYCLE_1)
	s_and_not1_b32 s36, s19, exec_lo
	s_or_b32 s19, s19, exec_lo
	s_and_not1_b32 s34, s34, exec_lo
	s_and_b32 s38, s0, exec_lo
.LBB29_54:                              ;   in Loop: Header=BB29_3 Depth=1
	s_or_b32 exec_lo, exec_lo, s35
	s_delay_alu instid0(SALU_CYCLE_1)
	s_and_b32 s36, s36, exec_lo
	s_and_b32 s35, s19, exec_lo
	;; [unrolled: 1-line block ×5, first 2 shown]
.LBB29_55:                              ;   in Loop: Header=BB29_3 Depth=1
	s_and_not1_saveexec_b32 s0, s37
; %bb.56:                               ;   in Loop: Header=BB29_3 Depth=1
	v_cmp_lt_i32_e32 vcc_lo, 1, v14
	s_and_not1_b32 s37, s38, exec_lo
	s_mov_b32 s18, exec_lo
	s_and_not1_b32 s36, s36, exec_lo
	s_and_not1_b32 s35, s35, exec_lo
	s_and_b32 s38, vcc_lo, exec_lo
	s_and_not1_b32 s34, s34, exec_lo
	s_or_b32 s38, s37, s38
; %bb.57:                               ;   in Loop: Header=BB29_3 Depth=1
	s_or_b32 exec_lo, exec_lo, s0
	s_mov_b32 s0, 0
	s_mov_b32 s37, s36
	s_and_saveexec_b32 s39, s38
	s_cbranch_execnz .LBB29_60
; %bb.58:                               ;   in Loop: Header=BB29_3 Depth=1
	s_or_b32 exec_lo, exec_lo, s39
	s_and_saveexec_b32 s38, s18
	s_cbranch_execnz .LBB29_63
.LBB29_59:                              ;   in Loop: Header=BB29_3 Depth=1
	s_or_b32 exec_lo, exec_lo, s38
	s_and_saveexec_b32 s18, s0
	s_cbranch_execnz .LBB29_64
	s_branch .LBB29_67
.LBB29_60:                              ;   in Loop: Header=BB29_3 Depth=1
	v_lshlrev_b64 v[9:10], 2, v[3:4]
	s_mov_b32 s38, 0
	s_delay_alu instid0(VALU_DEP_1) | instskip(NEXT) | instid1(VALU_DEP_2)
	v_add_co_u32 v9, vcc_lo, s8, v9
	v_add_co_ci_u32_e32 v10, vcc_lo, s9, v10, vcc_lo
	global_load_b32 v0, v[9:10], off
	s_waitcnt vmcnt(0)
	v_cmp_le_f32_e32 vcc_lo, 0, v0
	v_cmp_ge_f32_e64 s0, 1.0, v0
	s_delay_alu instid0(VALU_DEP_1) | instskip(NEXT) | instid1(SALU_CYCLE_1)
	s_and_b32 s0, vcc_lo, s0
	s_and_saveexec_b32 s37, s0
	s_delay_alu instid0(SALU_CYCLE_1)
	s_xor_b32 s0, exec_lo, s37
	s_cbranch_execz .LBB29_62
; %bb.61:                               ;   in Loop: Header=BB29_3 Depth=1
	v_cvt_f32_u32_e32 v3, v7
	s_mov_b32 s38, exec_lo
	s_delay_alu instid0(VALU_DEP_1) | instskip(NEXT) | instid1(VALU_DEP_1)
	v_fmaak_f32 v3, 0x2f800000, v3, 0x2f800000
	v_cmp_le_f32_e32 vcc_lo, v3, v0
	v_cndmask_b32_e64 v0, 0, 1, vcc_lo
	global_store_b8 v8, v0, s[14:15]
.LBB29_62:                              ;   in Loop: Header=BB29_3 Depth=1
	s_or_b32 exec_lo, exec_lo, s0
	s_delay_alu instid0(SALU_CYCLE_1)
	s_and_not1_b32 s37, s36, exec_lo
	s_or_b32 s36, s36, exec_lo
	s_and_not1_b32 s35, s35, exec_lo
	s_and_not1_b32 s34, s34, exec_lo
	s_and_b32 s0, s38, exec_lo
	s_and_not1_b32 s18, s18, exec_lo
	s_or_b32 exec_lo, exec_lo, s39
	s_and_saveexec_b32 s38, s18
	s_cbranch_execz .LBB29_59
.LBB29_63:                              ;   in Loop: Header=BB29_3 Depth=1
	v_cmp_eq_u32_e32 vcc_lo, 1, v14
	s_and_not1_b32 s0, s0, exec_lo
	s_and_not1_b32 s37, s37, exec_lo
	;; [unrolled: 1-line block ×4, first 2 shown]
	s_and_b32 s18, vcc_lo, exec_lo
	s_and_not1_b32 s34, s34, exec_lo
	s_or_b32 s19, s19, exec_lo
	s_or_b32 s0, s0, s18
	s_or_b32 exec_lo, exec_lo, s38
	s_and_saveexec_b32 s18, s0
	s_cbranch_execz .LBB29_67
.LBB29_64:                              ;   in Loop: Header=BB29_3 Depth=1
	v_mov_b32_e32 v7, v4
	s_mov_b32 s38, 0
	s_delay_alu instid0(VALU_DEP_1) | instskip(NEXT) | instid1(VALU_DEP_1)
	v_lshlrev_b64 v[6:7], 2, v[6:7]
	v_add_co_u32 v6, vcc_lo, s8, v6
	s_delay_alu instid0(VALU_DEP_2) | instskip(SKIP_4) | instid1(VALU_DEP_1)
	v_add_co_ci_u32_e32 v7, vcc_lo, s9, v7, vcc_lo
	global_load_b32 v0, v[6:7], off
	s_waitcnt vmcnt(0)
	v_cmp_le_f32_e32 vcc_lo, 0, v0
	v_cmp_ge_f32_e64 s0, 1.0, v0
	s_and_b32 s39, vcc_lo, s0
	s_delay_alu instid0(SALU_CYCLE_1)
	s_and_saveexec_b32 s0, s39
	s_cbranch_execz .LBB29_66
; %bb.65:                               ;   in Loop: Header=BB29_3 Depth=1
	v_cvt_f32_u32_e32 v3, v13
	s_mov_b32 s38, exec_lo
	s_delay_alu instid0(VALU_DEP_1) | instskip(NEXT) | instid1(VALU_DEP_1)
	v_fmaak_f32 v3, 0x2f800000, v3, 0x2f800000
	v_cmp_le_f32_e32 vcc_lo, v3, v0
	v_cndmask_b32_e64 v0, 0, 1, vcc_lo
	global_store_b8 v5, v0, s[14:15]
.LBB29_66:                              ;   in Loop: Header=BB29_3 Depth=1
	s_or_b32 exec_lo, exec_lo, s0
	s_delay_alu instid0(SALU_CYCLE_1)
	s_and_not1_b32 s0, s19, exec_lo
	s_and_b32 s19, s38, exec_lo
	s_or_b32 s37, s37, exec_lo
	s_and_not1_b32 s36, s36, exec_lo
	s_and_not1_b32 s35, s35, exec_lo
	;; [unrolled: 1-line block ×3, first 2 shown]
	s_or_b32 s19, s0, s19
.LBB29_67:                              ;   in Loop: Header=BB29_3 Depth=1
	s_or_b32 exec_lo, exec_lo, s18
	s_delay_alu instid0(SALU_CYCLE_1)
	s_and_not1_b32 s18, s33, exec_lo
	s_and_b32 s33, s37, exec_lo
	s_and_not1_b32 s30, s30, exec_lo
	s_and_b32 s36, s36, exec_lo
	s_or_b32 s33, s18, s33
	s_and_not1_b32 s18, s31, exec_lo
	s_and_b32 s31, s35, exec_lo
	s_and_not1_b32 s29, s29, exec_lo
	s_and_b32 s34, s34, exec_lo
	s_mov_b32 s0, -1
	s_or_b32 s30, s30, s36
	s_or_b32 s31, s18, s31
	;; [unrolled: 1-line block ×3, first 2 shown]
	s_and_saveexec_b32 s18, s19
	s_cbranch_execz .LBB29_2
; %bb.68:                               ;   in Loop: Header=BB29_3 Depth=1
	v_add_nc_u32_e32 v32, s25, v32
	s_and_not1_b32 s33, s33, exec_lo
	s_and_not1_b32 s30, s30, exec_lo
	;; [unrolled: 1-line block ×4, first 2 shown]
	v_cmp_le_u32_e32 vcc_lo, s20, v32
	s_or_not1_b32 s0, vcc_lo, exec_lo
	s_branch .LBB29_2
.LBB29_69:
	s_or_b32 exec_lo, exec_lo, s13
	s_xor_b32 s4, s27, -1
	s_xor_b32 s5, s28, -1
	;; [unrolled: 1-line block ×3, first 2 shown]
	s_mov_b32 s2, 0
	s_and_saveexec_b32 s3, s0
	s_delay_alu instid0(SALU_CYCLE_1)
	s_xor_b32 s0, exec_lo, s3
	s_cbranch_execz .LBB29_78
; %bb.70:
	s_mov_b32 s3, 0
	s_and_saveexec_b32 s2, s5
	s_delay_alu instid0(SALU_CYCLE_1)
	s_xor_b32 s2, exec_lo, s2
	s_cbranch_execz .LBB29_76
; %bb.71:
	s_and_saveexec_b32 s5, s4
	s_delay_alu instid0(SALU_CYCLE_1)
	s_xor_b32 s4, exec_lo, s5
	s_cbranch_execz .LBB29_74
; %bb.72:
	s_and_saveexec_b32 s5, s1
	s_delay_alu instid0(SALU_CYCLE_1)
	s_xor_b32 s1, exec_lo, s5
	s_cbranch_execnz .LBB29_92
.LBB29_73:
	s_or_b32 exec_lo, exec_lo, s1
	s_delay_alu instid0(SALU_CYCLE_1)
	s_and_b32 s3, s3, exec_lo
.LBB29_74:
	s_and_not1_saveexec_b32 s1, s4
	s_cbranch_execnz .LBB29_88
.LBB29_75:
	s_or_b32 exec_lo, exec_lo, s1
	s_delay_alu instid0(SALU_CYCLE_1)
	s_and_b32 s3, s3, exec_lo
.LBB29_76:
	s_and_not1_saveexec_b32 s1, s2
	s_cbranch_execnz .LBB29_84
.LBB29_77:
	s_or_b32 exec_lo, exec_lo, s1
	s_delay_alu instid0(SALU_CYCLE_1)
	s_and_b32 s2, s3, exec_lo
.LBB29_78:
	s_and_not1_saveexec_b32 s0, s0
	s_cbranch_execnz .LBB29_82
; %bb.79:
	s_or_b32 exec_lo, exec_lo, s0
	s_delay_alu instid0(SALU_CYCLE_1)
	s_and_b32 exec_lo, exec_lo, s2
.LBB29_80:
	; divergent unreachable
.LBB29_81:
	s_nop 0
	s_sendmsg sendmsg(MSG_DEALLOC_VGPRS)
	s_endpgm
.LBB29_82:
	s_cbranch_execnz .LBB29_86
; %bb.83:
	s_or_b32 s2, s2, exec_lo
	s_or_b32 exec_lo, exec_lo, s0
	s_delay_alu instid0(SALU_CYCLE_1)
	s_and_b32 exec_lo, exec_lo, s2
	s_cbranch_execnz .LBB29_80
	s_branch .LBB29_81
.LBB29_84:
	s_cbranch_execnz .LBB29_90
; %bb.85:
	s_or_b32 s3, s3, exec_lo
	s_branch .LBB29_77
.LBB29_86:
	s_trap 2
	s_sendmsg_rtn_b32 s0, sendmsg(MSG_RTN_GET_DOORBELL)
	s_mov_b32 ttmp2, m0
	s_waitcnt lgkmcnt(0)
	s_and_b32 s0, s0, 0x3ff
	s_delay_alu instid0(SALU_CYCLE_1) | instskip(NEXT) | instid1(SALU_CYCLE_1)
	s_bitset1_b32 s0, 10
	s_mov_b32 m0, s0
	s_sendmsg sendmsg(MSG_INTERRUPT)
	s_mov_b32 m0, ttmp2
.LBB29_87:                              ; =>This Inner Loop Header: Depth=1
	s_sethalt 5
	s_branch .LBB29_87
.LBB29_88:
	s_cbranch_execnz .LBB29_94
; %bb.89:
	s_or_b32 s3, s3, exec_lo
	s_branch .LBB29_75
.LBB29_90:
	s_trap 2
	s_sendmsg_rtn_b32 s0, sendmsg(MSG_RTN_GET_DOORBELL)
	s_mov_b32 ttmp2, m0
	s_waitcnt lgkmcnt(0)
	s_and_b32 s0, s0, 0x3ff
	s_delay_alu instid0(SALU_CYCLE_1) | instskip(NEXT) | instid1(SALU_CYCLE_1)
	s_bitset1_b32 s0, 10
	s_mov_b32 m0, s0
	s_sendmsg sendmsg(MSG_INTERRUPT)
	s_mov_b32 m0, ttmp2
.LBB29_91:                              ; =>This Inner Loop Header: Depth=1
	s_sethalt 5
	s_branch .LBB29_91
.LBB29_92:
	s_cbranch_execnz .LBB29_96
; %bb.93:
	s_mov_b32 s3, exec_lo
	s_branch .LBB29_73
.LBB29_94:
	s_trap 2
	s_sendmsg_rtn_b32 s0, sendmsg(MSG_RTN_GET_DOORBELL)
	s_mov_b32 ttmp2, m0
	s_waitcnt lgkmcnt(0)
	s_and_b32 s0, s0, 0x3ff
	s_delay_alu instid0(SALU_CYCLE_1) | instskip(NEXT) | instid1(SALU_CYCLE_1)
	s_bitset1_b32 s0, 10
	s_mov_b32 m0, s0
	s_sendmsg sendmsg(MSG_INTERRUPT)
	s_mov_b32 m0, ttmp2
.LBB29_95:                              ; =>This Inner Loop Header: Depth=1
	s_sethalt 5
	s_branch .LBB29_95
.LBB29_96:
	s_trap 2
	s_sendmsg_rtn_b32 s0, sendmsg(MSG_RTN_GET_DOORBELL)
	s_mov_b32 ttmp2, m0
	s_waitcnt lgkmcnt(0)
	s_and_b32 s0, s0, 0x3ff
	s_delay_alu instid0(SALU_CYCLE_1) | instskip(NEXT) | instid1(SALU_CYCLE_1)
	s_bitset1_b32 s0, 10
	s_mov_b32 m0, s0
	s_sendmsg sendmsg(MSG_INTERRUPT)
	s_mov_b32 m0, ttmp2
.LBB29_97:                              ; =>This Inner Loop Header: Depth=1
	s_sethalt 5
	s_branch .LBB29_97
	.section	.rodata,"a",@progbits
	.p2align	6, 0x0
	.amdhsa_kernel _ZN2at4cuda12_GLOBAL__N_121kernelPointwiseApply2IZNS_6native9templates4cuda28bernoulli_tensor_cuda_kernelIafEEvRKNS_10TensorBaseES9_NS_15PhiloxCudaStateEEUliRaSB_SB_SB_RKfSD_SD_SD_E_aSC_jLin1ELi2ELi4ELi512ELi2EEEvNS0_6detail10TensorInfoIT0_T2_EENSG_IT1_SI_EESI_T_
		.amdhsa_group_segment_fixed_size 0
		.amdhsa_private_segment_fixed_size 0
		.amdhsa_kernarg_size 728
		.amdhsa_user_sgpr_count 15
		.amdhsa_user_sgpr_dispatch_ptr 0
		.amdhsa_user_sgpr_queue_ptr 0
		.amdhsa_user_sgpr_kernarg_segment_ptr 1
		.amdhsa_user_sgpr_dispatch_id 0
		.amdhsa_user_sgpr_private_segment_size 0
		.amdhsa_wavefront_size32 1
		.amdhsa_uses_dynamic_stack 0
		.amdhsa_enable_private_segment 0
		.amdhsa_system_sgpr_workgroup_id_x 1
		.amdhsa_system_sgpr_workgroup_id_y 0
		.amdhsa_system_sgpr_workgroup_id_z 0
		.amdhsa_system_sgpr_workgroup_info 0
		.amdhsa_system_vgpr_workitem_id 0
		.amdhsa_next_free_vgpr 43
		.amdhsa_next_free_sgpr 40
		.amdhsa_reserve_vcc 1
		.amdhsa_float_round_mode_32 0
		.amdhsa_float_round_mode_16_64 0
		.amdhsa_float_denorm_mode_32 3
		.amdhsa_float_denorm_mode_16_64 3
		.amdhsa_dx10_clamp 1
		.amdhsa_ieee_mode 1
		.amdhsa_fp16_overflow 0
		.amdhsa_workgroup_processor_mode 1
		.amdhsa_memory_ordered 1
		.amdhsa_forward_progress 0
		.amdhsa_shared_vgpr_count 0
		.amdhsa_exception_fp_ieee_invalid_op 0
		.amdhsa_exception_fp_denorm_src 0
		.amdhsa_exception_fp_ieee_div_zero 0
		.amdhsa_exception_fp_ieee_overflow 0
		.amdhsa_exception_fp_ieee_underflow 0
		.amdhsa_exception_fp_ieee_inexact 0
		.amdhsa_exception_int_div_zero 0
	.end_amdhsa_kernel
	.section	.text._ZN2at4cuda12_GLOBAL__N_121kernelPointwiseApply2IZNS_6native9templates4cuda28bernoulli_tensor_cuda_kernelIafEEvRKNS_10TensorBaseES9_NS_15PhiloxCudaStateEEUliRaSB_SB_SB_RKfSD_SD_SD_E_aSC_jLin1ELi2ELi4ELi512ELi2EEEvNS0_6detail10TensorInfoIT0_T2_EENSG_IT1_SI_EESI_T_,"axG",@progbits,_ZN2at4cuda12_GLOBAL__N_121kernelPointwiseApply2IZNS_6native9templates4cuda28bernoulli_tensor_cuda_kernelIafEEvRKNS_10TensorBaseES9_NS_15PhiloxCudaStateEEUliRaSB_SB_SB_RKfSD_SD_SD_E_aSC_jLin1ELi2ELi4ELi512ELi2EEEvNS0_6detail10TensorInfoIT0_T2_EENSG_IT1_SI_EESI_T_,comdat
.Lfunc_end29:
	.size	_ZN2at4cuda12_GLOBAL__N_121kernelPointwiseApply2IZNS_6native9templates4cuda28bernoulli_tensor_cuda_kernelIafEEvRKNS_10TensorBaseES9_NS_15PhiloxCudaStateEEUliRaSB_SB_SB_RKfSD_SD_SD_E_aSC_jLin1ELi2ELi4ELi512ELi2EEEvNS0_6detail10TensorInfoIT0_T2_EENSG_IT1_SI_EESI_T_, .Lfunc_end29-_ZN2at4cuda12_GLOBAL__N_121kernelPointwiseApply2IZNS_6native9templates4cuda28bernoulli_tensor_cuda_kernelIafEEvRKNS_10TensorBaseES9_NS_15PhiloxCudaStateEEUliRaSB_SB_SB_RKfSD_SD_SD_E_aSC_jLin1ELi2ELi4ELi512ELi2EEEvNS0_6detail10TensorInfoIT0_T2_EENSG_IT1_SI_EESI_T_
                                        ; -- End function
	.section	.AMDGPU.csdata,"",@progbits
; Kernel info:
; codeLenInByte = 4756
; NumSgprs: 42
; NumVgprs: 43
; ScratchSize: 0
; MemoryBound: 0
; FloatMode: 240
; IeeeMode: 1
; LDSByteSize: 0 bytes/workgroup (compile time only)
; SGPRBlocks: 5
; VGPRBlocks: 5
; NumSGPRsForWavesPerEU: 42
; NumVGPRsForWavesPerEU: 43
; Occupancy: 16
; WaveLimiterHint : 1
; COMPUTE_PGM_RSRC2:SCRATCH_EN: 0
; COMPUTE_PGM_RSRC2:USER_SGPR: 15
; COMPUTE_PGM_RSRC2:TRAP_HANDLER: 0
; COMPUTE_PGM_RSRC2:TGID_X_EN: 1
; COMPUTE_PGM_RSRC2:TGID_Y_EN: 0
; COMPUTE_PGM_RSRC2:TGID_Z_EN: 0
; COMPUTE_PGM_RSRC2:TIDIG_COMP_CNT: 0
	.section	.text._ZN2at4cuda12_GLOBAL__N_121kernelPointwiseApply2IZNS_6native9templates4cuda28bernoulli_tensor_cuda_kernelIafEEvRKNS_10TensorBaseES9_NS_15PhiloxCudaStateEEUliRaSB_SB_SB_RKfSD_SD_SD_E_aSC_jLin1ELin1ELi4ELi512ELi2EEEvNS0_6detail10TensorInfoIT0_T2_EENSG_IT1_SI_EESI_T_,"axG",@progbits,_ZN2at4cuda12_GLOBAL__N_121kernelPointwiseApply2IZNS_6native9templates4cuda28bernoulli_tensor_cuda_kernelIafEEvRKNS_10TensorBaseES9_NS_15PhiloxCudaStateEEUliRaSB_SB_SB_RKfSD_SD_SD_E_aSC_jLin1ELin1ELi4ELi512ELi2EEEvNS0_6detail10TensorInfoIT0_T2_EENSG_IT1_SI_EESI_T_,comdat
	.globl	_ZN2at4cuda12_GLOBAL__N_121kernelPointwiseApply2IZNS_6native9templates4cuda28bernoulli_tensor_cuda_kernelIafEEvRKNS_10TensorBaseES9_NS_15PhiloxCudaStateEEUliRaSB_SB_SB_RKfSD_SD_SD_E_aSC_jLin1ELin1ELi4ELi512ELi2EEEvNS0_6detail10TensorInfoIT0_T2_EENSG_IT1_SI_EESI_T_ ; -- Begin function _ZN2at4cuda12_GLOBAL__N_121kernelPointwiseApply2IZNS_6native9templates4cuda28bernoulli_tensor_cuda_kernelIafEEvRKNS_10TensorBaseES9_NS_15PhiloxCudaStateEEUliRaSB_SB_SB_RKfSD_SD_SD_E_aSC_jLin1ELin1ELi4ELi512ELi2EEEvNS0_6detail10TensorInfoIT0_T2_EENSG_IT1_SI_EESI_T_
	.p2align	8
	.type	_ZN2at4cuda12_GLOBAL__N_121kernelPointwiseApply2IZNS_6native9templates4cuda28bernoulli_tensor_cuda_kernelIafEEvRKNS_10TensorBaseES9_NS_15PhiloxCudaStateEEUliRaSB_SB_SB_RKfSD_SD_SD_E_aSC_jLin1ELin1ELi4ELi512ELi2EEEvNS0_6detail10TensorInfoIT0_T2_EENSG_IT1_SI_EESI_T_,@function
_ZN2at4cuda12_GLOBAL__N_121kernelPointwiseApply2IZNS_6native9templates4cuda28bernoulli_tensor_cuda_kernelIafEEvRKNS_10TensorBaseES9_NS_15PhiloxCudaStateEEUliRaSB_SB_SB_RKfSD_SD_SD_E_aSC_jLin1ELin1ELi4ELi512ELi2EEEvNS0_6detail10TensorInfoIT0_T2_EENSG_IT1_SI_EESI_T_: ; @_ZN2at4cuda12_GLOBAL__N_121kernelPointwiseApply2IZNS_6native9templates4cuda28bernoulli_tensor_cuda_kernelIafEEvRKNS_10TensorBaseES9_NS_15PhiloxCudaStateEEUliRaSB_SB_SB_RKfSD_SD_SD_E_aSC_jLin1ELin1ELi4ELi512ELi2EEEvNS0_6detail10TensorInfoIT0_T2_EENSG_IT1_SI_EESI_T_
; %bb.0:
	s_clause 0x1
	s_load_b32 s4, s[0:1], 0x1e4
	s_load_b32 s20, s[0:1], 0x1b0
	s_add_u32 s2, s0, 0x1d8
	s_addc_u32 s3, s1, 0
	s_waitcnt lgkmcnt(0)
	s_and_b32 s12, s4, 0xffff
	s_mov_b32 s4, exec_lo
	v_mad_u64_u32 v[1:2], null, s15, s12, v[0:1]
	s_delay_alu instid0(VALU_DEP_1) | instskip(NEXT) | instid1(VALU_DEP_1)
	v_lshlrev_b32_e32 v30, 2, v1
	v_cmpx_gt_u32_e64 s20, v30
	s_cbranch_execz .LBB30_93
; %bb.1:
	s_clause 0x2
	s_load_b32 s16, s[0:1], 0xd0
	s_load_b32 s17, s[0:1], 0x1a8
	;; [unrolled: 1-line block ×4, first 2 shown]
	s_clause 0x1
	s_load_b64 s[2:3], s[0:1], 0x1c8
	s_load_b128 s[4:7], s[0:1], 0x1b8
	s_add_u32 s18, s0, 0xd8
	s_addc_u32 s19, s1, 0
	s_clause 0x3
	s_load_b32 s21, s[0:1], 0x144
	s_load_b64 s[8:9], s[0:1], 0xd8
	s_load_b32 s22, s[0:1], 0x6c
	s_load_b64 s[10:11], s[0:1], 0x0
	s_mov_b32 s13, 0
	v_mad_u64_u32 v[2:3], null, 0xcd9e8d57, v1, 0
	v_mov_b32_e32 v4, 0
                                        ; implicit-def: $sgpr29
                                        ; implicit-def: $sgpr31
                                        ; implicit-def: $sgpr30
                                        ; implicit-def: $sgpr33
                                        ; implicit-def: $sgpr35
                                        ; implicit-def: $sgpr34
                                        ; implicit-def: $sgpr36
	s_delay_alu instid0(VALU_DEP_2)
	v_mov_b32_e32 v31, v3
	s_waitcnt lgkmcnt(0)
	s_cmp_gt_i32 s16, 1
	s_cselect_b32 s23, -1, 0
	s_cmp_gt_i32 s17, 1
	s_mul_i32 s15, s15, s12
	s_cselect_b32 s24, -1, 0
	s_bitcmp1_b32 s14, 0
	s_cselect_b32 s25, -1, 0
	s_add_i32 s12, s16, -1
	s_lshl_b32 s26, s15, 2
	s_lshl_b64 s[14:15], s[12:13], 2
	s_add_i32 s27, s16, 1
	s_add_u32 s0, s14, s0
	s_addc_u32 s1, s15, s1
	s_add_u32 s14, s0, 8
	s_addc_u32 s15, s1, 0
	s_add_i32 s12, s17, -1
	s_add_i32 s28, s17, 1
	s_lshl_b64 s[0:1], s[12:13], 2
                                        ; implicit-def: $sgpr12
	s_delay_alu instid0(SALU_CYCLE_1)
	s_add_u32 s0, s0, s18
	s_addc_u32 s1, s1, s19
	s_add_u32 s16, s0, 8
	s_addc_u32 s17, s1, 0
	s_branch .LBB30_3
.LBB30_2:                               ;   in Loop: Header=BB30_3 Depth=1
	s_or_b32 exec_lo, exec_lo, s1
	s_delay_alu instid0(SALU_CYCLE_1) | instskip(NEXT) | instid1(SALU_CYCLE_1)
	s_and_b32 s0, exec_lo, s0
	s_or_b32 s13, s0, s13
	s_and_not1_b32 s0, s12, exec_lo
	s_and_b32 s1, s36, exec_lo
	s_and_not1_b32 s18, s30, exec_lo
	s_and_b32 s19, s34, exec_lo
	s_or_b32 s12, s0, s1
	s_or_b32 s30, s18, s19
	s_and_not1_b32 s0, s31, exec_lo
	s_and_b32 s1, s35, exec_lo
	s_and_not1_b32 s18, s29, exec_lo
	s_and_b32 s19, s33, exec_lo
	s_or_b32 s31, s0, s1
	s_or_b32 s29, s18, s19
	s_and_not1_b32 exec_lo, exec_lo, s13
	s_cbranch_execz .LBB30_81
.LBB30_3:                               ; =>This Loop Header: Depth=1
                                        ;     Child Loop BB30_6 Depth 2
                                        ;     Child Loop BB30_11 Depth 2
	;; [unrolled: 1-line block ×8, first 2 shown]
	v_sub_nc_u32_e32 v32, s20, v30
	v_mov_b32_e32 v5, 0
	s_delay_alu instid0(VALU_DEP_2) | instskip(NEXT) | instid1(VALU_DEP_1)
	v_cmp_lt_i32_e64 s0, 0, v32
	s_and_saveexec_b32 s1, s0
	s_cbranch_execz .LBB30_8
; %bb.4:                                ;   in Loop: Header=BB30_3 Depth=1
	v_dual_mov_b32 v0, 0 :: v_dual_mov_b32 v3, v30
	s_and_not1_b32 vcc_lo, exec_lo, s23
	s_cbranch_vccnz .LBB30_7
; %bb.5:                                ;   in Loop: Header=BB30_3 Depth=1
	v_dual_mov_b32 v0, 0 :: v_dual_mov_b32 v3, v30
	s_mov_b64 s[18:19], s[14:15]
	s_mov_b32 s37, s27
	s_set_inst_prefetch_distance 0x1
	.p2align	6
.LBB30_6:                               ;   Parent Loop BB30_3 Depth=1
                                        ; =>  This Inner Loop Header: Depth=2
	s_clause 0x1
	s_load_b32 s38, s[18:19], 0x0
	s_load_b32 s39, s[18:19], 0x64
	v_mov_b32_e32 v7, v3
	s_add_i32 s37, s37, -1
	s_waitcnt lgkmcnt(0)
	v_cvt_f32_u32_e32 v5, s38
	s_sub_i32 s40, 0, s38
	s_add_u32 s18, s18, -4
	s_addc_u32 s19, s19, -1
	s_cmp_gt_u32 s37, 2
	v_rcp_iflag_f32_e32 v5, v5
	s_waitcnt_depctr 0xfff
	v_mul_f32_e32 v5, 0x4f7ffffe, v5
	s_delay_alu instid0(VALU_DEP_1) | instskip(NEXT) | instid1(VALU_DEP_1)
	v_cvt_u32_f32_e32 v5, v5
	v_mul_lo_u32 v6, s40, v5
	s_delay_alu instid0(VALU_DEP_1) | instskip(NEXT) | instid1(VALU_DEP_1)
	v_mul_hi_u32 v6, v5, v6
	v_add_nc_u32_e32 v3, v5, v6
	s_delay_alu instid0(VALU_DEP_1) | instskip(NEXT) | instid1(VALU_DEP_1)
	v_mul_hi_u32 v3, v7, v3
	v_add_nc_u32_e32 v6, 1, v3
	v_mul_lo_u32 v5, v3, s38
	s_delay_alu instid0(VALU_DEP_1) | instskip(NEXT) | instid1(VALU_DEP_1)
	v_sub_nc_u32_e32 v5, v7, v5
	v_subrev_nc_u32_e32 v8, s38, v5
	v_cmp_le_u32_e32 vcc_lo, s38, v5
	v_cndmask_b32_e32 v3, v3, v6, vcc_lo
	s_delay_alu instid0(VALU_DEP_1) | instskip(NEXT) | instid1(VALU_DEP_1)
	v_dual_cndmask_b32 v5, v5, v8 :: v_dual_add_nc_u32 v6, 1, v3
	v_cmp_le_u32_e32 vcc_lo, s38, v5
	s_delay_alu instid0(VALU_DEP_2) | instskip(NEXT) | instid1(VALU_DEP_1)
	v_cndmask_b32_e32 v3, v3, v6, vcc_lo
	v_mul_lo_u32 v5, v3, s38
	s_delay_alu instid0(VALU_DEP_1) | instskip(NEXT) | instid1(VALU_DEP_1)
	v_sub_nc_u32_e32 v7, v7, v5
	v_mad_u64_u32 v[5:6], null, s39, v7, v[0:1]
	s_delay_alu instid0(VALU_DEP_1)
	v_mov_b32_e32 v0, v5
	s_cbranch_scc1 .LBB30_6
.LBB30_7:                               ;   in Loop: Header=BB30_3 Depth=1
	s_set_inst_prefetch_distance 0x2
	s_delay_alu instid0(VALU_DEP_1)
	v_mad_u64_u32 v[5:6], null, s22, v3, v[0:1]
.LBB30_8:                               ;   in Loop: Header=BB30_3 Depth=1
	s_or_b32 exec_lo, exec_lo, s1
	v_mov_b32_e32 v6, 0
	s_and_saveexec_b32 s18, s0
	s_cbranch_execz .LBB30_13
; %bb.9:                                ;   in Loop: Header=BB30_3 Depth=1
	v_dual_mov_b32 v0, 0 :: v_dual_mov_b32 v3, v30
	s_and_not1_b32 vcc_lo, exec_lo, s24
	s_cbranch_vccnz .LBB30_12
; %bb.10:                               ;   in Loop: Header=BB30_3 Depth=1
	v_dual_mov_b32 v0, 0 :: v_dual_mov_b32 v3, v30
	s_mov_b64 s[0:1], s[16:17]
	s_mov_b32 s19, s28
	s_set_inst_prefetch_distance 0x1
	.p2align	6
.LBB30_11:                              ;   Parent Loop BB30_3 Depth=1
                                        ; =>  This Inner Loop Header: Depth=2
	s_clause 0x1
	s_load_b32 s37, s[0:1], 0x0
	s_load_b32 s38, s[0:1], 0x64
	s_add_i32 s19, s19, -1
	s_waitcnt lgkmcnt(0)
	v_cvt_f32_u32_e32 v6, s37
	s_sub_i32 s39, 0, s37
	s_add_u32 s0, s0, -4
	s_addc_u32 s1, s1, -1
	s_cmp_gt_u32 s19, 2
	v_rcp_iflag_f32_e32 v6, v6
	s_waitcnt_depctr 0xfff
	v_mul_f32_e32 v6, 0x4f7ffffe, v6
	s_delay_alu instid0(VALU_DEP_1) | instskip(NEXT) | instid1(VALU_DEP_1)
	v_cvt_u32_f32_e32 v6, v6
	v_mul_lo_u32 v7, s39, v6
	s_delay_alu instid0(VALU_DEP_1) | instskip(NEXT) | instid1(VALU_DEP_1)
	v_mul_hi_u32 v7, v6, v7
	v_dual_mov_b32 v8, v3 :: v_dual_add_nc_u32 v3, v6, v7
	s_delay_alu instid0(VALU_DEP_1) | instskip(NEXT) | instid1(VALU_DEP_1)
	v_mul_hi_u32 v3, v8, v3
	v_mul_lo_u32 v6, v3, s37
	v_add_nc_u32_e32 v7, 1, v3
	s_delay_alu instid0(VALU_DEP_2) | instskip(NEXT) | instid1(VALU_DEP_1)
	v_sub_nc_u32_e32 v6, v8, v6
	v_subrev_nc_u32_e32 v9, s37, v6
	v_cmp_le_u32_e32 vcc_lo, s37, v6
	s_delay_alu instid0(VALU_DEP_2) | instskip(NEXT) | instid1(VALU_DEP_1)
	v_dual_cndmask_b32 v3, v3, v7 :: v_dual_cndmask_b32 v6, v6, v9
	v_add_nc_u32_e32 v7, 1, v3
	s_delay_alu instid0(VALU_DEP_2) | instskip(NEXT) | instid1(VALU_DEP_2)
	v_cmp_le_u32_e32 vcc_lo, s37, v6
	v_cndmask_b32_e32 v3, v3, v7, vcc_lo
	s_delay_alu instid0(VALU_DEP_1) | instskip(NEXT) | instid1(VALU_DEP_1)
	v_mul_lo_u32 v6, v3, s37
	v_sub_nc_u32_e32 v8, v8, v6
	s_delay_alu instid0(VALU_DEP_1) | instskip(NEXT) | instid1(VALU_DEP_1)
	v_mad_u64_u32 v[6:7], null, s38, v8, v[0:1]
	v_mov_b32_e32 v0, v6
	s_cbranch_scc1 .LBB30_11
.LBB30_12:                              ;   in Loop: Header=BB30_3 Depth=1
	s_set_inst_prefetch_distance 0x2
	s_delay_alu instid0(VALU_DEP_1)
	v_mad_u64_u32 v[6:7], null, s21, v3, v[0:1]
.LBB30_13:                              ;   in Loop: Header=BB30_3 Depth=1
	s_or_b32 exec_lo, exec_lo, s18
	v_or_b32_e32 v9, 1, v30
	v_cmp_lt_i32_e64 s0, 1, v32
	v_mov_b32_e32 v7, 0
	s_delay_alu instid0(VALU_DEP_2)
	s_and_saveexec_b32 s1, s0
	s_cbranch_execz .LBB30_18
; %bb.14:                               ;   in Loop: Header=BB30_3 Depth=1
	v_dual_mov_b32 v0, 0 :: v_dual_mov_b32 v3, v9
	s_and_not1_b32 vcc_lo, exec_lo, s23
	s_cbranch_vccnz .LBB30_17
; %bb.15:                               ;   in Loop: Header=BB30_3 Depth=1
	v_dual_mov_b32 v0, 0 :: v_dual_mov_b32 v3, v9
	s_mov_b64 s[18:19], s[14:15]
	s_mov_b32 s37, s27
	s_set_inst_prefetch_distance 0x1
	.p2align	6
.LBB30_16:                              ;   Parent Loop BB30_3 Depth=1
                                        ; =>  This Inner Loop Header: Depth=2
	s_clause 0x1
	s_load_b32 s38, s[18:19], 0x0
	s_load_b32 s39, s[18:19], 0x64
	s_add_i32 s37, s37, -1
	v_mov_b32_e32 v10, v3
	s_waitcnt lgkmcnt(0)
	v_cvt_f32_u32_e32 v7, s38
	s_sub_i32 s40, 0, s38
	s_add_u32 s18, s18, -4
	s_addc_u32 s19, s19, -1
	s_cmp_gt_u32 s37, 2
	v_rcp_iflag_f32_e32 v7, v7
	s_waitcnt_depctr 0xfff
	v_mul_f32_e32 v7, 0x4f7ffffe, v7
	s_delay_alu instid0(VALU_DEP_1) | instskip(NEXT) | instid1(VALU_DEP_1)
	v_cvt_u32_f32_e32 v7, v7
	v_mul_lo_u32 v8, s40, v7
	s_delay_alu instid0(VALU_DEP_1) | instskip(NEXT) | instid1(VALU_DEP_1)
	v_mul_hi_u32 v8, v7, v8
	v_add_nc_u32_e32 v3, v7, v8
	s_delay_alu instid0(VALU_DEP_1) | instskip(NEXT) | instid1(VALU_DEP_1)
	v_mul_hi_u32 v3, v10, v3
	v_mul_lo_u32 v7, v3, s38
	v_add_nc_u32_e32 v8, 1, v3
	s_delay_alu instid0(VALU_DEP_2) | instskip(NEXT) | instid1(VALU_DEP_1)
	v_sub_nc_u32_e32 v7, v10, v7
	v_subrev_nc_u32_e32 v11, s38, v7
	v_cmp_le_u32_e32 vcc_lo, s38, v7
	s_delay_alu instid0(VALU_DEP_4) | instskip(NEXT) | instid1(VALU_DEP_3)
	v_cndmask_b32_e32 v3, v3, v8, vcc_lo
	v_cndmask_b32_e32 v7, v7, v11, vcc_lo
	s_delay_alu instid0(VALU_DEP_2) | instskip(NEXT) | instid1(VALU_DEP_2)
	v_add_nc_u32_e32 v8, 1, v3
	v_cmp_le_u32_e32 vcc_lo, s38, v7
	s_delay_alu instid0(VALU_DEP_2) | instskip(NEXT) | instid1(VALU_DEP_1)
	v_cndmask_b32_e32 v3, v3, v8, vcc_lo
	v_mul_lo_u32 v7, v3, s38
	s_delay_alu instid0(VALU_DEP_1) | instskip(NEXT) | instid1(VALU_DEP_1)
	v_sub_nc_u32_e32 v10, v10, v7
	v_mad_u64_u32 v[7:8], null, s39, v10, v[0:1]
	s_delay_alu instid0(VALU_DEP_1)
	v_mov_b32_e32 v0, v7
	s_cbranch_scc1 .LBB30_16
.LBB30_17:                              ;   in Loop: Header=BB30_3 Depth=1
	s_set_inst_prefetch_distance 0x2
	s_delay_alu instid0(VALU_DEP_1)
	v_mad_u64_u32 v[7:8], null, s22, v3, v[0:1]
.LBB30_18:                              ;   in Loop: Header=BB30_3 Depth=1
	s_or_b32 exec_lo, exec_lo, s1
	v_mov_b32_e32 v3, 0
	s_and_saveexec_b32 s18, s0
	s_cbranch_execz .LBB30_23
; %bb.19:                               ;   in Loop: Header=BB30_3 Depth=1
	v_mov_b32_e32 v0, 0
	s_and_not1_b32 vcc_lo, exec_lo, s24
	s_cbranch_vccnz .LBB30_22
; %bb.20:                               ;   in Loop: Header=BB30_3 Depth=1
	v_mov_b32_e32 v0, 0
	s_mov_b64 s[0:1], s[16:17]
	s_mov_b32 s19, s28
	s_set_inst_prefetch_distance 0x1
	.p2align	6
.LBB30_21:                              ;   Parent Loop BB30_3 Depth=1
                                        ; =>  This Inner Loop Header: Depth=2
	s_clause 0x1
	s_load_b32 s37, s[0:1], 0x0
	s_load_b32 s38, s[0:1], 0x64
	s_add_i32 s19, s19, -1
	v_mov_b32_e32 v10, v9
	s_waitcnt lgkmcnt(0)
	v_cvt_f32_u32_e32 v3, s37
	s_sub_i32 s39, 0, s37
	s_add_u32 s0, s0, -4
	s_addc_u32 s1, s1, -1
	s_cmp_gt_u32 s19, 2
	v_rcp_iflag_f32_e32 v3, v3
	s_waitcnt_depctr 0xfff
	v_mul_f32_e32 v3, 0x4f7ffffe, v3
	s_delay_alu instid0(VALU_DEP_1) | instskip(NEXT) | instid1(VALU_DEP_1)
	v_cvt_u32_f32_e32 v3, v3
	v_mul_lo_u32 v8, s39, v3
	s_delay_alu instid0(VALU_DEP_1) | instskip(NEXT) | instid1(VALU_DEP_1)
	v_mul_hi_u32 v8, v3, v8
	v_add_nc_u32_e32 v3, v3, v8
	s_delay_alu instid0(VALU_DEP_1) | instskip(NEXT) | instid1(VALU_DEP_1)
	v_mul_hi_u32 v3, v10, v3
	v_mul_lo_u32 v8, v3, s37
	v_add_nc_u32_e32 v9, 1, v3
	s_delay_alu instid0(VALU_DEP_2) | instskip(NEXT) | instid1(VALU_DEP_1)
	v_sub_nc_u32_e32 v8, v10, v8
	v_subrev_nc_u32_e32 v11, s37, v8
	v_cmp_le_u32_e32 vcc_lo, s37, v8
	s_delay_alu instid0(VALU_DEP_2) | instskip(NEXT) | instid1(VALU_DEP_1)
	v_dual_cndmask_b32 v3, v3, v9 :: v_dual_cndmask_b32 v8, v8, v11
	v_add_nc_u32_e32 v9, 1, v3
	s_delay_alu instid0(VALU_DEP_2) | instskip(NEXT) | instid1(VALU_DEP_2)
	v_cmp_le_u32_e32 vcc_lo, s37, v8
	v_cndmask_b32_e32 v9, v3, v9, vcc_lo
	s_delay_alu instid0(VALU_DEP_1) | instskip(NEXT) | instid1(VALU_DEP_1)
	v_mul_lo_u32 v3, v9, s37
	v_sub_nc_u32_e32 v3, v10, v3
	s_delay_alu instid0(VALU_DEP_1) | instskip(NEXT) | instid1(VALU_DEP_1)
	v_mad_u64_u32 v[10:11], null, s38, v3, v[0:1]
	v_mov_b32_e32 v0, v10
	s_cbranch_scc1 .LBB30_21
.LBB30_22:                              ;   in Loop: Header=BB30_3 Depth=1
	s_set_inst_prefetch_distance 0x2
	s_delay_alu instid0(VALU_DEP_1) | instskip(NEXT) | instid1(VALU_DEP_1)
	v_mad_u64_u32 v[10:11], null, s21, v9, v[0:1]
	v_mov_b32_e32 v3, v10
.LBB30_23:                              ;   in Loop: Header=BB30_3 Depth=1
	s_or_b32 exec_lo, exec_lo, s18
	v_or_b32_e32 v11, 2, v30
	v_cmp_lt_i32_e64 s0, 2, v32
	v_mov_b32_e32 v8, 0
	s_delay_alu instid0(VALU_DEP_2)
	s_and_saveexec_b32 s1, s0
	s_cbranch_execz .LBB30_28
; %bb.24:                               ;   in Loop: Header=BB30_3 Depth=1
	v_mov_b32_e32 v0, 0
	v_mov_b32_e32 v10, v11
	s_and_not1_b32 vcc_lo, exec_lo, s23
	s_cbranch_vccnz .LBB30_27
; %bb.25:                               ;   in Loop: Header=BB30_3 Depth=1
	v_mov_b32_e32 v0, 0
	v_mov_b32_e32 v10, v11
	s_mov_b64 s[18:19], s[14:15]
	s_mov_b32 s37, s27
	s_set_inst_prefetch_distance 0x1
	.p2align	6
.LBB30_26:                              ;   Parent Loop BB30_3 Depth=1
                                        ; =>  This Inner Loop Header: Depth=2
	s_clause 0x1
	s_load_b32 s38, s[18:19], 0x0
	s_load_b32 s39, s[18:19], 0x64
	v_mov_b32_e32 v12, v10
	s_add_i32 s37, s37, -1
	s_waitcnt lgkmcnt(0)
	v_cvt_f32_u32_e32 v8, s38
	s_sub_i32 s40, 0, s38
	s_add_u32 s18, s18, -4
	s_addc_u32 s19, s19, -1
	s_cmp_gt_u32 s37, 2
	v_rcp_iflag_f32_e32 v8, v8
	s_waitcnt_depctr 0xfff
	v_mul_f32_e32 v8, 0x4f7ffffe, v8
	s_delay_alu instid0(VALU_DEP_1) | instskip(NEXT) | instid1(VALU_DEP_1)
	v_cvt_u32_f32_e32 v8, v8
	v_mul_lo_u32 v9, s40, v8
	s_delay_alu instid0(VALU_DEP_1) | instskip(NEXT) | instid1(VALU_DEP_1)
	v_mul_hi_u32 v9, v8, v9
	v_add_nc_u32_e32 v8, v8, v9
	s_delay_alu instid0(VALU_DEP_1) | instskip(NEXT) | instid1(VALU_DEP_1)
	v_mul_hi_u32 v8, v12, v8
	v_mul_lo_u32 v9, v8, s38
	v_add_nc_u32_e32 v10, 1, v8
	s_delay_alu instid0(VALU_DEP_2) | instskip(NEXT) | instid1(VALU_DEP_1)
	v_sub_nc_u32_e32 v9, v12, v9
	v_subrev_nc_u32_e32 v13, s38, v9
	v_cmp_le_u32_e32 vcc_lo, s38, v9
	s_delay_alu instid0(VALU_DEP_2) | instskip(NEXT) | instid1(VALU_DEP_1)
	v_dual_cndmask_b32 v9, v9, v13 :: v_dual_cndmask_b32 v8, v8, v10
	v_cmp_le_u32_e32 vcc_lo, s38, v9
	s_delay_alu instid0(VALU_DEP_2) | instskip(NEXT) | instid1(VALU_DEP_1)
	v_add_nc_u32_e32 v10, 1, v8
	v_cndmask_b32_e32 v10, v8, v10, vcc_lo
	s_delay_alu instid0(VALU_DEP_1) | instskip(NEXT) | instid1(VALU_DEP_1)
	v_mul_lo_u32 v8, v10, s38
	v_sub_nc_u32_e32 v12, v12, v8
	s_delay_alu instid0(VALU_DEP_1) | instskip(NEXT) | instid1(VALU_DEP_1)
	v_mad_u64_u32 v[8:9], null, s39, v12, v[0:1]
	v_mov_b32_e32 v0, v8
	s_cbranch_scc1 .LBB30_26
.LBB30_27:                              ;   in Loop: Header=BB30_3 Depth=1
	s_set_inst_prefetch_distance 0x2
	s_delay_alu instid0(VALU_DEP_1)
	v_mad_u64_u32 v[8:9], null, s22, v10, v[0:1]
.LBB30_28:                              ;   in Loop: Header=BB30_3 Depth=1
	s_or_b32 exec_lo, exec_lo, s1
	v_mov_b32_e32 v9, 0
	v_mov_b32_e32 v10, 0
	s_and_saveexec_b32 s18, s0
	s_cbranch_execz .LBB30_33
; %bb.29:                               ;   in Loop: Header=BB30_3 Depth=1
	v_mov_b32_e32 v0, 0
	s_and_not1_b32 vcc_lo, exec_lo, s24
	s_cbranch_vccnz .LBB30_32
; %bb.30:                               ;   in Loop: Header=BB30_3 Depth=1
	v_mov_b32_e32 v0, 0
	s_mov_b64 s[0:1], s[16:17]
	s_mov_b32 s19, s28
	s_set_inst_prefetch_distance 0x1
	.p2align	6
.LBB30_31:                              ;   Parent Loop BB30_3 Depth=1
                                        ; =>  This Inner Loop Header: Depth=2
	s_clause 0x1
	s_load_b32 s37, s[0:1], 0x0
	s_load_b32 s38, s[0:1], 0x64
	s_add_i32 s19, s19, -1
	v_mov_b32_e32 v12, v11
	s_waitcnt lgkmcnt(0)
	v_cvt_f32_u32_e32 v9, s37
	s_sub_i32 s39, 0, s37
	s_add_u32 s0, s0, -4
	s_addc_u32 s1, s1, -1
	s_cmp_gt_u32 s19, 2
	v_rcp_iflag_f32_e32 v9, v9
	s_waitcnt_depctr 0xfff
	v_mul_f32_e32 v9, 0x4f7ffffe, v9
	s_delay_alu instid0(VALU_DEP_1) | instskip(NEXT) | instid1(VALU_DEP_1)
	v_cvt_u32_f32_e32 v9, v9
	v_mul_lo_u32 v10, s39, v9
	s_delay_alu instid0(VALU_DEP_1) | instskip(NEXT) | instid1(VALU_DEP_1)
	v_mul_hi_u32 v10, v9, v10
	v_add_nc_u32_e32 v9, v9, v10
	s_delay_alu instid0(VALU_DEP_1) | instskip(NEXT) | instid1(VALU_DEP_1)
	v_mul_hi_u32 v9, v12, v9
	v_mul_lo_u32 v10, v9, s37
	v_add_nc_u32_e32 v11, 1, v9
	s_delay_alu instid0(VALU_DEP_2) | instskip(NEXT) | instid1(VALU_DEP_1)
	v_sub_nc_u32_e32 v10, v12, v10
	v_subrev_nc_u32_e32 v13, s37, v10
	v_cmp_le_u32_e32 vcc_lo, s37, v10
	s_delay_alu instid0(VALU_DEP_2) | instskip(NEXT) | instid1(VALU_DEP_1)
	v_dual_cndmask_b32 v9, v9, v11 :: v_dual_cndmask_b32 v10, v10, v13
	v_add_nc_u32_e32 v11, 1, v9
	s_delay_alu instid0(VALU_DEP_2) | instskip(NEXT) | instid1(VALU_DEP_2)
	v_cmp_le_u32_e32 vcc_lo, s37, v10
	v_cndmask_b32_e32 v11, v9, v11, vcc_lo
	s_delay_alu instid0(VALU_DEP_1) | instskip(NEXT) | instid1(VALU_DEP_1)
	v_mul_lo_u32 v9, v11, s37
	v_sub_nc_u32_e32 v12, v12, v9
	s_delay_alu instid0(VALU_DEP_1) | instskip(NEXT) | instid1(VALU_DEP_1)
	v_mad_u64_u32 v[9:10], null, s38, v12, v[0:1]
	v_mov_b32_e32 v0, v9
	s_cbranch_scc1 .LBB30_31
.LBB30_32:                              ;   in Loop: Header=BB30_3 Depth=1
	s_set_inst_prefetch_distance 0x2
	s_delay_alu instid0(VALU_DEP_1)
	v_mad_u64_u32 v[9:10], null, s21, v11, v[0:1]
	v_mov_b32_e32 v10, v4
.LBB30_33:                              ;   in Loop: Header=BB30_3 Depth=1
	s_or_b32 exec_lo, exec_lo, s18
	v_mov_b32_e32 v11, 0
	v_or_b32_e32 v15, 3, v30
	v_mov_b32_e32 v12, 0
	v_cmp_lt_i32_e64 s0, 3, v32
	s_delay_alu instid0(VALU_DEP_1)
	s_and_saveexec_b32 s1, s0
	s_cbranch_execz .LBB30_38
; %bb.34:                               ;   in Loop: Header=BB30_3 Depth=1
	v_dual_mov_b32 v0, 0 :: v_dual_mov_b32 v13, v15
	s_and_not1_b32 vcc_lo, exec_lo, s23
	s_cbranch_vccnz .LBB30_37
; %bb.35:                               ;   in Loop: Header=BB30_3 Depth=1
	v_dual_mov_b32 v0, 0 :: v_dual_mov_b32 v13, v15
	s_mov_b64 s[18:19], s[14:15]
	s_mov_b32 s37, s27
	s_set_inst_prefetch_distance 0x1
	.p2align	6
.LBB30_36:                              ;   Parent Loop BB30_3 Depth=1
                                        ; =>  This Inner Loop Header: Depth=2
	s_clause 0x1
	s_load_b32 s38, s[18:19], 0x0
	s_load_b32 s39, s[18:19], 0x64
	s_add_i32 s37, s37, -1
	v_mov_b32_e32 v14, v13
	s_waitcnt lgkmcnt(0)
	v_cvt_f32_u32_e32 v11, s38
	s_sub_i32 s40, 0, s38
	s_add_u32 s18, s18, -4
	s_addc_u32 s19, s19, -1
	s_cmp_gt_u32 s37, 2
	v_rcp_iflag_f32_e32 v11, v11
	s_waitcnt_depctr 0xfff
	v_mul_f32_e32 v11, 0x4f7ffffe, v11
	s_delay_alu instid0(VALU_DEP_1) | instskip(NEXT) | instid1(VALU_DEP_1)
	v_cvt_u32_f32_e32 v11, v11
	v_mul_lo_u32 v12, s40, v11
	s_delay_alu instid0(VALU_DEP_1) | instskip(NEXT) | instid1(VALU_DEP_1)
	v_mul_hi_u32 v12, v11, v12
	v_add_nc_u32_e32 v11, v11, v12
	s_delay_alu instid0(VALU_DEP_1) | instskip(NEXT) | instid1(VALU_DEP_1)
	v_mul_hi_u32 v11, v14, v11
	v_mul_lo_u32 v12, v11, s38
	s_delay_alu instid0(VALU_DEP_1) | instskip(NEXT) | instid1(VALU_DEP_1)
	v_sub_nc_u32_e32 v12, v14, v12
	v_subrev_nc_u32_e32 v16, s38, v12
	v_cmp_le_u32_e32 vcc_lo, s38, v12
	s_delay_alu instid0(VALU_DEP_2) | instskip(NEXT) | instid1(VALU_DEP_1)
	v_dual_cndmask_b32 v12, v12, v16 :: v_dual_add_nc_u32 v13, 1, v11
	v_cndmask_b32_e32 v11, v11, v13, vcc_lo
	s_delay_alu instid0(VALU_DEP_2) | instskip(NEXT) | instid1(VALU_DEP_2)
	v_cmp_le_u32_e32 vcc_lo, s38, v12
	v_add_nc_u32_e32 v13, 1, v11
	s_delay_alu instid0(VALU_DEP_1) | instskip(NEXT) | instid1(VALU_DEP_1)
	v_cndmask_b32_e32 v13, v11, v13, vcc_lo
	v_mul_lo_u32 v11, v13, s38
	s_delay_alu instid0(VALU_DEP_1) | instskip(NEXT) | instid1(VALU_DEP_1)
	v_sub_nc_u32_e32 v14, v14, v11
	v_mad_u64_u32 v[11:12], null, s39, v14, v[0:1]
	s_delay_alu instid0(VALU_DEP_1)
	v_mov_b32_e32 v0, v11
	s_cbranch_scc1 .LBB30_36
.LBB30_37:                              ;   in Loop: Header=BB30_3 Depth=1
	s_set_inst_prefetch_distance 0x2
	s_delay_alu instid0(VALU_DEP_1)
	v_mad_u64_u32 v[11:12], null, s22, v13, v[0:1]
	v_mov_b32_e32 v12, v4
.LBB30_38:                              ;   in Loop: Header=BB30_3 Depth=1
	s_or_b32 exec_lo, exec_lo, s1
	v_mov_b32_e32 v13, 0
	v_mov_b32_e32 v14, 0
	s_and_saveexec_b32 s18, s0
	s_cbranch_execz .LBB30_43
; %bb.39:                               ;   in Loop: Header=BB30_3 Depth=1
	v_mov_b32_e32 v0, 0
	s_and_not1_b32 vcc_lo, exec_lo, s24
	s_cbranch_vccnz .LBB30_42
; %bb.40:                               ;   in Loop: Header=BB30_3 Depth=1
	v_mov_b32_e32 v0, 0
	s_mov_b64 s[0:1], s[16:17]
	s_mov_b32 s19, s28
	s_set_inst_prefetch_distance 0x1
	.p2align	6
.LBB30_41:                              ;   Parent Loop BB30_3 Depth=1
                                        ; =>  This Inner Loop Header: Depth=2
	s_clause 0x1
	s_load_b32 s37, s[0:1], 0x0
	s_load_b32 s38, s[0:1], 0x64
	s_add_i32 s19, s19, -1
	v_mov_b32_e32 v16, v15
	s_waitcnt lgkmcnt(0)
	v_cvt_f32_u32_e32 v13, s37
	s_sub_i32 s39, 0, s37
	s_add_u32 s0, s0, -4
	s_addc_u32 s1, s1, -1
	s_cmp_gt_u32 s19, 2
	v_rcp_iflag_f32_e32 v13, v13
	s_waitcnt_depctr 0xfff
	v_mul_f32_e32 v13, 0x4f7ffffe, v13
	s_delay_alu instid0(VALU_DEP_1) | instskip(NEXT) | instid1(VALU_DEP_1)
	v_cvt_u32_f32_e32 v13, v13
	v_mul_lo_u32 v14, s39, v13
	s_delay_alu instid0(VALU_DEP_1) | instskip(NEXT) | instid1(VALU_DEP_1)
	v_mul_hi_u32 v14, v13, v14
	v_add_nc_u32_e32 v13, v13, v14
	s_delay_alu instid0(VALU_DEP_1) | instskip(NEXT) | instid1(VALU_DEP_1)
	v_mul_hi_u32 v13, v16, v13
	v_mul_lo_u32 v14, v13, s37
	v_add_nc_u32_e32 v15, 1, v13
	s_delay_alu instid0(VALU_DEP_2) | instskip(NEXT) | instid1(VALU_DEP_1)
	v_sub_nc_u32_e32 v14, v16, v14
	v_subrev_nc_u32_e32 v17, s37, v14
	v_cmp_le_u32_e32 vcc_lo, s37, v14
	s_delay_alu instid0(VALU_DEP_2) | instskip(NEXT) | instid1(VALU_DEP_1)
	v_dual_cndmask_b32 v13, v13, v15 :: v_dual_cndmask_b32 v14, v14, v17
	v_add_nc_u32_e32 v15, 1, v13
	s_delay_alu instid0(VALU_DEP_2) | instskip(NEXT) | instid1(VALU_DEP_2)
	v_cmp_le_u32_e32 vcc_lo, s37, v14
	v_cndmask_b32_e32 v15, v13, v15, vcc_lo
	s_delay_alu instid0(VALU_DEP_1) | instskip(NEXT) | instid1(VALU_DEP_1)
	v_mul_lo_u32 v13, v15, s37
	v_sub_nc_u32_e32 v16, v16, v13
	s_delay_alu instid0(VALU_DEP_1) | instskip(NEXT) | instid1(VALU_DEP_1)
	v_mad_u64_u32 v[13:14], null, s38, v16, v[0:1]
	v_mov_b32_e32 v0, v13
	s_cbranch_scc1 .LBB30_41
.LBB30_42:                              ;   in Loop: Header=BB30_3 Depth=1
	s_set_inst_prefetch_distance 0x2
	s_delay_alu instid0(VALU_DEP_1)
	v_mad_u64_u32 v[13:14], null, s21, v15, v[0:1]
	v_mov_b32_e32 v14, v4
.LBB30_43:                              ;   in Loop: Header=BB30_3 Depth=1
	s_or_b32 exec_lo, exec_lo, s18
	s_delay_alu instid0(VALU_DEP_1) | instskip(SKIP_2) | instid1(VALU_DEP_3)
	v_lshlrev_b64 v[13:14], 2, v[13:14]
	v_dual_mov_b32 v18, s7 :: v_dual_mov_b32 v17, s6
	v_dual_mov_b32 v20, s5 :: v_dual_mov_b32 v19, s4
	v_add_co_u32 v13, vcc_lo, s8, v13
	s_delay_alu instid0(VALU_DEP_4)
	v_add_co_ci_u32_e32 v14, vcc_lo, s9, v14, vcc_lo
	s_and_not1_b32 vcc_lo, exec_lo, s25
	global_load_b32 v0, v[13:14], off
	s_cbranch_vccnz .LBB30_45
; %bb.44:                               ;   in Loop: Header=BB30_3 Depth=1
	v_dual_mov_b32 v14, s7 :: v_dual_mov_b32 v13, s6
	v_dual_mov_b32 v16, s5 :: v_dual_mov_b32 v15, s4
	flat_load_b64 v[13:14], v[13:14]
	flat_load_b64 v[19:20], v[15:16]
	s_waitcnt vmcnt(1) lgkmcnt(1)
	v_add_co_u32 v17, vcc_lo, v13, s2
	v_add_co_ci_u32_e32 v18, vcc_lo, s3, v14, vcc_lo
.LBB30_45:                              ;   in Loop: Header=BB30_3 Depth=1
	s_delay_alu instid0(VALU_DEP_1)
	v_alignbit_b32 v16, v18, v17, 2
	v_lshrrev_b32_e32 v15, 2, v18
	s_waitcnt vmcnt(0) lgkmcnt(0)
	v_add_nc_u32_e32 v33, 0x9e3779b9, v19
	v_add_nc_u32_e32 v35, 0x76cf5d0a, v20
	;; [unrolled: 1-line block ×3, first 2 shown]
	v_add_co_u32 v18, vcc_lo, v16, 1
	s_delay_alu instid0(VALU_DEP_1) | instskip(SKIP_4) | instid1(VALU_DEP_4)
	v_cndmask_b32_e64 v13, 0, 1, vcc_lo
	v_add_co_ci_u32_e32 v27, vcc_lo, 0, v15, vcc_lo
	v_xor3_b32 v23, v31, v19, v15
	v_add_nc_u32_e32 v37, 0x32370b8f, v20
	v_add_nc_u32_e32 v38, 0xed9eba14, v20
	v_cmp_eq_u32_e32 vcc_lo, 0, v27
	v_add_nc_u32_e32 v39, 0x1715609d, v19
	v_add_nc_u32_e32 v40, 0xa9066899, v20
	s_mov_b32 s0, exec_lo
	v_dual_cndmask_b32 v21, 0, v13 :: v_dual_add_nc_u32 v34, 0xbb67ae85, v20
	v_mad_u64_u32 v[13:14], null, 0xd2511f53, v18, 0
	s_delay_alu instid0(VALU_DEP_2) | instskip(NEXT) | instid1(VALU_DEP_2)
	v_add_nc_u32_e32 v18, v21, v1
	v_xor_b32_e32 v22, v14, v20
	s_delay_alu instid0(VALU_DEP_2) | instskip(SKIP_2) | instid1(VALU_DEP_1)
	v_cmp_eq_u32_e32 vcc_lo, 0, v18
	v_mad_u64_u32 v[14:15], null, 0xd2511f53, v16, 0
	v_cndmask_b32_e32 v21, 0, v21, vcc_lo
	v_xor_b32_e32 v16, v21, v22
	v_mad_u64_u32 v[21:22], null, 0xd2511f53, v23, 0
	v_mad_u64_u32 v[23:24], null, 0xcd9e8d57, v18, 0
	v_add_nc_u32_e32 v18, 0x3c6ef372, v19
	s_delay_alu instid0(VALU_DEP_4) | instskip(SKIP_2) | instid1(VALU_DEP_2)
	v_mad_u64_u32 v[25:26], null, 0xcd9e8d57, v16, 0
	v_xor_b32_e32 v16, v15, v20
	v_xor3_b32 v28, v34, v22, v14
	v_mad_u64_u32 v[14:15], null, 0xcd9e8d57, v16, 0
	v_xor3_b32 v16, v24, v19, v27
	v_xor3_b32 v24, v33, v26, v23
	s_delay_alu instid0(VALU_DEP_4) | instskip(NEXT) | instid1(VALU_DEP_3)
	v_mad_u64_u32 v[22:23], null, 0xcd9e8d57, v28, 0
	v_mad_u64_u32 v[26:27], null, 0xd2511f53, v16, 0
	s_delay_alu instid0(VALU_DEP_3) | instskip(SKIP_1) | instid1(VALU_DEP_4)
	v_mad_u64_u32 v[28:29], null, 0xd2511f53, v24, 0
	v_xor3_b32 v16, v2, v15, v33
	v_xor3_b32 v33, v18, v23, v14
	s_delay_alu instid0(VALU_DEP_4) | instskip(NEXT) | instid1(VALU_DEP_3)
	v_xor3_b32 v13, v34, v27, v13
	v_mad_u64_u32 v[14:15], null, 0xd2511f53, v16, 0
	v_xor3_b32 v16, v35, v29, v26
	s_delay_alu instid0(VALU_DEP_4) | instskip(NEXT) | instid1(VALU_DEP_4)
	v_mad_u64_u32 v[23:24], null, 0xd2511f53, v33, 0
	v_mad_u64_u32 v[26:27], null, 0xcd9e8d57, v13, 0
	s_delay_alu instid0(VALU_DEP_3) | instskip(SKIP_4) | instid1(VALU_DEP_4)
	v_mad_u64_u32 v[33:34], null, 0xcd9e8d57, v16, 0
	v_xor3_b32 v15, v35, v15, v21
	v_add_nc_u32_e32 v29, 0x78dde6e4, v19
	v_xor3_b32 v21, v37, v24, v14
	v_xor3_b32 v18, v18, v27, v25
	v_mad_u64_u32 v[13:14], null, 0xcd9e8d57, v15, 0
	v_xor3_b32 v34, v36, v34, v26
	s_delay_alu instid0(VALU_DEP_4) | instskip(NEXT) | instid1(VALU_DEP_4)
	v_mad_u64_u32 v[15:16], null, 0xcd9e8d57, v21, 0
	v_mad_u64_u32 v[24:25], null, 0xd2511f53, v18, 0
	s_delay_alu instid0(VALU_DEP_3) | instskip(SKIP_1) | instid1(VALU_DEP_4)
	v_mad_u64_u32 v[26:27], null, 0xd2511f53, v34, 0
	v_xor3_b32 v18, v36, v14, v22
	v_xor3_b32 v16, v29, v16, v13
	s_delay_alu instid0(VALU_DEP_2) | instskip(SKIP_2) | instid1(VALU_DEP_4)
	v_mad_u64_u32 v[13:14], null, 0xd2511f53, v18, 0
	v_xor3_b32 v18, v37, v25, v28
	v_xor3_b32 v24, v38, v27, v24
	v_mad_u64_u32 v[27:28], null, 0xd2511f53, v16, 0
	s_delay_alu instid0(VALU_DEP_3) | instskip(NEXT) | instid1(VALU_DEP_3)
	v_mad_u64_u32 v[21:22], null, 0xcd9e8d57, v18, 0
	v_mad_u64_u32 v[34:35], null, 0xcd9e8d57, v24, 0
	v_xor3_b32 v16, v38, v14, v23
	s_delay_alu instid0(VALU_DEP_4) | instskip(SKIP_2) | instid1(VALU_DEP_4)
	v_xor3_b32 v24, v40, v28, v13
	v_add_nc_u32_e32 v18, 0xb54cda56, v19
	v_add_nc_u32_e32 v23, 0x646e171e, v20
	v_mad_u64_u32 v[13:14], null, 0xcd9e8d57, v16, 0
	v_xor3_b32 v16, v29, v22, v33
	v_xor3_b32 v25, v39, v35, v21
	v_mad_u64_u32 v[35:36], null, 0xcd9e8d57, v24, 0
	v_add_nc_u32_e32 v29, 0x5384540f, v19
	s_delay_alu instid0(VALU_DEP_4) | instskip(NEXT) | instid1(VALU_DEP_4)
	v_mad_u64_u32 v[21:22], null, 0xd2511f53, v16, 0
	v_mad_u64_u32 v[37:38], null, 0xd2511f53, v25, 0
	v_xor3_b32 v15, v39, v14, v15
	v_xor3_b32 v16, v18, v36, v13
	v_add_nc_u32_e32 v39, 0x1fd5c5a3, v20
	v_add_co_u32 v33, null, 0xf1bbcdc8, v19
	v_xor3_b32 v24, v40, v22, v26
	v_xor3_b32 v26, v23, v38, v21
	v_mad_u64_u32 v[13:14], null, 0xd2511f53, v15, 0
	v_mad_u64_u32 v[21:22], null, 0xd2511f53, v16, 0
	s_delay_alu instid0(VALU_DEP_4) | instskip(NEXT) | instid1(VALU_DEP_4)
	v_mad_u64_u32 v[15:16], null, 0xcd9e8d57, v24, 0
	v_mad_u64_u32 v[24:25], null, 0xcd9e8d57, v26, 0
	s_delay_alu instid0(VALU_DEP_4) | instskip(NEXT) | instid1(VALU_DEP_4)
	v_xor3_b32 v23, v23, v14, v27
	v_xor3_b32 v26, v39, v22, v13
	s_delay_alu instid0(VALU_DEP_4) | instskip(NEXT) | instid1(VALU_DEP_3)
	v_xor3_b32 v18, v18, v16, v34
	v_mad_u64_u32 v[13:14], null, 0xcd9e8d57, v23, 0
	v_xor3_b32 v25, v29, v25, v15
	s_delay_alu instid0(VALU_DEP_4) | instskip(NEXT) | instid1(VALU_DEP_4)
	v_mad_u64_u32 v[22:23], null, 0xcd9e8d57, v26, 0
	v_mad_u64_u32 v[15:16], null, 0xd2511f53, v18, 0
	s_delay_alu instid0(VALU_DEP_3)
	v_mad_u64_u32 v[27:28], null, 0xd2511f53, v25, 0
	v_add_nc_u32_e32 v34, 0xdb3d7428, v20
	v_xor3_b32 v14, v29, v14, v35
	v_xor3_b32 v18, v33, v23, v13
	v_add_nc_u32_e32 v35, 0x96a522ad, v20
	v_xor3_b32 v16, v39, v16, v37
	v_and_b32_e32 v20, 3, v17
	v_xor3_b32 v23, v34, v28, v15
	v_mad_u64_u32 v[25:26], null, 0xd2511f53, v14, 0
	v_mad_u64_u32 v[13:14], null, 0xd2511f53, v18, 0
	;; [unrolled: 1-line block ×3, first 2 shown]
	s_delay_alu instid0(VALU_DEP_4) | instskip(SKIP_1) | instid1(VALU_DEP_4)
	v_mad_u64_u32 v[15:16], null, 0xcd9e8d57, v23, 0
	v_add_nc_u32_e32 v23, 0x8ff34781, v19
                                        ; implicit-def: $vgpr18
	v_xor3_b32 v19, v14, v25, v35
	s_delay_alu instid0(VALU_DEP_2)
	v_xor3_b32 v14, v16, v28, v23
	v_cmpx_lt_i32_e32 1, v20
	s_xor_b32 s0, exec_lo, s0
	s_cbranch_execz .LBB30_51
; %bb.46:                               ;   in Loop: Header=BB30_3 Depth=1
	s_mov_b32 s1, exec_lo
                                        ; implicit-def: $vgpr18
	v_cmpx_lt_i32_e32 2, v20
	s_xor_b32 s1, exec_lo, s1
; %bb.47:                               ;   in Loop: Header=BB30_3 Depth=1
	v_xor3_b32 v16, v33, v29, v24
                                        ; implicit-def: $vgpr19
	s_delay_alu instid0(VALU_DEP_1) | instskip(NEXT) | instid1(VALU_DEP_1)
	v_mul_hi_u32 v16, 0xd2511f53, v16
	v_xor3_b32 v18, v16, v27, v35
; %bb.48:                               ;   in Loop: Header=BB30_3 Depth=1
	s_and_not1_saveexec_b32 s1, s1
; %bb.49:                               ;   in Loop: Header=BB30_3 Depth=1
	v_dual_mov_b32 v18, v15 :: v_dual_mov_b32 v15, v14
	v_dual_mov_b32 v14, v13 :: v_dual_mov_b32 v13, v19
; %bb.50:                               ;   in Loop: Header=BB30_3 Depth=1
	s_or_b32 exec_lo, exec_lo, s1
                                        ; implicit-def: $vgpr21_vgpr22
                                        ; implicit-def: $vgpr20
                                        ; implicit-def: $vgpr19
                                        ; implicit-def: $vgpr34
                                        ; implicit-def: $vgpr25_vgpr26
                                        ; implicit-def: $vgpr22_vgpr23
                                        ; implicit-def: $vgpr23
.LBB30_51:                              ;   in Loop: Header=BB30_3 Depth=1
	s_and_not1_saveexec_b32 s0, s0
	s_cbranch_execz .LBB30_55
; %bb.52:                               ;   in Loop: Header=BB30_3 Depth=1
	v_xor3_b32 v15, v34, v26, v21
	v_cmp_eq_u32_e32 vcc_lo, 1, v20
	v_mov_b32_e32 v18, v13
	s_delay_alu instid0(VALU_DEP_3) | instskip(SKIP_1) | instid1(VALU_DEP_2)
	v_mad_u64_u32 v[16:17], null, 0xcd9e8d57, v15, 0
	v_mov_b32_e32 v15, v19
	v_xor3_b32 v20, v17, v22, v23
	s_delay_alu instid0(VALU_DEP_3)
	v_mov_b32_e32 v17, v16
	s_and_saveexec_b32 s1, vcc_lo
; %bb.53:                               ;   in Loop: Header=BB30_3 Depth=1
	v_dual_mov_b32 v18, v14 :: v_dual_mov_b32 v15, v13
	v_dual_mov_b32 v17, v19 :: v_dual_mov_b32 v20, v16
; %bb.54:                               ;   in Loop: Header=BB30_3 Depth=1
	s_or_b32 exec_lo, exec_lo, s1
	s_delay_alu instid0(VALU_DEP_1)
	v_dual_mov_b32 v13, v20 :: v_dual_mov_b32 v14, v17
.LBB30_55:                              ;   in Loop: Header=BB30_3 Depth=1
	s_or_b32 exec_lo, exec_lo, s0
	v_min_i32_e32 v16, 4, v32
	s_mov_b32 s1, 0
	s_mov_b32 s40, 0
	s_mov_b32 s18, 0
                                        ; implicit-def: $sgpr19
                                        ; implicit-def: $sgpr37
                                        ; implicit-def: $sgpr38
	s_mov_b32 s0, exec_lo
	v_cmpx_lt_i32_e32 2, v16
	s_xor_b32 s39, exec_lo, s0
	s_cbranch_execz .LBB30_67
; %bb.56:                               ;   in Loop: Header=BB30_3 Depth=1
	s_mov_b32 s0, -1
	s_mov_b32 s41, 0
	s_mov_b32 s37, exec_lo
                                        ; implicit-def: $sgpr18
                                        ; implicit-def: $sgpr19
	v_cmpx_lt_i32_e32 3, v16
	s_cbranch_execz .LBB30_62
; %bb.57:                               ;   in Loop: Header=BB30_3 Depth=1
	s_mov_b32 s0, 0
	s_mov_b32 s41, -1
	s_mov_b32 s38, exec_lo
                                        ; implicit-def: $sgpr18
                                        ; implicit-def: $sgpr19
	v_cmpx_eq_u32_e32 4, v16
	s_cbranch_execz .LBB30_61
; %bb.58:                               ;   in Loop: Header=BB30_3 Depth=1
	v_cmp_le_f32_e32 vcc_lo, 0, v0
	v_cmp_ge_f32_e64 s0, 1.0, v0
	s_mov_b32 s18, 0
	s_delay_alu instid0(VALU_DEP_1)
	s_and_b32 s41, vcc_lo, s0
	s_mov_b32 s0, 0
	s_and_saveexec_b32 s19, s41
	s_cbranch_execz .LBB30_60
; %bb.59:                               ;   in Loop: Header=BB30_3 Depth=1
	v_cvt_f32_u32_e32 v17, v18
	v_add_co_u32 v11, vcc_lo, s10, v11
	v_add_co_ci_u32_e32 v12, vcc_lo, s11, v12, vcc_lo
	s_delay_alu instid0(VALU_DEP_3) | instskip(SKIP_1) | instid1(VALU_DEP_1)
	v_fmaak_f32 v17, 0x2f800000, v17, 0x2f800000
	s_mov_b32 s0, exec_lo
	v_cmp_le_f32_e32 vcc_lo, v17, v0
	v_cndmask_b32_e64 v0, 0, 1, vcc_lo
	global_store_b8 v[11:12], v0, off
.LBB30_60:                              ;   in Loop: Header=BB30_3 Depth=1
	s_or_b32 exec_lo, exec_lo, s19
	s_mov_b32 s19, -1
	s_xor_b32 s41, exec_lo, -1
	s_and_b32 s0, s0, exec_lo
.LBB30_61:                              ;   in Loop: Header=BB30_3 Depth=1
	s_or_b32 exec_lo, exec_lo, s38
	s_delay_alu instid0(SALU_CYCLE_1)
	s_and_b32 s41, s41, exec_lo
	s_or_not1_b32 s0, s0, exec_lo
.LBB30_62:                              ;   in Loop: Header=BB30_3 Depth=1
	s_or_b32 exec_lo, exec_lo, s37
	s_mov_b32 s38, s18
	s_and_saveexec_b32 s37, s0
	s_cbranch_execz .LBB30_66
; %bb.63:                               ;   in Loop: Header=BB30_3 Depth=1
	v_lshlrev_b64 v[9:10], 2, v[9:10]
	s_delay_alu instid0(VALU_DEP_1) | instskip(NEXT) | instid1(VALU_DEP_2)
	v_add_co_u32 v9, vcc_lo, s8, v9
	v_add_co_ci_u32_e32 v10, vcc_lo, s9, v10, vcc_lo
	global_load_b32 v0, v[9:10], off
	s_waitcnt vmcnt(0)
	v_cmp_le_f32_e32 vcc_lo, 0, v0
	v_cmp_ge_f32_e64 s0, 1.0, v0
	s_delay_alu instid0(VALU_DEP_1) | instskip(SKIP_2) | instid1(SALU_CYCLE_1)
	s_and_b32 s38, vcc_lo, s0
	s_mov_b32 s0, 0
	s_and_saveexec_b32 s40, s38
	s_xor_b32 s38, exec_lo, s40
	s_cbranch_execz .LBB30_65
; %bb.64:                               ;   in Loop: Header=BB30_3 Depth=1
	v_cvt_f32_u32_e32 v9, v15
	s_mov_b32 s0, exec_lo
	s_delay_alu instid0(VALU_DEP_1) | instskip(NEXT) | instid1(VALU_DEP_1)
	v_fmaak_f32 v9, 0x2f800000, v9, 0x2f800000
	v_cmp_le_f32_e32 vcc_lo, v9, v0
	v_cndmask_b32_e64 v0, 0, 1, vcc_lo
	global_store_b8 v8, v0, s[10:11]
.LBB30_65:                              ;   in Loop: Header=BB30_3 Depth=1
	s_or_b32 exec_lo, exec_lo, s38
	s_delay_alu instid0(SALU_CYCLE_1)
	s_and_not1_b32 s38, s18, exec_lo
	s_or_b32 s18, s18, exec_lo
	s_and_not1_b32 s19, s19, exec_lo
	s_and_b32 s40, s0, exec_lo
.LBB30_66:                              ;   in Loop: Header=BB30_3 Depth=1
	s_or_b32 exec_lo, exec_lo, s37
	s_delay_alu instid0(SALU_CYCLE_1)
	s_and_b32 s38, s38, exec_lo
	s_and_b32 s37, s18, exec_lo
	;; [unrolled: 1-line block ×5, first 2 shown]
.LBB30_67:                              ;   in Loop: Header=BB30_3 Depth=1
	s_and_not1_saveexec_b32 s0, s39
; %bb.68:                               ;   in Loop: Header=BB30_3 Depth=1
	v_cmp_lt_i32_e32 vcc_lo, 1, v16
	s_and_not1_b32 s39, s40, exec_lo
	s_mov_b32 s1, exec_lo
	s_and_not1_b32 s38, s38, exec_lo
	s_and_not1_b32 s37, s37, exec_lo
	s_and_b32 s40, vcc_lo, exec_lo
	s_and_not1_b32 s19, s19, exec_lo
	s_or_b32 s40, s39, s40
; %bb.69:                               ;   in Loop: Header=BB30_3 Depth=1
	s_or_b32 exec_lo, exec_lo, s0
	s_mov_b32 s0, 0
	s_mov_b32 s39, s38
	s_and_saveexec_b32 s41, s40
	s_cbranch_execnz .LBB30_72
; %bb.70:                               ;   in Loop: Header=BB30_3 Depth=1
	s_or_b32 exec_lo, exec_lo, s41
	s_and_saveexec_b32 s40, s1
	s_cbranch_execnz .LBB30_75
.LBB30_71:                              ;   in Loop: Header=BB30_3 Depth=1
	s_or_b32 exec_lo, exec_lo, s40
	s_and_saveexec_b32 s1, s0
	s_cbranch_execnz .LBB30_76
	s_branch .LBB30_79
.LBB30_72:                              ;   in Loop: Header=BB30_3 Depth=1
	v_lshlrev_b64 v[8:9], 2, v[3:4]
	s_mov_b32 s40, 0
	s_delay_alu instid0(VALU_DEP_1) | instskip(NEXT) | instid1(VALU_DEP_2)
	v_add_co_u32 v8, vcc_lo, s8, v8
	v_add_co_ci_u32_e32 v9, vcc_lo, s9, v9, vcc_lo
	global_load_b32 v0, v[8:9], off
	s_waitcnt vmcnt(0)
	v_cmp_le_f32_e32 vcc_lo, 0, v0
	v_cmp_ge_f32_e64 s0, 1.0, v0
	s_delay_alu instid0(VALU_DEP_1) | instskip(NEXT) | instid1(SALU_CYCLE_1)
	s_and_b32 s0, vcc_lo, s0
	s_and_saveexec_b32 s39, s0
	s_delay_alu instid0(SALU_CYCLE_1)
	s_xor_b32 s0, exec_lo, s39
	s_cbranch_execz .LBB30_74
; %bb.73:                               ;   in Loop: Header=BB30_3 Depth=1
	v_cvt_f32_u32_e32 v3, v14
	s_mov_b32 s40, exec_lo
	s_delay_alu instid0(VALU_DEP_1) | instskip(NEXT) | instid1(VALU_DEP_1)
	v_fmaak_f32 v3, 0x2f800000, v3, 0x2f800000
	v_cmp_le_f32_e32 vcc_lo, v3, v0
	v_cndmask_b32_e64 v0, 0, 1, vcc_lo
	global_store_b8 v7, v0, s[10:11]
.LBB30_74:                              ;   in Loop: Header=BB30_3 Depth=1
	s_or_b32 exec_lo, exec_lo, s0
	s_delay_alu instid0(SALU_CYCLE_1)
	s_and_not1_b32 s39, s38, exec_lo
	s_or_b32 s38, s38, exec_lo
	s_and_not1_b32 s37, s37, exec_lo
	s_and_not1_b32 s19, s19, exec_lo
	s_and_b32 s0, s40, exec_lo
	s_and_not1_b32 s1, s1, exec_lo
	s_or_b32 exec_lo, exec_lo, s41
	s_and_saveexec_b32 s40, s1
	s_cbranch_execz .LBB30_71
.LBB30_75:                              ;   in Loop: Header=BB30_3 Depth=1
	v_cmp_eq_u32_e32 vcc_lo, 1, v16
	s_and_not1_b32 s0, s0, exec_lo
	s_and_not1_b32 s39, s39, exec_lo
	;; [unrolled: 1-line block ×4, first 2 shown]
	s_and_b32 s1, vcc_lo, exec_lo
	s_and_not1_b32 s19, s19, exec_lo
	s_or_b32 s18, s18, exec_lo
	s_or_b32 s0, s0, s1
	s_or_b32 exec_lo, exec_lo, s40
	s_and_saveexec_b32 s1, s0
	s_cbranch_execz .LBB30_79
.LBB30_76:                              ;   in Loop: Header=BB30_3 Depth=1
	v_mov_b32_e32 v7, v4
	s_mov_b32 s40, 0
	s_delay_alu instid0(VALU_DEP_1) | instskip(NEXT) | instid1(VALU_DEP_1)
	v_lshlrev_b64 v[6:7], 2, v[6:7]
	v_add_co_u32 v6, vcc_lo, s8, v6
	s_delay_alu instid0(VALU_DEP_2) | instskip(SKIP_4) | instid1(VALU_DEP_1)
	v_add_co_ci_u32_e32 v7, vcc_lo, s9, v7, vcc_lo
	global_load_b32 v0, v[6:7], off
	s_waitcnt vmcnt(0)
	v_cmp_le_f32_e32 vcc_lo, 0, v0
	v_cmp_ge_f32_e64 s0, 1.0, v0
	s_and_b32 s41, vcc_lo, s0
	s_delay_alu instid0(SALU_CYCLE_1)
	s_and_saveexec_b32 s0, s41
	s_cbranch_execz .LBB30_78
; %bb.77:                               ;   in Loop: Header=BB30_3 Depth=1
	v_cvt_f32_u32_e32 v3, v13
	s_mov_b32 s40, exec_lo
	s_delay_alu instid0(VALU_DEP_1) | instskip(NEXT) | instid1(VALU_DEP_1)
	v_fmaak_f32 v3, 0x2f800000, v3, 0x2f800000
	v_cmp_le_f32_e32 vcc_lo, v3, v0
	v_cndmask_b32_e64 v0, 0, 1, vcc_lo
	global_store_b8 v5, v0, s[10:11]
.LBB30_78:                              ;   in Loop: Header=BB30_3 Depth=1
	s_or_b32 exec_lo, exec_lo, s0
	s_delay_alu instid0(SALU_CYCLE_1)
	s_and_not1_b32 s0, s18, exec_lo
	s_and_b32 s18, s40, exec_lo
	s_or_b32 s39, s39, exec_lo
	s_and_not1_b32 s38, s38, exec_lo
	s_and_not1_b32 s37, s37, exec_lo
	s_and_not1_b32 s19, s19, exec_lo
	s_or_b32 s18, s0, s18
.LBB30_79:                              ;   in Loop: Header=BB30_3 Depth=1
	s_or_b32 exec_lo, exec_lo, s1
	s_delay_alu instid0(SALU_CYCLE_1)
	s_and_not1_b32 s1, s36, exec_lo
	s_and_b32 s36, s39, exec_lo
	s_and_not1_b32 s34, s34, exec_lo
	s_and_b32 s38, s38, exec_lo
	s_or_b32 s36, s1, s36
	s_and_not1_b32 s1, s35, exec_lo
	s_and_b32 s35, s37, exec_lo
	s_and_not1_b32 s33, s33, exec_lo
	s_and_b32 s19, s19, exec_lo
	s_mov_b32 s0, -1
	s_or_b32 s34, s34, s38
	s_or_b32 s35, s1, s35
	;; [unrolled: 1-line block ×3, first 2 shown]
	s_and_saveexec_b32 s1, s18
	s_cbranch_execz .LBB30_2
; %bb.80:                               ;   in Loop: Header=BB30_3 Depth=1
	v_add_nc_u32_e32 v30, s26, v30
	s_and_not1_b32 s36, s36, exec_lo
	s_and_not1_b32 s34, s34, exec_lo
	;; [unrolled: 1-line block ×4, first 2 shown]
	v_cmp_le_u32_e32 vcc_lo, s20, v30
	s_or_not1_b32 s0, vcc_lo, exec_lo
	s_branch .LBB30_2
.LBB30_81:
	s_or_b32 exec_lo, exec_lo, s13
	s_xor_b32 s3, s30, -1
	s_xor_b32 s4, s31, -1
	s_xor_b32 s0, s29, -1
	s_mov_b32 s1, 0
	s_and_saveexec_b32 s2, s0
	s_delay_alu instid0(SALU_CYCLE_1)
	s_xor_b32 s0, exec_lo, s2
	s_cbranch_execz .LBB30_90
; %bb.82:
	s_mov_b32 s2, 0
	s_and_saveexec_b32 s1, s4
	s_delay_alu instid0(SALU_CYCLE_1)
	s_xor_b32 s1, exec_lo, s1
	s_cbranch_execz .LBB30_88
; %bb.83:
	s_and_saveexec_b32 s4, s3
	s_delay_alu instid0(SALU_CYCLE_1)
	s_xor_b32 s3, exec_lo, s4
	s_cbranch_execz .LBB30_86
; %bb.84:
	s_and_saveexec_b32 s4, s12
	s_delay_alu instid0(SALU_CYCLE_1)
	s_xor_b32 s4, exec_lo, s4
	s_cbranch_execnz .LBB30_104
.LBB30_85:
	s_or_b32 exec_lo, exec_lo, s4
	s_delay_alu instid0(SALU_CYCLE_1)
	s_and_b32 s2, s2, exec_lo
.LBB30_86:
	s_and_not1_saveexec_b32 s3, s3
	s_cbranch_execnz .LBB30_100
.LBB30_87:
	s_or_b32 exec_lo, exec_lo, s3
	s_delay_alu instid0(SALU_CYCLE_1)
	s_and_b32 s2, s2, exec_lo
.LBB30_88:
	s_and_not1_saveexec_b32 s1, s1
	s_cbranch_execnz .LBB30_96
.LBB30_89:
	s_or_b32 exec_lo, exec_lo, s1
	s_delay_alu instid0(SALU_CYCLE_1)
	s_and_b32 s1, s2, exec_lo
.LBB30_90:
	s_and_not1_saveexec_b32 s0, s0
	s_cbranch_execnz .LBB30_94
; %bb.91:
	s_or_b32 exec_lo, exec_lo, s0
	s_delay_alu instid0(SALU_CYCLE_1)
	s_and_b32 exec_lo, exec_lo, s1
.LBB30_92:
	; divergent unreachable
.LBB30_93:
	s_nop 0
	s_sendmsg sendmsg(MSG_DEALLOC_VGPRS)
	s_endpgm
.LBB30_94:
	s_cbranch_execnz .LBB30_98
; %bb.95:
	s_or_b32 s1, s1, exec_lo
	s_or_b32 exec_lo, exec_lo, s0
	s_delay_alu instid0(SALU_CYCLE_1)
	s_and_b32 exec_lo, exec_lo, s1
	s_cbranch_execnz .LBB30_92
	s_branch .LBB30_93
.LBB30_96:
	s_cbranch_execnz .LBB30_102
; %bb.97:
	s_or_b32 s2, s2, exec_lo
	s_branch .LBB30_89
.LBB30_98:
	s_trap 2
	s_sendmsg_rtn_b32 s0, sendmsg(MSG_RTN_GET_DOORBELL)
	s_mov_b32 ttmp2, m0
	s_waitcnt lgkmcnt(0)
	s_and_b32 s0, s0, 0x3ff
	s_delay_alu instid0(SALU_CYCLE_1) | instskip(NEXT) | instid1(SALU_CYCLE_1)
	s_bitset1_b32 s0, 10
	s_mov_b32 m0, s0
	s_sendmsg sendmsg(MSG_INTERRUPT)
	s_mov_b32 m0, ttmp2
.LBB30_99:                              ; =>This Inner Loop Header: Depth=1
	s_sethalt 5
	s_branch .LBB30_99
.LBB30_100:
	s_cbranch_execnz .LBB30_106
; %bb.101:
	s_or_b32 s2, s2, exec_lo
	s_branch .LBB30_87
.LBB30_102:
	s_trap 2
	s_sendmsg_rtn_b32 s0, sendmsg(MSG_RTN_GET_DOORBELL)
	s_mov_b32 ttmp2, m0
	s_waitcnt lgkmcnt(0)
	s_and_b32 s0, s0, 0x3ff
	s_delay_alu instid0(SALU_CYCLE_1) | instskip(NEXT) | instid1(SALU_CYCLE_1)
	s_bitset1_b32 s0, 10
	s_mov_b32 m0, s0
	s_sendmsg sendmsg(MSG_INTERRUPT)
	s_mov_b32 m0, ttmp2
.LBB30_103:                             ; =>This Inner Loop Header: Depth=1
	s_sethalt 5
	s_branch .LBB30_103
.LBB30_104:
	s_cbranch_execnz .LBB30_108
; %bb.105:
	s_mov_b32 s2, exec_lo
	s_branch .LBB30_85
.LBB30_106:
	s_trap 2
	s_sendmsg_rtn_b32 s0, sendmsg(MSG_RTN_GET_DOORBELL)
	s_mov_b32 ttmp2, m0
	s_waitcnt lgkmcnt(0)
	s_and_b32 s0, s0, 0x3ff
	s_delay_alu instid0(SALU_CYCLE_1) | instskip(NEXT) | instid1(SALU_CYCLE_1)
	s_bitset1_b32 s0, 10
	s_mov_b32 m0, s0
	s_sendmsg sendmsg(MSG_INTERRUPT)
	s_mov_b32 m0, ttmp2
.LBB30_107:                             ; =>This Inner Loop Header: Depth=1
	s_sethalt 5
	s_branch .LBB30_107
.LBB30_108:
	s_trap 2
	s_sendmsg_rtn_b32 s0, sendmsg(MSG_RTN_GET_DOORBELL)
	s_mov_b32 ttmp2, m0
	s_waitcnt lgkmcnt(0)
	s_and_b32 s0, s0, 0x3ff
	s_delay_alu instid0(SALU_CYCLE_1) | instskip(NEXT) | instid1(SALU_CYCLE_1)
	s_bitset1_b32 s0, 10
	s_mov_b32 m0, s0
	s_sendmsg sendmsg(MSG_INTERRUPT)
	s_mov_b32 m0, ttmp2
.LBB30_109:                             ; =>This Inner Loop Header: Depth=1
	s_sethalt 5
	s_branch .LBB30_109
	.section	.rodata,"a",@progbits
	.p2align	6, 0x0
	.amdhsa_kernel _ZN2at4cuda12_GLOBAL__N_121kernelPointwiseApply2IZNS_6native9templates4cuda28bernoulli_tensor_cuda_kernelIafEEvRKNS_10TensorBaseES9_NS_15PhiloxCudaStateEEUliRaSB_SB_SB_RKfSD_SD_SD_E_aSC_jLin1ELin1ELi4ELi512ELi2EEEvNS0_6detail10TensorInfoIT0_T2_EENSG_IT1_SI_EESI_T_
		.amdhsa_group_segment_fixed_size 0
		.amdhsa_private_segment_fixed_size 0
		.amdhsa_kernarg_size 728
		.amdhsa_user_sgpr_count 15
		.amdhsa_user_sgpr_dispatch_ptr 0
		.amdhsa_user_sgpr_queue_ptr 0
		.amdhsa_user_sgpr_kernarg_segment_ptr 1
		.amdhsa_user_sgpr_dispatch_id 0
		.amdhsa_user_sgpr_private_segment_size 0
		.amdhsa_wavefront_size32 1
		.amdhsa_uses_dynamic_stack 0
		.amdhsa_enable_private_segment 0
		.amdhsa_system_sgpr_workgroup_id_x 1
		.amdhsa_system_sgpr_workgroup_id_y 0
		.amdhsa_system_sgpr_workgroup_id_z 0
		.amdhsa_system_sgpr_workgroup_info 0
		.amdhsa_system_vgpr_workitem_id 0
		.amdhsa_next_free_vgpr 41
		.amdhsa_next_free_sgpr 42
		.amdhsa_reserve_vcc 1
		.amdhsa_float_round_mode_32 0
		.amdhsa_float_round_mode_16_64 0
		.amdhsa_float_denorm_mode_32 3
		.amdhsa_float_denorm_mode_16_64 3
		.amdhsa_dx10_clamp 1
		.amdhsa_ieee_mode 1
		.amdhsa_fp16_overflow 0
		.amdhsa_workgroup_processor_mode 1
		.amdhsa_memory_ordered 1
		.amdhsa_forward_progress 0
		.amdhsa_shared_vgpr_count 0
		.amdhsa_exception_fp_ieee_invalid_op 0
		.amdhsa_exception_fp_denorm_src 0
		.amdhsa_exception_fp_ieee_div_zero 0
		.amdhsa_exception_fp_ieee_overflow 0
		.amdhsa_exception_fp_ieee_underflow 0
		.amdhsa_exception_fp_ieee_inexact 0
		.amdhsa_exception_int_div_zero 0
	.end_amdhsa_kernel
	.section	.text._ZN2at4cuda12_GLOBAL__N_121kernelPointwiseApply2IZNS_6native9templates4cuda28bernoulli_tensor_cuda_kernelIafEEvRKNS_10TensorBaseES9_NS_15PhiloxCudaStateEEUliRaSB_SB_SB_RKfSD_SD_SD_E_aSC_jLin1ELin1ELi4ELi512ELi2EEEvNS0_6detail10TensorInfoIT0_T2_EENSG_IT1_SI_EESI_T_,"axG",@progbits,_ZN2at4cuda12_GLOBAL__N_121kernelPointwiseApply2IZNS_6native9templates4cuda28bernoulli_tensor_cuda_kernelIafEEvRKNS_10TensorBaseES9_NS_15PhiloxCudaStateEEUliRaSB_SB_SB_RKfSD_SD_SD_E_aSC_jLin1ELin1ELi4ELi512ELi2EEEvNS0_6detail10TensorInfoIT0_T2_EENSG_IT1_SI_EESI_T_,comdat
.Lfunc_end30:
	.size	_ZN2at4cuda12_GLOBAL__N_121kernelPointwiseApply2IZNS_6native9templates4cuda28bernoulli_tensor_cuda_kernelIafEEvRKNS_10TensorBaseES9_NS_15PhiloxCudaStateEEUliRaSB_SB_SB_RKfSD_SD_SD_E_aSC_jLin1ELin1ELi4ELi512ELi2EEEvNS0_6detail10TensorInfoIT0_T2_EENSG_IT1_SI_EESI_T_, .Lfunc_end30-_ZN2at4cuda12_GLOBAL__N_121kernelPointwiseApply2IZNS_6native9templates4cuda28bernoulli_tensor_cuda_kernelIafEEvRKNS_10TensorBaseES9_NS_15PhiloxCudaStateEEUliRaSB_SB_SB_RKfSD_SD_SD_E_aSC_jLin1ELin1ELi4ELi512ELi2EEEvNS0_6detail10TensorInfoIT0_T2_EENSG_IT1_SI_EESI_T_
                                        ; -- End function
	.section	.AMDGPU.csdata,"",@progbits
; Kernel info:
; codeLenInByte = 5312
; NumSgprs: 44
; NumVgprs: 41
; ScratchSize: 0
; MemoryBound: 0
; FloatMode: 240
; IeeeMode: 1
; LDSByteSize: 0 bytes/workgroup (compile time only)
; SGPRBlocks: 5
; VGPRBlocks: 5
; NumSGPRsForWavesPerEU: 44
; NumVGPRsForWavesPerEU: 41
; Occupancy: 16
; WaveLimiterHint : 1
; COMPUTE_PGM_RSRC2:SCRATCH_EN: 0
; COMPUTE_PGM_RSRC2:USER_SGPR: 15
; COMPUTE_PGM_RSRC2:TRAP_HANDLER: 0
; COMPUTE_PGM_RSRC2:TGID_X_EN: 1
; COMPUTE_PGM_RSRC2:TGID_Y_EN: 0
; COMPUTE_PGM_RSRC2:TGID_Z_EN: 0
; COMPUTE_PGM_RSRC2:TIDIG_COMP_CNT: 0
	.section	.text._ZN2at4cuda12_GLOBAL__N_121kernelPointwiseApply2IZNS_6native9templates4cuda28bernoulli_tensor_cuda_kernelIafEEvRKNS_10TensorBaseES9_NS_15PhiloxCudaStateEEUliRaSB_SB_SB_RKfSD_SD_SD_E_aSC_mLi1ELi1ELi4ELi512ELi2EEEvNS0_6detail10TensorInfoIT0_T2_EENSG_IT1_SI_EESI_T_,"axG",@progbits,_ZN2at4cuda12_GLOBAL__N_121kernelPointwiseApply2IZNS_6native9templates4cuda28bernoulli_tensor_cuda_kernelIafEEvRKNS_10TensorBaseES9_NS_15PhiloxCudaStateEEUliRaSB_SB_SB_RKfSD_SD_SD_E_aSC_mLi1ELi1ELi4ELi512ELi2EEEvNS0_6detail10TensorInfoIT0_T2_EENSG_IT1_SI_EESI_T_,comdat
	.globl	_ZN2at4cuda12_GLOBAL__N_121kernelPointwiseApply2IZNS_6native9templates4cuda28bernoulli_tensor_cuda_kernelIafEEvRKNS_10TensorBaseES9_NS_15PhiloxCudaStateEEUliRaSB_SB_SB_RKfSD_SD_SD_E_aSC_mLi1ELi1ELi4ELi512ELi2EEEvNS0_6detail10TensorInfoIT0_T2_EENSG_IT1_SI_EESI_T_ ; -- Begin function _ZN2at4cuda12_GLOBAL__N_121kernelPointwiseApply2IZNS_6native9templates4cuda28bernoulli_tensor_cuda_kernelIafEEvRKNS_10TensorBaseES9_NS_15PhiloxCudaStateEEUliRaSB_SB_SB_RKfSD_SD_SD_E_aSC_mLi1ELi1ELi4ELi512ELi2EEEvNS0_6detail10TensorInfoIT0_T2_EENSG_IT1_SI_EESI_T_
	.p2align	8
	.type	_ZN2at4cuda12_GLOBAL__N_121kernelPointwiseApply2IZNS_6native9templates4cuda28bernoulli_tensor_cuda_kernelIafEEvRKNS_10TensorBaseES9_NS_15PhiloxCudaStateEEUliRaSB_SB_SB_RKfSD_SD_SD_E_aSC_mLi1ELi1ELi4ELi512ELi2EEEvNS0_6detail10TensorInfoIT0_T2_EENSG_IT1_SI_EESI_T_,@function
_ZN2at4cuda12_GLOBAL__N_121kernelPointwiseApply2IZNS_6native9templates4cuda28bernoulli_tensor_cuda_kernelIafEEvRKNS_10TensorBaseES9_NS_15PhiloxCudaStateEEUliRaSB_SB_SB_RKfSD_SD_SD_E_aSC_mLi1ELi1ELi4ELi512ELi2EEEvNS0_6detail10TensorInfoIT0_T2_EENSG_IT1_SI_EESI_T_: ; @_ZN2at4cuda12_GLOBAL__N_121kernelPointwiseApply2IZNS_6native9templates4cuda28bernoulli_tensor_cuda_kernelIafEEvRKNS_10TensorBaseES9_NS_15PhiloxCudaStateEEUliRaSB_SB_SB_RKfSD_SD_SD_E_aSC_mLi1ELi1ELi4ELi512ELi2EEEvNS0_6detail10TensorInfoIT0_T2_EENSG_IT1_SI_EESI_T_
; %bb.0:
	s_clause 0x1
	s_load_b32 s12, s[0:1], 0x374
	s_load_b256 s[4:11], s[0:1], 0x340
	s_add_u32 s2, s0, 0x368
	s_addc_u32 s3, s1, 0
	v_mov_b32_e32 v3, 0
	s_waitcnt lgkmcnt(0)
	s_and_b32 s14, s12, 0xffff
	s_mov_b32 s12, exec_lo
	v_mad_u64_u32 v[1:2], null, s15, s14, v[0:1]
	s_delay_alu instid0(VALU_DEP_1) | instskip(NEXT) | instid1(VALU_DEP_1)
	v_lshlrev_b32_e32 v2, 2, v1
	v_cmpx_gt_u64_e64 s[4:5], v[2:3]
	s_cbranch_execz .LBB31_51
; %bb.1:
	s_load_b64 s[16:17], s[0:1], 0xd0
	s_load_b32 s15, s[2:3], 0x0
	s_clause 0x3
	s_load_b32 s19, s[0:1], 0x360
	s_load_b64 s[2:3], s[0:1], 0x0
	s_load_b64 s[12:13], s[0:1], 0x1a0
	;; [unrolled: 1-line block ×3, first 2 shown]
	v_mad_u64_u32 v[4:5], null, 0xcd9e8d57, v1, 0
	v_add_co_u32 v15, s20, v2, 2
	s_delay_alu instid0(VALU_DEP_1) | instskip(SKIP_1) | instid1(VALU_DEP_4)
	v_add_co_ci_u32_e64 v16, null, 0, 0, s20
	v_add_co_u32 v17, s20, v2, 3
	v_mov_b32_e32 v34, v5
	v_add_co_ci_u32_e64 v18, null, 0, 0, s20
	v_sub_nc_u32_e32 v0, s4, v2
	s_mov_b32 s18, 0
                                        ; implicit-def: $sgpr26
                                        ; implicit-def: $sgpr28
                                        ; implicit-def: $sgpr27
                                        ; implicit-def: $sgpr23
                                        ; implicit-def: $sgpr29
                                        ; implicit-def: $sgpr31
                                        ; implicit-def: $sgpr30
                                        ; implicit-def: $sgpr33
	s_waitcnt lgkmcnt(0)
	v_mad_u64_u32 v[5:6], null, s16, v2, 0
	v_mad_u64_u32 v[7:8], null, s16, v15, 0
	;; [unrolled: 1-line block ×4, first 2 shown]
	v_mul_lo_u32 v19, s17, v15
	v_mul_lo_u32 v20, s16, v16
	v_mad_u64_u32 v[13:14], null, s17, v2, v[6:7]
	v_mul_lo_u32 v21, s17, v17
	v_mul_lo_u32 v22, s16, v18
	;; [unrolled: 1-line block ×3, first 2 shown]
	s_mul_i32 s15, s15, s14
	s_bitcmp1_b32 s19, 0
	v_add3_u32 v8, v8, v20, v19
	v_mov_b32_e32 v6, v13
	v_mad_u64_u32 v[13:14], null, s1, v2, v[10:11]
	v_add3_u32 v12, v12, v22, v21
	v_mul_lo_u32 v19, s1, v15
	v_mul_lo_u32 v20, s0, v16
	;; [unrolled: 1-line block ×3, first 2 shown]
	v_add_co_u32 v10, vcc_lo, v5, s16
	v_mov_b32_e32 v36, v13
	v_mad_u64_u32 v[13:14], null, s0, v15, 0
	v_mad_u64_u32 v[15:16], null, s0, v17, 0
	s_cselect_b32 s19, -1, 0
	s_lshl_b32 s20, s15, 2
	v_add_co_ci_u32_e32 v35, vcc_lo, s17, v6, vcc_lo
	v_add_co_u32 v37, vcc_lo, v9, s0
	s_mul_i32 s14, s17, s20
	s_mul_hi_u32 s15, s16, s20
	v_add_co_ci_u32_e32 v38, vcc_lo, s1, v36, vcc_lo
	v_add3_u32 v14, v14, v20, v19
	v_add3_u32 v16, v16, v18, v21
	s_add_i32 s21, s15, s14
	s_mul_i32 s14, s1, s20
	s_mul_hi_u32 s15, s0, s20
	s_mul_i32 s22, s16, s20
	s_add_i32 s24, s15, s14
	s_mul_i32 s25, s0, s20
	s_mov_b64 s[14:15], 0
	s_mov_b64 s[16:17], 0
	s_branch .LBB31_3
.LBB31_2:                               ;   in Loop: Header=BB31_3 Depth=1
	s_or_b32 exec_lo, exec_lo, s1
	s_delay_alu instid0(SALU_CYCLE_1) | instskip(NEXT) | instid1(SALU_CYCLE_1)
	s_and_b32 s0, exec_lo, s0
	s_or_b32 s18, s0, s18
	s_and_not1_b32 s0, s23, exec_lo
	s_and_b32 s1, s33, exec_lo
	s_and_not1_b32 s27, s27, exec_lo
	s_and_b32 s34, s30, exec_lo
	s_or_b32 s23, s0, s1
	s_or_b32 s27, s27, s34
	s_and_not1_b32 s0, s28, exec_lo
	s_and_b32 s1, s31, exec_lo
	s_and_not1_b32 s26, s26, exec_lo
	s_and_b32 s34, s29, exec_lo
	s_or_b32 s28, s0, s1
	s_or_b32 s26, s26, s34
	s_and_not1_b32 exec_lo, exec_lo, s18
	s_cbranch_execz .LBB31_39
.LBB31_3:                               ; =>This Inner Loop Header: Depth=1
	v_add_co_u32 v17, vcc_lo, v15, s14
	v_add_co_ci_u32_e32 v18, vcc_lo, s15, v16, vcc_lo
	v_cmp_lt_i32_e64 s0, 3, v0
	v_dual_mov_b32 v22, s9 :: v_dual_mov_b32 v21, s8
	v_dual_mov_b32 v24, s7 :: v_dual_mov_b32 v23, s6
	s_delay_alu instid0(VALU_DEP_3) | instskip(SKIP_1) | instid1(VALU_DEP_1)
	v_cndmask_b32_e64 v18, 0, v18, s0
	v_cndmask_b32_e64 v17, 0, v17, s0
	v_lshlrev_b64 v[17:18], 2, v[17:18]
	s_delay_alu instid0(VALU_DEP_1) | instskip(NEXT) | instid1(VALU_DEP_2)
	v_add_co_u32 v17, vcc_lo, s12, v17
	v_add_co_ci_u32_e32 v18, vcc_lo, s13, v18, vcc_lo
	s_and_not1_b32 vcc_lo, exec_lo, s19
	global_load_b32 v39, v[17:18], off
	s_cbranch_vccnz .LBB31_5
; %bb.4:                                ;   in Loop: Header=BB31_3 Depth=1
	v_dual_mov_b32 v18, s9 :: v_dual_mov_b32 v17, s8
	v_dual_mov_b32 v20, s7 :: v_dual_mov_b32 v19, s6
	flat_load_b64 v[17:18], v[17:18]
	flat_load_b64 v[23:24], v[19:20]
	s_waitcnt vmcnt(1) lgkmcnt(1)
	v_add_co_u32 v21, vcc_lo, v17, s10
	v_add_co_ci_u32_e32 v22, vcc_lo, s11, v18, vcc_lo
.LBB31_5:                               ;   in Loop: Header=BB31_3 Depth=1
	s_delay_alu instid0(VALU_DEP_1)
	v_alignbit_b32 v20, v22, v21, 2
	v_lshrrev_b32_e32 v19, 2, v22
	s_waitcnt vmcnt(0) lgkmcnt(0)
	v_add_nc_u32_e32 v41, 0xbb67ae85, v24
	v_add_nc_u32_e32 v42, 0x76cf5d0a, v24
	;; [unrolled: 1-line block ×3, first 2 shown]
	v_add_co_u32 v22, vcc_lo, v20, 1
	s_delay_alu instid0(VALU_DEP_1) | instskip(SKIP_4) | instid1(VALU_DEP_4)
	v_cndmask_b32_e64 v17, 0, 1, vcc_lo
	v_add_co_ci_u32_e32 v31, vcc_lo, 0, v19, vcc_lo
	v_xor3_b32 v27, v34, v23, v19
	v_add_nc_u32_e32 v44, 0x32370b8f, v24
	v_add_nc_u32_e32 v45, 0xed9eba14, v24
	v_cmp_eq_u32_e32 vcc_lo, 0, v31
	v_add_nc_u32_e32 v46, 0x1715609d, v23
	v_add_nc_u32_e32 v47, 0xa9066899, v24
	s_mov_b32 s1, exec_lo
	v_dual_cndmask_b32 v25, 0, v17 :: v_dual_add_nc_u32 v40, 0x9e3779b9, v23
	v_mad_u64_u32 v[17:18], null, 0xd2511f53, v22, 0
	s_delay_alu instid0(VALU_DEP_2) | instskip(NEXT) | instid1(VALU_DEP_2)
	v_add_nc_u32_e32 v22, v25, v1
	v_xor_b32_e32 v26, v18, v24
	s_delay_alu instid0(VALU_DEP_2) | instskip(SKIP_2) | instid1(VALU_DEP_1)
	v_cmp_eq_u32_e32 vcc_lo, 0, v22
	v_mad_u64_u32 v[18:19], null, 0xd2511f53, v20, 0
	v_cndmask_b32_e32 v25, 0, v25, vcc_lo
	v_xor_b32_e32 v20, v25, v26
	v_mad_u64_u32 v[25:26], null, 0xd2511f53, v27, 0
	v_mad_u64_u32 v[27:28], null, 0xcd9e8d57, v22, 0
	v_add_nc_u32_e32 v22, 0x3c6ef372, v23
	s_delay_alu instid0(VALU_DEP_4) | instskip(SKIP_2) | instid1(VALU_DEP_2)
	v_mad_u64_u32 v[29:30], null, 0xcd9e8d57, v20, 0
	v_xor_b32_e32 v20, v19, v24
	v_xor3_b32 v32, v41, v26, v18
	v_mad_u64_u32 v[18:19], null, 0xcd9e8d57, v20, 0
	v_xor3_b32 v20, v28, v23, v31
	v_xor3_b32 v28, v40, v30, v27
	s_delay_alu instid0(VALU_DEP_4) | instskip(NEXT) | instid1(VALU_DEP_3)
	v_mad_u64_u32 v[26:27], null, 0xcd9e8d57, v32, 0
	v_mad_u64_u32 v[30:31], null, 0xd2511f53, v20, 0
	s_delay_alu instid0(VALU_DEP_3) | instskip(SKIP_1) | instid1(VALU_DEP_4)
	v_mad_u64_u32 v[32:33], null, 0xd2511f53, v28, 0
	v_xor3_b32 v20, v4, v19, v40
	v_xor3_b32 v40, v22, v27, v18
	s_delay_alu instid0(VALU_DEP_4) | instskip(NEXT) | instid1(VALU_DEP_3)
	v_xor3_b32 v17, v41, v31, v17
	v_mad_u64_u32 v[18:19], null, 0xd2511f53, v20, 0
	v_xor3_b32 v20, v42, v33, v30
	s_delay_alu instid0(VALU_DEP_4) | instskip(NEXT) | instid1(VALU_DEP_4)
	v_mad_u64_u32 v[27:28], null, 0xd2511f53, v40, 0
	v_mad_u64_u32 v[30:31], null, 0xcd9e8d57, v17, 0
	s_delay_alu instid0(VALU_DEP_3) | instskip(SKIP_4) | instid1(VALU_DEP_4)
	v_mad_u64_u32 v[40:41], null, 0xcd9e8d57, v20, 0
	v_xor3_b32 v19, v42, v19, v25
	v_add_nc_u32_e32 v33, 0x78dde6e4, v23
	v_xor3_b32 v25, v44, v28, v18
	v_xor3_b32 v22, v22, v31, v29
	v_mad_u64_u32 v[17:18], null, 0xcd9e8d57, v19, 0
	v_xor3_b32 v41, v43, v41, v30
	s_delay_alu instid0(VALU_DEP_4) | instskip(NEXT) | instid1(VALU_DEP_4)
	v_mad_u64_u32 v[19:20], null, 0xcd9e8d57, v25, 0
	v_mad_u64_u32 v[28:29], null, 0xd2511f53, v22, 0
	s_delay_alu instid0(VALU_DEP_3) | instskip(SKIP_1) | instid1(VALU_DEP_4)
	v_mad_u64_u32 v[30:31], null, 0xd2511f53, v41, 0
	v_xor3_b32 v22, v43, v18, v26
	v_xor3_b32 v20, v33, v20, v17
	s_delay_alu instid0(VALU_DEP_2) | instskip(SKIP_2) | instid1(VALU_DEP_4)
	v_mad_u64_u32 v[17:18], null, 0xd2511f53, v22, 0
	v_xor3_b32 v22, v44, v29, v32
	v_xor3_b32 v28, v45, v31, v28
	v_mad_u64_u32 v[31:32], null, 0xd2511f53, v20, 0
	s_delay_alu instid0(VALU_DEP_3) | instskip(NEXT) | instid1(VALU_DEP_3)
	v_mad_u64_u32 v[25:26], null, 0xcd9e8d57, v22, 0
	v_mad_u64_u32 v[41:42], null, 0xcd9e8d57, v28, 0
	v_xor3_b32 v20, v45, v18, v27
	s_delay_alu instid0(VALU_DEP_4) | instskip(SKIP_2) | instid1(VALU_DEP_4)
	v_xor3_b32 v28, v47, v32, v17
	v_add_nc_u32_e32 v22, 0xb54cda56, v23
	v_add_nc_u32_e32 v27, 0x646e171e, v24
	v_mad_u64_u32 v[17:18], null, 0xcd9e8d57, v20, 0
	v_xor3_b32 v20, v33, v26, v40
	v_xor3_b32 v29, v46, v42, v25
	v_mad_u64_u32 v[42:43], null, 0xcd9e8d57, v28, 0
	v_add_nc_u32_e32 v33, 0x5384540f, v23
	s_delay_alu instid0(VALU_DEP_4) | instskip(NEXT) | instid1(VALU_DEP_4)
	v_mad_u64_u32 v[25:26], null, 0xd2511f53, v20, 0
	v_mad_u64_u32 v[44:45], null, 0xd2511f53, v29, 0
	v_xor3_b32 v19, v46, v18, v19
	v_xor3_b32 v20, v22, v43, v17
	v_add_nc_u32_e32 v46, 0x1fd5c5a3, v24
	v_add_co_u32 v40, null, 0xf1bbcdc8, v23
	v_xor3_b32 v28, v47, v26, v30
	v_xor3_b32 v30, v27, v45, v25
	v_mad_u64_u32 v[17:18], null, 0xd2511f53, v19, 0
	v_mad_u64_u32 v[25:26], null, 0xd2511f53, v20, 0
	s_delay_alu instid0(VALU_DEP_4) | instskip(NEXT) | instid1(VALU_DEP_4)
	v_mad_u64_u32 v[19:20], null, 0xcd9e8d57, v28, 0
	v_mad_u64_u32 v[28:29], null, 0xcd9e8d57, v30, 0
	s_delay_alu instid0(VALU_DEP_4) | instskip(NEXT) | instid1(VALU_DEP_4)
	v_xor3_b32 v27, v27, v18, v31
	v_xor3_b32 v30, v46, v26, v17
	s_delay_alu instid0(VALU_DEP_4) | instskip(NEXT) | instid1(VALU_DEP_3)
	v_xor3_b32 v22, v22, v20, v41
	v_mad_u64_u32 v[17:18], null, 0xcd9e8d57, v27, 0
	v_xor3_b32 v29, v33, v29, v19
	s_delay_alu instid0(VALU_DEP_4) | instskip(NEXT) | instid1(VALU_DEP_4)
	v_mad_u64_u32 v[26:27], null, 0xcd9e8d57, v30, 0
	v_mad_u64_u32 v[19:20], null, 0xd2511f53, v22, 0
	s_delay_alu instid0(VALU_DEP_3)
	v_mad_u64_u32 v[31:32], null, 0xd2511f53, v29, 0
	v_add_nc_u32_e32 v41, 0xdb3d7428, v24
	v_xor3_b32 v18, v33, v18, v42
	v_xor3_b32 v22, v40, v27, v17
	v_add_nc_u32_e32 v42, 0x96a522ad, v24
	v_xor3_b32 v20, v46, v20, v44
	v_and_b32_e32 v24, 3, v21
	v_xor3_b32 v27, v41, v32, v19
	v_mad_u64_u32 v[29:30], null, 0xd2511f53, v18, 0
	v_mad_u64_u32 v[17:18], null, 0xd2511f53, v22, 0
	v_mad_u64_u32 v[32:33], null, 0xcd9e8d57, v20, 0
	s_delay_alu instid0(VALU_DEP_4) | instskip(SKIP_1) | instid1(VALU_DEP_4)
	v_mad_u64_u32 v[19:20], null, 0xcd9e8d57, v27, 0
	v_add_nc_u32_e32 v27, 0x8ff34781, v23
                                        ; implicit-def: $vgpr22
	v_xor3_b32 v23, v18, v29, v42
	s_delay_alu instid0(VALU_DEP_2)
	v_xor3_b32 v18, v20, v32, v27
	v_cmpx_lt_i32_e32 1, v24
	s_xor_b32 s1, exec_lo, s1
	s_cbranch_execz .LBB31_11
; %bb.6:                                ;   in Loop: Header=BB31_3 Depth=1
	s_mov_b32 s34, exec_lo
                                        ; implicit-def: $vgpr22
	v_cmpx_lt_i32_e32 2, v24
	s_xor_b32 s34, exec_lo, s34
; %bb.7:                                ;   in Loop: Header=BB31_3 Depth=1
	v_xor3_b32 v20, v40, v33, v28
                                        ; implicit-def: $vgpr23
	s_delay_alu instid0(VALU_DEP_1) | instskip(NEXT) | instid1(VALU_DEP_1)
	v_mul_hi_u32 v20, 0xd2511f53, v20
	v_xor3_b32 v22, v20, v31, v42
; %bb.8:                                ;   in Loop: Header=BB31_3 Depth=1
	s_and_not1_saveexec_b32 s34, s34
; %bb.9:                                ;   in Loop: Header=BB31_3 Depth=1
	v_dual_mov_b32 v22, v19 :: v_dual_mov_b32 v19, v18
	v_dual_mov_b32 v18, v17 :: v_dual_mov_b32 v17, v23
; %bb.10:                               ;   in Loop: Header=BB31_3 Depth=1
	s_or_b32 exec_lo, exec_lo, s34
                                        ; implicit-def: $vgpr25_vgpr26
                                        ; implicit-def: $vgpr24
                                        ; implicit-def: $vgpr23
                                        ; implicit-def: $vgpr41
                                        ; implicit-def: $vgpr29_vgpr30
                                        ; implicit-def: $vgpr26_vgpr27
                                        ; implicit-def: $vgpr27
.LBB31_11:                              ;   in Loop: Header=BB31_3 Depth=1
	s_and_not1_saveexec_b32 s1, s1
	s_cbranch_execz .LBB31_15
; %bb.12:                               ;   in Loop: Header=BB31_3 Depth=1
	v_xor3_b32 v19, v41, v30, v25
	v_cmp_eq_u32_e32 vcc_lo, 1, v24
	v_mov_b32_e32 v22, v17
	s_delay_alu instid0(VALU_DEP_3) | instskip(SKIP_1) | instid1(VALU_DEP_2)
	v_mad_u64_u32 v[20:21], null, 0xcd9e8d57, v19, 0
	v_mov_b32_e32 v19, v23
	v_xor3_b32 v24, v21, v26, v27
	s_delay_alu instid0(VALU_DEP_3)
	v_mov_b32_e32 v21, v20
	s_and_saveexec_b32 s34, vcc_lo
; %bb.13:                               ;   in Loop: Header=BB31_3 Depth=1
	v_dual_mov_b32 v22, v18 :: v_dual_mov_b32 v19, v17
	v_dual_mov_b32 v21, v23 :: v_dual_mov_b32 v24, v20
; %bb.14:                               ;   in Loop: Header=BB31_3 Depth=1
	s_or_b32 exec_lo, exec_lo, s34
	s_delay_alu instid0(VALU_DEP_1)
	v_dual_mov_b32 v17, v24 :: v_dual_mov_b32 v18, v21
.LBB31_15:                              ;   in Loop: Header=BB31_3 Depth=1
	s_or_b32 exec_lo, exec_lo, s1
	v_min_i32_e32 v20, 4, v0
	s_mov_b32 s34, 0
	s_mov_b32 s1, 0
	s_mov_b32 s38, exec_lo
                                        ; implicit-def: $sgpr35
                                        ; implicit-def: $sgpr36
                                        ; implicit-def: $sgpr37
	s_delay_alu instid0(VALU_DEP_1)
	v_cmpx_lt_i32_e32 2, v20
	s_xor_b32 s38, exec_lo, s38
	s_cbranch_execz .LBB31_25
; %bb.16:                               ;   in Loop: Header=BB31_3 Depth=1
	s_mov_b32 s1, -1
	s_mov_b32 s36, exec_lo
                                        ; implicit-def: $sgpr35
                                        ; implicit-def: $sgpr39
	v_cmpx_lt_i32_e32 3, v20
	s_cbranch_execz .LBB31_20
; %bb.17:                               ;   in Loop: Header=BB31_3 Depth=1
	v_cmp_le_f32_e32 vcc_lo, 0, v39
	v_cmp_ge_f32_e64 s1, 1.0, v39
	s_mov_b32 s35, 0
	s_delay_alu instid0(VALU_DEP_1)
	s_and_b32 s39, vcc_lo, s1
	s_mov_b32 s1, 0
	s_and_saveexec_b32 s37, s39
	s_cbranch_execz .LBB31_19
; %bb.18:                               ;   in Loop: Header=BB31_3 Depth=1
	v_add_co_u32 v21, vcc_lo, v11, s16
	v_add_co_ci_u32_e32 v23, vcc_lo, s17, v12, vcc_lo
	v_cvt_f32_u32_e32 v22, v22
	s_delay_alu instid0(VALU_DEP_3) | instskip(SKIP_1) | instid1(VALU_DEP_3)
	v_cndmask_b32_e64 v21, 0, v21, s0
	s_mov_b32 s1, exec_lo
	v_cndmask_b32_e64 v23, 0, v23, s0
	s_delay_alu instid0(VALU_DEP_3) | instskip(NEXT) | instid1(VALU_DEP_3)
	v_fmaak_f32 v24, 0x2f800000, v22, 0x2f800000
	v_add_co_u32 v21, vcc_lo, s2, v21
	s_delay_alu instid0(VALU_DEP_3) | instskip(NEXT) | instid1(VALU_DEP_3)
	v_add_co_ci_u32_e32 v22, vcc_lo, s3, v23, vcc_lo
	v_cmp_le_f32_e32 vcc_lo, v24, v39
	v_cndmask_b32_e64 v23, 0, 1, vcc_lo
	global_store_b8 v[21:22], v23, off
.LBB31_19:                              ;   in Loop: Header=BB31_3 Depth=1
	s_or_b32 exec_lo, exec_lo, s37
	s_mov_b32 s39, -1
	s_or_not1_b32 s1, s1, exec_lo
.LBB31_20:                              ;   in Loop: Header=BB31_3 Depth=1
	s_or_b32 exec_lo, exec_lo, s36
	s_mov_b32 s0, 0
	s_mov_b32 s37, s35
	s_and_saveexec_b32 s36, s1
	s_cbranch_execz .LBB31_24
; %bb.21:                               ;   in Loop: Header=BB31_3 Depth=1
	v_add_co_u32 v21, vcc_lo, v13, s14
	v_add_co_ci_u32_e32 v22, vcc_lo, s15, v14, vcc_lo
	v_cmp_lt_i32_e32 vcc_lo, 2, v0
	s_delay_alu instid0(VALU_DEP_2) | instskip(NEXT) | instid1(VALU_DEP_1)
	v_dual_cndmask_b32 v22, 0, v22 :: v_dual_cndmask_b32 v21, 0, v21
	v_lshlrev_b64 v[21:22], 2, v[21:22]
	s_delay_alu instid0(VALU_DEP_1) | instskip(NEXT) | instid1(VALU_DEP_1)
	v_add_co_u32 v21, s0, s12, v21
	v_add_co_ci_u32_e64 v22, s0, s13, v22, s0
	global_load_b32 v21, v[21:22], off
	s_waitcnt vmcnt(0)
	v_cmp_le_f32_e64 s0, 0, v21
	v_cmp_ge_f32_e64 s1, 1.0, v21
	s_delay_alu instid0(VALU_DEP_1) | instskip(SKIP_2) | instid1(SALU_CYCLE_1)
	s_and_b32 s0, s0, s1
	s_mov_b32 s1, 0
	s_and_saveexec_b32 s37, s0
	s_xor_b32 s37, exec_lo, s37
	s_cbranch_execz .LBB31_23
; %bb.22:                               ;   in Loop: Header=BB31_3 Depth=1
	v_add_co_u32 v22, s0, v7, s16
	s_delay_alu instid0(VALU_DEP_1) | instskip(SKIP_1) | instid1(VALU_DEP_3)
	v_add_co_ci_u32_e64 v23, s0, s17, v8, s0
	v_cvt_f32_u32_e32 v19, v19
	v_cndmask_b32_e32 v22, 0, v22, vcc_lo
	s_mov_b32 s1, exec_lo
	s_delay_alu instid0(VALU_DEP_3) | instskip(NEXT) | instid1(VALU_DEP_3)
	v_cndmask_b32_e32 v23, 0, v23, vcc_lo
	v_fmaak_f32 v19, 0x2f800000, v19, 0x2f800000
	s_delay_alu instid0(VALU_DEP_3) | instskip(NEXT) | instid1(VALU_DEP_3)
	v_add_co_u32 v22, vcc_lo, s2, v22
	v_add_co_ci_u32_e32 v23, vcc_lo, s3, v23, vcc_lo
	s_delay_alu instid0(VALU_DEP_3)
	v_cmp_le_f32_e32 vcc_lo, v19, v21
	v_cndmask_b32_e64 v19, 0, 1, vcc_lo
	global_store_b8 v[22:23], v19, off
.LBB31_23:                              ;   in Loop: Header=BB31_3 Depth=1
	s_or_b32 exec_lo, exec_lo, s37
	s_delay_alu instid0(SALU_CYCLE_1)
	s_and_not1_b32 s37, s35, exec_lo
	s_or_b32 s35, s35, exec_lo
	s_and_not1_b32 s39, s39, exec_lo
	s_and_b32 s0, s1, exec_lo
.LBB31_24:                              ;   in Loop: Header=BB31_3 Depth=1
	s_or_b32 exec_lo, exec_lo, s36
	s_delay_alu instid0(SALU_CYCLE_1)
	s_and_b32 s37, s37, exec_lo
	s_and_b32 s36, s35, exec_lo
	;; [unrolled: 1-line block ×4, first 2 shown]
.LBB31_25:                              ;   in Loop: Header=BB31_3 Depth=1
	s_and_not1_saveexec_b32 s0, s38
; %bb.26:                               ;   in Loop: Header=BB31_3 Depth=1
	v_cmp_lt_i32_e32 vcc_lo, 1, v20
	s_and_not1_b32 s1, s1, exec_lo
	s_mov_b32 s34, exec_lo
	s_and_not1_b32 s37, s37, exec_lo
	s_and_not1_b32 s36, s36, exec_lo
	s_and_b32 s38, vcc_lo, exec_lo
	s_and_not1_b32 s35, s35, exec_lo
	s_or_b32 s1, s1, s38
; %bb.27:                               ;   in Loop: Header=BB31_3 Depth=1
	s_or_b32 exec_lo, exec_lo, s0
	s_mov_b32 s38, 0
	s_mov_b32 s0, 0
	;; [unrolled: 1-line block ×3, first 2 shown]
	s_and_saveexec_b32 s40, s1
	s_cbranch_execnz .LBB31_30
; %bb.28:                               ;   in Loop: Header=BB31_3 Depth=1
	s_or_b32 exec_lo, exec_lo, s40
	s_and_saveexec_b32 s1, s34
	s_cbranch_execnz .LBB31_33
.LBB31_29:                              ;   in Loop: Header=BB31_3 Depth=1
	s_or_b32 exec_lo, exec_lo, s1
	s_and_saveexec_b32 s34, s0
	s_cbranch_execnz .LBB31_34
	s_branch .LBB31_37
.LBB31_30:                              ;   in Loop: Header=BB31_3 Depth=1
	v_add_co_u32 v19, vcc_lo, v37, s14
	v_add_co_ci_u32_e32 v21, vcc_lo, s15, v38, vcc_lo
	v_cmp_lt_i32_e32 vcc_lo, 1, v0
	s_delay_alu instid0(VALU_DEP_2) | instskip(NEXT) | instid1(VALU_DEP_1)
	v_dual_cndmask_b32 v22, 0, v21 :: v_dual_cndmask_b32 v21, 0, v19
	v_lshlrev_b64 v[21:22], 2, v[21:22]
	s_delay_alu instid0(VALU_DEP_1) | instskip(NEXT) | instid1(VALU_DEP_1)
	v_add_co_u32 v21, s0, s12, v21
	v_add_co_ci_u32_e64 v22, s0, s13, v22, s0
	global_load_b32 v19, v[21:22], off
	s_waitcnt vmcnt(0)
	v_cmp_le_f32_e64 s0, 0, v19
	v_cmp_ge_f32_e64 s1, 1.0, v19
	s_delay_alu instid0(VALU_DEP_1) | instskip(SKIP_2) | instid1(SALU_CYCLE_1)
	s_and_b32 s0, s0, s1
	s_mov_b32 s1, 0
	s_and_saveexec_b32 s39, s0
	s_xor_b32 s39, exec_lo, s39
	s_cbranch_execz .LBB31_32
; %bb.31:                               ;   in Loop: Header=BB31_3 Depth=1
	v_add_co_u32 v21, s0, v10, s16
	s_delay_alu instid0(VALU_DEP_1) | instskip(SKIP_1) | instid1(VALU_DEP_3)
	v_add_co_ci_u32_e64 v22, s0, s17, v35, s0
	v_cvt_f32_u32_e32 v18, v18
	v_cndmask_b32_e32 v21, 0, v21, vcc_lo
	s_mov_b32 s1, exec_lo
	s_delay_alu instid0(VALU_DEP_3) | instskip(NEXT) | instid1(VALU_DEP_3)
	v_cndmask_b32_e32 v22, 0, v22, vcc_lo
	v_fmaak_f32 v18, 0x2f800000, v18, 0x2f800000
	s_delay_alu instid0(VALU_DEP_3) | instskip(NEXT) | instid1(VALU_DEP_3)
	v_add_co_u32 v21, vcc_lo, s2, v21
	v_add_co_ci_u32_e32 v22, vcc_lo, s3, v22, vcc_lo
	s_delay_alu instid0(VALU_DEP_3)
	v_cmp_le_f32_e32 vcc_lo, v18, v19
	v_cndmask_b32_e64 v18, 0, 1, vcc_lo
	global_store_b8 v[21:22], v18, off
.LBB31_32:                              ;   in Loop: Header=BB31_3 Depth=1
	s_or_b32 exec_lo, exec_lo, s39
	s_delay_alu instid0(SALU_CYCLE_1)
	s_and_not1_b32 s39, s37, exec_lo
	s_or_b32 s37, s37, exec_lo
	s_and_not1_b32 s36, s36, exec_lo
	s_and_not1_b32 s35, s35, exec_lo
	s_and_b32 s0, s1, exec_lo
	s_and_not1_b32 s34, s34, exec_lo
	s_or_b32 exec_lo, exec_lo, s40
	s_and_saveexec_b32 s1, s34
	s_cbranch_execz .LBB31_29
.LBB31_33:                              ;   in Loop: Header=BB31_3 Depth=1
	v_cmp_eq_u32_e32 vcc_lo, 1, v20
	s_and_not1_b32 s0, s0, exec_lo
	s_mov_b32 s38, exec_lo
	s_and_not1_b32 s39, s39, exec_lo
	s_and_not1_b32 s37, s37, exec_lo
	s_and_b32 s34, vcc_lo, exec_lo
	s_and_not1_b32 s36, s36, exec_lo
	s_and_not1_b32 s35, s35, exec_lo
	s_or_b32 s0, s0, s34
	s_or_b32 exec_lo, exec_lo, s1
	s_and_saveexec_b32 s34, s0
	s_cbranch_execz .LBB31_37
.LBB31_34:                              ;   in Loop: Header=BB31_3 Depth=1
	v_add_co_u32 v18, vcc_lo, v9, s14
	v_add_co_ci_u32_e32 v19, vcc_lo, s15, v36, vcc_lo
	v_cmp_lt_i32_e32 vcc_lo, 0, v0
	s_delay_alu instid0(VALU_DEP_2) | instskip(NEXT) | instid1(VALU_DEP_1)
	v_dual_cndmask_b32 v19, 0, v19 :: v_dual_cndmask_b32 v18, 0, v18
	v_lshlrev_b64 v[18:19], 2, v[18:19]
	s_delay_alu instid0(VALU_DEP_1) | instskip(NEXT) | instid1(VALU_DEP_1)
	v_add_co_u32 v18, s0, s12, v18
	v_add_co_ci_u32_e64 v19, s0, s13, v19, s0
	global_load_b32 v18, v[18:19], off
	s_waitcnt vmcnt(0)
	v_cmp_le_f32_e64 s0, 0, v18
	v_cmp_ge_f32_e64 s1, 1.0, v18
	s_delay_alu instid0(VALU_DEP_1)
	s_and_b32 s0, s0, s1
	s_mov_b32 s1, 0
	s_and_saveexec_b32 s40, s0
	s_cbranch_execz .LBB31_36
; %bb.35:                               ;   in Loop: Header=BB31_3 Depth=1
	v_add_co_u32 v19, s0, v5, s16
	s_delay_alu instid0(VALU_DEP_1) | instskip(SKIP_1) | instid1(VALU_DEP_3)
	v_add_co_ci_u32_e64 v20, s0, s17, v6, s0
	v_cvt_f32_u32_e32 v17, v17
	v_cndmask_b32_e32 v19, 0, v19, vcc_lo
	s_mov_b32 s1, exec_lo
	s_delay_alu instid0(VALU_DEP_2) | instskip(NEXT) | instid1(VALU_DEP_2)
	v_dual_cndmask_b32 v20, 0, v20 :: v_dual_fmaak_f32 v17, 0x2f800000, v17, 0x2f800000
	v_add_co_u32 v19, vcc_lo, s2, v19
	s_delay_alu instid0(VALU_DEP_2) | instskip(NEXT) | instid1(VALU_DEP_3)
	v_add_co_ci_u32_e32 v20, vcc_lo, s3, v20, vcc_lo
	v_cmp_le_f32_e32 vcc_lo, v17, v18
	v_cndmask_b32_e64 v17, 0, 1, vcc_lo
	global_store_b8 v[19:20], v17, off
.LBB31_36:                              ;   in Loop: Header=BB31_3 Depth=1
	s_or_b32 exec_lo, exec_lo, s40
	s_delay_alu instid0(SALU_CYCLE_1)
	s_and_not1_b32 s0, s38, exec_lo
	s_and_b32 s1, s1, exec_lo
	s_or_b32 s39, s39, exec_lo
	s_and_not1_b32 s37, s37, exec_lo
	s_and_not1_b32 s36, s36, exec_lo
	;; [unrolled: 1-line block ×3, first 2 shown]
	s_or_b32 s38, s0, s1
.LBB31_37:                              ;   in Loop: Header=BB31_3 Depth=1
	s_or_b32 exec_lo, exec_lo, s34
	s_delay_alu instid0(SALU_CYCLE_1)
	s_and_not1_b32 s1, s33, exec_lo
	s_and_b32 s33, s39, exec_lo
	s_and_not1_b32 s30, s30, exec_lo
	s_and_b32 s34, s37, exec_lo
	s_or_b32 s33, s1, s33
	s_or_b32 s30, s30, s34
	s_and_not1_b32 s1, s31, exec_lo
	s_and_b32 s31, s36, exec_lo
	s_and_not1_b32 s29, s29, exec_lo
	s_and_b32 s34, s35, exec_lo
	s_mov_b32 s0, -1
	s_or_b32 s31, s1, s31
	s_or_b32 s29, s29, s34
	s_and_saveexec_b32 s1, s38
	s_cbranch_execz .LBB31_2
; %bb.38:                               ;   in Loop: Header=BB31_3 Depth=1
	v_add_co_u32 v2, vcc_lo, v2, s20
	v_add_co_ci_u32_e32 v3, vcc_lo, 0, v3, vcc_lo
	v_subrev_nc_u32_e32 v0, s20, v0
	s_add_u32 s16, s16, s22
	s_addc_u32 s17, s17, s21
	s_delay_alu instid0(VALU_DEP_2)
	v_cmp_le_u64_e32 vcc_lo, s[4:5], v[2:3]
	s_add_u32 s14, s14, s25
	s_addc_u32 s15, s15, s24
	s_and_not1_b32 s33, s33, exec_lo
	s_and_not1_b32 s30, s30, exec_lo
	;; [unrolled: 1-line block ×4, first 2 shown]
	s_or_not1_b32 s0, vcc_lo, exec_lo
	s_branch .LBB31_2
.LBB31_39:
	s_or_b32 exec_lo, exec_lo, s18
	s_xor_b32 s3, s27, -1
	s_xor_b32 s4, s28, -1
	;; [unrolled: 1-line block ×3, first 2 shown]
	s_mov_b32 s1, 0
	s_and_saveexec_b32 s2, s0
	s_delay_alu instid0(SALU_CYCLE_1)
	s_xor_b32 s0, exec_lo, s2
	s_cbranch_execz .LBB31_48
; %bb.40:
	s_mov_b32 s2, 0
	s_and_saveexec_b32 s1, s4
	s_delay_alu instid0(SALU_CYCLE_1)
	s_xor_b32 s1, exec_lo, s1
	s_cbranch_execz .LBB31_46
; %bb.41:
	s_and_saveexec_b32 s4, s3
	s_delay_alu instid0(SALU_CYCLE_1)
	s_xor_b32 s3, exec_lo, s4
	s_cbranch_execz .LBB31_44
; %bb.42:
	s_and_saveexec_b32 s4, s23
	s_delay_alu instid0(SALU_CYCLE_1)
	s_xor_b32 s4, exec_lo, s4
	s_cbranch_execnz .LBB31_62
.LBB31_43:
	s_or_b32 exec_lo, exec_lo, s4
	s_delay_alu instid0(SALU_CYCLE_1)
	s_and_b32 s2, s2, exec_lo
.LBB31_44:
	s_and_not1_saveexec_b32 s3, s3
	s_cbranch_execnz .LBB31_58
.LBB31_45:
	s_or_b32 exec_lo, exec_lo, s3
	s_delay_alu instid0(SALU_CYCLE_1)
	s_and_b32 s2, s2, exec_lo
.LBB31_46:
	s_and_not1_saveexec_b32 s1, s1
	s_cbranch_execnz .LBB31_54
.LBB31_47:
	s_or_b32 exec_lo, exec_lo, s1
	s_delay_alu instid0(SALU_CYCLE_1)
	s_and_b32 s1, s2, exec_lo
.LBB31_48:
	s_and_not1_saveexec_b32 s0, s0
	s_cbranch_execnz .LBB31_52
; %bb.49:
	s_or_b32 exec_lo, exec_lo, s0
	s_delay_alu instid0(SALU_CYCLE_1)
	s_and_b32 exec_lo, exec_lo, s1
.LBB31_50:
	; divergent unreachable
.LBB31_51:
	s_nop 0
	s_sendmsg sendmsg(MSG_DEALLOC_VGPRS)
	s_endpgm
.LBB31_52:
	s_cbranch_execnz .LBB31_56
; %bb.53:
	s_or_b32 s1, s1, exec_lo
	s_or_b32 exec_lo, exec_lo, s0
	s_delay_alu instid0(SALU_CYCLE_1)
	s_and_b32 exec_lo, exec_lo, s1
	s_cbranch_execnz .LBB31_50
	s_branch .LBB31_51
.LBB31_54:
	s_cbranch_execnz .LBB31_60
; %bb.55:
	s_or_b32 s2, s2, exec_lo
	s_branch .LBB31_47
.LBB31_56:
	s_trap 2
	s_sendmsg_rtn_b32 s0, sendmsg(MSG_RTN_GET_DOORBELL)
	s_mov_b32 ttmp2, m0
	s_waitcnt lgkmcnt(0)
	s_and_b32 s0, s0, 0x3ff
	s_delay_alu instid0(SALU_CYCLE_1) | instskip(NEXT) | instid1(SALU_CYCLE_1)
	s_bitset1_b32 s0, 10
	s_mov_b32 m0, s0
	s_sendmsg sendmsg(MSG_INTERRUPT)
	s_mov_b32 m0, ttmp2
.LBB31_57:                              ; =>This Inner Loop Header: Depth=1
	s_sethalt 5
	s_branch .LBB31_57
.LBB31_58:
	s_cbranch_execnz .LBB31_64
; %bb.59:
	s_or_b32 s2, s2, exec_lo
	s_branch .LBB31_45
.LBB31_60:
	s_trap 2
	s_sendmsg_rtn_b32 s0, sendmsg(MSG_RTN_GET_DOORBELL)
	s_mov_b32 ttmp2, m0
	s_waitcnt lgkmcnt(0)
	s_and_b32 s0, s0, 0x3ff
	s_delay_alu instid0(SALU_CYCLE_1) | instskip(NEXT) | instid1(SALU_CYCLE_1)
	s_bitset1_b32 s0, 10
	s_mov_b32 m0, s0
	s_sendmsg sendmsg(MSG_INTERRUPT)
	s_mov_b32 m0, ttmp2
.LBB31_61:                              ; =>This Inner Loop Header: Depth=1
	s_sethalt 5
	s_branch .LBB31_61
.LBB31_62:
	s_cbranch_execnz .LBB31_66
; %bb.63:
	s_mov_b32 s2, exec_lo
	s_branch .LBB31_43
.LBB31_64:
	s_trap 2
	s_sendmsg_rtn_b32 s0, sendmsg(MSG_RTN_GET_DOORBELL)
	s_mov_b32 ttmp2, m0
	s_waitcnt lgkmcnt(0)
	s_and_b32 s0, s0, 0x3ff
	s_delay_alu instid0(SALU_CYCLE_1) | instskip(NEXT) | instid1(SALU_CYCLE_1)
	s_bitset1_b32 s0, 10
	s_mov_b32 m0, s0
	s_sendmsg sendmsg(MSG_INTERRUPT)
	s_mov_b32 m0, ttmp2
.LBB31_65:                              ; =>This Inner Loop Header: Depth=1
	s_sethalt 5
	s_branch .LBB31_65
.LBB31_66:
	s_trap 2
	s_sendmsg_rtn_b32 s0, sendmsg(MSG_RTN_GET_DOORBELL)
	s_mov_b32 ttmp2, m0
	s_waitcnt lgkmcnt(0)
	s_and_b32 s0, s0, 0x3ff
	s_delay_alu instid0(SALU_CYCLE_1) | instskip(NEXT) | instid1(SALU_CYCLE_1)
	s_bitset1_b32 s0, 10
	s_mov_b32 m0, s0
	s_sendmsg sendmsg(MSG_INTERRUPT)
	s_mov_b32 m0, ttmp2
.LBB31_67:                              ; =>This Inner Loop Header: Depth=1
	s_sethalt 5
	s_branch .LBB31_67
	.section	.rodata,"a",@progbits
	.p2align	6, 0x0
	.amdhsa_kernel _ZN2at4cuda12_GLOBAL__N_121kernelPointwiseApply2IZNS_6native9templates4cuda28bernoulli_tensor_cuda_kernelIafEEvRKNS_10TensorBaseES9_NS_15PhiloxCudaStateEEUliRaSB_SB_SB_RKfSD_SD_SD_E_aSC_mLi1ELi1ELi4ELi512ELi2EEEvNS0_6detail10TensorInfoIT0_T2_EENSG_IT1_SI_EESI_T_
		.amdhsa_group_segment_fixed_size 0
		.amdhsa_private_segment_fixed_size 0
		.amdhsa_kernarg_size 1128
		.amdhsa_user_sgpr_count 15
		.amdhsa_user_sgpr_dispatch_ptr 0
		.amdhsa_user_sgpr_queue_ptr 0
		.amdhsa_user_sgpr_kernarg_segment_ptr 1
		.amdhsa_user_sgpr_dispatch_id 0
		.amdhsa_user_sgpr_private_segment_size 0
		.amdhsa_wavefront_size32 1
		.amdhsa_uses_dynamic_stack 0
		.amdhsa_enable_private_segment 0
		.amdhsa_system_sgpr_workgroup_id_x 1
		.amdhsa_system_sgpr_workgroup_id_y 0
		.amdhsa_system_sgpr_workgroup_id_z 0
		.amdhsa_system_sgpr_workgroup_info 0
		.amdhsa_system_vgpr_workitem_id 0
		.amdhsa_next_free_vgpr 48
		.amdhsa_next_free_sgpr 41
		.amdhsa_reserve_vcc 1
		.amdhsa_float_round_mode_32 0
		.amdhsa_float_round_mode_16_64 0
		.amdhsa_float_denorm_mode_32 3
		.amdhsa_float_denorm_mode_16_64 3
		.amdhsa_dx10_clamp 1
		.amdhsa_ieee_mode 1
		.amdhsa_fp16_overflow 0
		.amdhsa_workgroup_processor_mode 1
		.amdhsa_memory_ordered 1
		.amdhsa_forward_progress 0
		.amdhsa_shared_vgpr_count 0
		.amdhsa_exception_fp_ieee_invalid_op 0
		.amdhsa_exception_fp_denorm_src 0
		.amdhsa_exception_fp_ieee_div_zero 0
		.amdhsa_exception_fp_ieee_overflow 0
		.amdhsa_exception_fp_ieee_underflow 0
		.amdhsa_exception_fp_ieee_inexact 0
		.amdhsa_exception_int_div_zero 0
	.end_amdhsa_kernel
	.section	.text._ZN2at4cuda12_GLOBAL__N_121kernelPointwiseApply2IZNS_6native9templates4cuda28bernoulli_tensor_cuda_kernelIafEEvRKNS_10TensorBaseES9_NS_15PhiloxCudaStateEEUliRaSB_SB_SB_RKfSD_SD_SD_E_aSC_mLi1ELi1ELi4ELi512ELi2EEEvNS0_6detail10TensorInfoIT0_T2_EENSG_IT1_SI_EESI_T_,"axG",@progbits,_ZN2at4cuda12_GLOBAL__N_121kernelPointwiseApply2IZNS_6native9templates4cuda28bernoulli_tensor_cuda_kernelIafEEvRKNS_10TensorBaseES9_NS_15PhiloxCudaStateEEUliRaSB_SB_SB_RKfSD_SD_SD_E_aSC_mLi1ELi1ELi4ELi512ELi2EEEvNS0_6detail10TensorInfoIT0_T2_EENSG_IT1_SI_EESI_T_,comdat
.Lfunc_end31:
	.size	_ZN2at4cuda12_GLOBAL__N_121kernelPointwiseApply2IZNS_6native9templates4cuda28bernoulli_tensor_cuda_kernelIafEEvRKNS_10TensorBaseES9_NS_15PhiloxCudaStateEEUliRaSB_SB_SB_RKfSD_SD_SD_E_aSC_mLi1ELi1ELi4ELi512ELi2EEEvNS0_6detail10TensorInfoIT0_T2_EENSG_IT1_SI_EESI_T_, .Lfunc_end31-_ZN2at4cuda12_GLOBAL__N_121kernelPointwiseApply2IZNS_6native9templates4cuda28bernoulli_tensor_cuda_kernelIafEEvRKNS_10TensorBaseES9_NS_15PhiloxCudaStateEEUliRaSB_SB_SB_RKfSD_SD_SD_E_aSC_mLi1ELi1ELi4ELi512ELi2EEEvNS0_6detail10TensorInfoIT0_T2_EENSG_IT1_SI_EESI_T_
                                        ; -- End function
	.section	.AMDGPU.csdata,"",@progbits
; Kernel info:
; codeLenInByte = 3500
; NumSgprs: 43
; NumVgprs: 48
; ScratchSize: 0
; MemoryBound: 0
; FloatMode: 240
; IeeeMode: 1
; LDSByteSize: 0 bytes/workgroup (compile time only)
; SGPRBlocks: 5
; VGPRBlocks: 5
; NumSGPRsForWavesPerEU: 43
; NumVGPRsForWavesPerEU: 48
; Occupancy: 16
; WaveLimiterHint : 1
; COMPUTE_PGM_RSRC2:SCRATCH_EN: 0
; COMPUTE_PGM_RSRC2:USER_SGPR: 15
; COMPUTE_PGM_RSRC2:TRAP_HANDLER: 0
; COMPUTE_PGM_RSRC2:TGID_X_EN: 1
; COMPUTE_PGM_RSRC2:TGID_Y_EN: 0
; COMPUTE_PGM_RSRC2:TGID_Z_EN: 0
; COMPUTE_PGM_RSRC2:TIDIG_COMP_CNT: 0
	.section	.text._ZN2at4cuda12_GLOBAL__N_121kernelPointwiseApply2IZNS_6native9templates4cuda28bernoulli_tensor_cuda_kernelIafEEvRKNS_10TensorBaseES9_NS_15PhiloxCudaStateEEUliRaSB_SB_SB_RKfSD_SD_SD_E_aSC_mLin1ELin1ELi4ELi512ELi2EEEvNS0_6detail10TensorInfoIT0_T2_EENSG_IT1_SI_EESI_T_,"axG",@progbits,_ZN2at4cuda12_GLOBAL__N_121kernelPointwiseApply2IZNS_6native9templates4cuda28bernoulli_tensor_cuda_kernelIafEEvRKNS_10TensorBaseES9_NS_15PhiloxCudaStateEEUliRaSB_SB_SB_RKfSD_SD_SD_E_aSC_mLin1ELin1ELi4ELi512ELi2EEEvNS0_6detail10TensorInfoIT0_T2_EENSG_IT1_SI_EESI_T_,comdat
	.globl	_ZN2at4cuda12_GLOBAL__N_121kernelPointwiseApply2IZNS_6native9templates4cuda28bernoulli_tensor_cuda_kernelIafEEvRKNS_10TensorBaseES9_NS_15PhiloxCudaStateEEUliRaSB_SB_SB_RKfSD_SD_SD_E_aSC_mLin1ELin1ELi4ELi512ELi2EEEvNS0_6detail10TensorInfoIT0_T2_EENSG_IT1_SI_EESI_T_ ; -- Begin function _ZN2at4cuda12_GLOBAL__N_121kernelPointwiseApply2IZNS_6native9templates4cuda28bernoulli_tensor_cuda_kernelIafEEvRKNS_10TensorBaseES9_NS_15PhiloxCudaStateEEUliRaSB_SB_SB_RKfSD_SD_SD_E_aSC_mLin1ELin1ELi4ELi512ELi2EEEvNS0_6detail10TensorInfoIT0_T2_EENSG_IT1_SI_EESI_T_
	.p2align	8
	.type	_ZN2at4cuda12_GLOBAL__N_121kernelPointwiseApply2IZNS_6native9templates4cuda28bernoulli_tensor_cuda_kernelIafEEvRKNS_10TensorBaseES9_NS_15PhiloxCudaStateEEUliRaSB_SB_SB_RKfSD_SD_SD_E_aSC_mLin1ELin1ELi4ELi512ELi2EEEvNS0_6detail10TensorInfoIT0_T2_EENSG_IT1_SI_EESI_T_,@function
_ZN2at4cuda12_GLOBAL__N_121kernelPointwiseApply2IZNS_6native9templates4cuda28bernoulli_tensor_cuda_kernelIafEEvRKNS_10TensorBaseES9_NS_15PhiloxCudaStateEEUliRaSB_SB_SB_RKfSD_SD_SD_E_aSC_mLin1ELin1ELi4ELi512ELi2EEEvNS0_6detail10TensorInfoIT0_T2_EENSG_IT1_SI_EESI_T_: ; @_ZN2at4cuda12_GLOBAL__N_121kernelPointwiseApply2IZNS_6native9templates4cuda28bernoulli_tensor_cuda_kernelIafEEvRKNS_10TensorBaseES9_NS_15PhiloxCudaStateEEUliRaSB_SB_SB_RKfSD_SD_SD_E_aSC_mLin1ELin1ELi4ELi512ELi2EEEvNS0_6detail10TensorInfoIT0_T2_EENSG_IT1_SI_EESI_T_
; %bb.0:
	s_clause 0x1
	s_load_b32 s12, s[0:1], 0x374
	s_load_b256 s[4:11], s[0:1], 0x340
	s_add_u32 s2, s0, 0x368
	s_addc_u32 s3, s1, 0
	s_waitcnt lgkmcnt(0)
	s_and_b32 s18, s12, 0xffff
	s_mov_b32 s12, exec_lo
	v_mad_u64_u32 v[1:2], null, s15, s18, v[0:1]
	v_mov_b32_e32 v2, 0
	s_delay_alu instid0(VALU_DEP_1) | instskip(NEXT) | instid1(VALU_DEP_1)
	v_dual_mov_b32 v5, v2 :: v_dual_lshlrev_b32 v4, 2, v1
	v_cmpx_gt_u64_e64 s[4:5], v[4:5]
	s_cbranch_execz .LBB32_122
; %bb.1:
	s_clause 0x2
	s_load_b32 s22, s[0:1], 0x198
	s_load_b32 s23, s[0:1], 0x338
	s_load_b32 s20, s[0:1], 0x360
	s_load_b32 s21, s[2:3], 0x0
	s_add_u32 s24, s0, 0x1a0
	s_addc_u32 s25, s1, 0
	s_clause 0x3
	s_load_b64 s[2:3], s[0:1], 0x270
	s_load_b64 s[12:13], s[0:1], 0x1a0
	;; [unrolled: 1-line block ×4, first 2 shown]
	s_mov_b32 s19, 0
	v_mad_u64_u32 v[6:7], null, 0xcd9e8d57, v1, 0
                                        ; implicit-def: $sgpr35
                                        ; implicit-def: $sgpr37
                                        ; implicit-def: $sgpr36
                                        ; implicit-def: $sgpr38
                                        ; implicit-def: $sgpr40
                                        ; implicit-def: $sgpr39
                                        ; implicit-def: $sgpr41
	s_delay_alu instid0(VALU_DEP_1)
	v_mov_b32_e32 v0, v7
	s_waitcnt lgkmcnt(0)
	s_cmp_gt_i32 s22, 1
	s_cselect_b32 s28, -1, 0
	s_cmp_gt_i32 s23, 1
	s_mul_i32 s21, s21, s18
	s_cselect_b32 s29, -1, 0
	s_bitcmp1_b32 s20, 0
	s_cselect_b32 s30, -1, 0
	s_add_i32 s18, s22, -1
	s_lshl_b32 s31, s21, 2
	s_lshl_b64 s[20:21], s[18:19], 3
	s_add_i32 s33, s22, 1
	s_add_u32 s0, s20, s0
	s_addc_u32 s1, s21, s1
	s_add_u32 s20, s0, 8
	s_addc_u32 s21, s1, 0
	s_add_i32 s18, s23, -1
	s_add_i32 s34, s23, 1
	s_lshl_b64 s[0:1], s[18:19], 3
                                        ; implicit-def: $sgpr18
	s_delay_alu instid0(SALU_CYCLE_1)
	s_add_u32 s0, s0, s24
	s_addc_u32 s1, s1, s25
	s_add_u32 s22, s0, 8
	s_addc_u32 s23, s1, 0
	s_branch .LBB32_3
.LBB32_2:                               ;   in Loop: Header=BB32_3 Depth=1
	s_or_b32 exec_lo, exec_lo, s1
	s_delay_alu instid0(SALU_CYCLE_1) | instskip(NEXT) | instid1(SALU_CYCLE_1)
	s_and_b32 s0, exec_lo, s0
	s_or_b32 s19, s0, s19
	s_and_not1_b32 s0, s18, exec_lo
	s_and_b32 s1, s41, exec_lo
	s_and_not1_b32 s24, s36, exec_lo
	s_and_b32 s25, s39, exec_lo
	s_or_b32 s18, s0, s1
	s_or_b32 s36, s24, s25
	s_and_not1_b32 s0, s37, exec_lo
	s_and_b32 s1, s40, exec_lo
	s_and_not1_b32 s24, s35, exec_lo
	s_and_b32 s25, s38, exec_lo
	s_or_b32 s37, s0, s1
	s_or_b32 s35, s24, s25
	s_and_not1_b32 exec_lo, exec_lo, s19
	s_cbranch_execz .LBB32_110
.LBB32_3:                               ; =>This Loop Header: Depth=1
                                        ;     Child Loop BB32_5 Depth 2
                                        ;     Child Loop BB32_14 Depth 2
	;; [unrolled: 1-line block ×8, first 2 shown]
	v_sub_nc_u32_e32 v38, s4, v4
	v_mov_b32_e32 v7, 0
	v_mov_b32_e32 v8, 0
	s_delay_alu instid0(VALU_DEP_3) | instskip(NEXT) | instid1(VALU_DEP_1)
	v_cmp_lt_i32_e64 s0, 0, v38
	s_and_saveexec_b32 s42, s0
	s_cbranch_execz .LBB32_12
; %bb.4:                                ;   in Loop: Header=BB32_3 Depth=1
	v_dual_mov_b32 v9, 0 :: v_dual_mov_b32 v8, v5
	v_dual_mov_b32 v10, 0 :: v_dual_mov_b32 v7, v4
	;; [unrolled: 1-line block ×3, first 2 shown]
	s_and_not1_b32 vcc_lo, exec_lo, s28
	s_mov_b64 s[24:25], s[20:21]
	s_mov_b32 s43, s33
	s_cbranch_vccnz .LBB32_11
.LBB32_5:                               ;   Parent Loop BB32_3 Depth=1
                                        ; =>  This Inner Loop Header: Depth=2
	s_load_b64 s[26:27], s[24:25], 0x0
                                        ; implicit-def: $vgpr11_vgpr12
	s_mov_b32 s1, exec_lo
	s_waitcnt lgkmcnt(0)
	v_or_b32_e32 v3, s27, v8
	s_delay_alu instid0(VALU_DEP_1)
	v_cmpx_ne_u64_e32 0, v[2:3]
	s_xor_b32 s44, exec_lo, s1
	s_cbranch_execz .LBB32_7
; %bb.6:                                ;   in Loop: Header=BB32_5 Depth=2
	v_cvt_f32_u32_e32 v3, s26
	v_cvt_f32_u32_e32 v11, s27
	s_sub_u32 s1, 0, s26
	s_subb_u32 s45, 0, s27
	s_delay_alu instid0(VALU_DEP_1) | instskip(NEXT) | instid1(VALU_DEP_1)
	v_fmac_f32_e32 v3, 0x4f800000, v11
	v_rcp_f32_e32 v3, v3
	s_waitcnt_depctr 0xfff
	v_mul_f32_e32 v3, 0x5f7ffffc, v3
	s_delay_alu instid0(VALU_DEP_1) | instskip(NEXT) | instid1(VALU_DEP_1)
	v_mul_f32_e32 v11, 0x2f800000, v3
	v_trunc_f32_e32 v11, v11
	s_delay_alu instid0(VALU_DEP_1) | instskip(SKIP_1) | instid1(VALU_DEP_2)
	v_fmac_f32_e32 v3, 0xcf800000, v11
	v_cvt_u32_f32_e32 v11, v11
	v_cvt_u32_f32_e32 v3, v3
	s_delay_alu instid0(VALU_DEP_2) | instskip(NEXT) | instid1(VALU_DEP_2)
	v_mul_lo_u32 v12, s1, v11
	v_mul_hi_u32 v13, s1, v3
	v_mul_lo_u32 v14, s45, v3
	s_delay_alu instid0(VALU_DEP_2) | instskip(SKIP_1) | instid1(VALU_DEP_2)
	v_add_nc_u32_e32 v12, v13, v12
	v_mul_lo_u32 v13, s1, v3
	v_add_nc_u32_e32 v12, v12, v14
	s_delay_alu instid0(VALU_DEP_2) | instskip(NEXT) | instid1(VALU_DEP_2)
	v_mul_hi_u32 v14, v3, v13
	v_mul_lo_u32 v15, v3, v12
	v_mul_hi_u32 v16, v3, v12
	v_mul_hi_u32 v17, v11, v13
	v_mul_lo_u32 v13, v11, v13
	v_mul_hi_u32 v18, v11, v12
	v_mul_lo_u32 v12, v11, v12
	v_add_co_u32 v14, vcc_lo, v14, v15
	v_add_co_ci_u32_e32 v15, vcc_lo, 0, v16, vcc_lo
	s_delay_alu instid0(VALU_DEP_2) | instskip(NEXT) | instid1(VALU_DEP_2)
	v_add_co_u32 v13, vcc_lo, v14, v13
	v_add_co_ci_u32_e32 v13, vcc_lo, v15, v17, vcc_lo
	v_add_co_ci_u32_e32 v14, vcc_lo, 0, v18, vcc_lo
	s_delay_alu instid0(VALU_DEP_2) | instskip(NEXT) | instid1(VALU_DEP_2)
	v_add_co_u32 v12, vcc_lo, v13, v12
	v_add_co_ci_u32_e32 v13, vcc_lo, 0, v14, vcc_lo
	s_delay_alu instid0(VALU_DEP_2) | instskip(NEXT) | instid1(VALU_DEP_2)
	v_add_co_u32 v3, vcc_lo, v3, v12
	v_add_co_ci_u32_e32 v11, vcc_lo, v11, v13, vcc_lo
	s_delay_alu instid0(VALU_DEP_2) | instskip(SKIP_1) | instid1(VALU_DEP_3)
	v_mul_hi_u32 v12, s1, v3
	v_mul_lo_u32 v14, s45, v3
	v_mul_lo_u32 v13, s1, v11
	s_delay_alu instid0(VALU_DEP_1) | instskip(SKIP_1) | instid1(VALU_DEP_2)
	v_add_nc_u32_e32 v12, v12, v13
	v_mul_lo_u32 v13, s1, v3
	v_add_nc_u32_e32 v12, v12, v14
	s_delay_alu instid0(VALU_DEP_2) | instskip(NEXT) | instid1(VALU_DEP_2)
	v_mul_hi_u32 v14, v3, v13
	v_mul_lo_u32 v15, v3, v12
	v_mul_hi_u32 v16, v3, v12
	v_mul_hi_u32 v17, v11, v13
	v_mul_lo_u32 v13, v11, v13
	v_mul_hi_u32 v18, v11, v12
	v_mul_lo_u32 v12, v11, v12
	v_add_co_u32 v14, vcc_lo, v14, v15
	v_add_co_ci_u32_e32 v15, vcc_lo, 0, v16, vcc_lo
	s_delay_alu instid0(VALU_DEP_2) | instskip(NEXT) | instid1(VALU_DEP_2)
	v_add_co_u32 v13, vcc_lo, v14, v13
	v_add_co_ci_u32_e32 v13, vcc_lo, v15, v17, vcc_lo
	v_add_co_ci_u32_e32 v14, vcc_lo, 0, v18, vcc_lo
	s_delay_alu instid0(VALU_DEP_2) | instskip(NEXT) | instid1(VALU_DEP_2)
	v_add_co_u32 v12, vcc_lo, v13, v12
	v_add_co_ci_u32_e32 v13, vcc_lo, 0, v14, vcc_lo
	s_delay_alu instid0(VALU_DEP_2) | instskip(NEXT) | instid1(VALU_DEP_2)
	v_add_co_u32 v3, vcc_lo, v3, v12
	v_add_co_ci_u32_e32 v17, vcc_lo, v11, v13, vcc_lo
	s_delay_alu instid0(VALU_DEP_2) | instskip(SKIP_1) | instid1(VALU_DEP_3)
	v_mul_hi_u32 v18, v7, v3
	v_mad_u64_u32 v[13:14], null, v8, v3, 0
	v_mad_u64_u32 v[11:12], null, v7, v17, 0
	;; [unrolled: 1-line block ×3, first 2 shown]
	s_delay_alu instid0(VALU_DEP_2) | instskip(NEXT) | instid1(VALU_DEP_3)
	v_add_co_u32 v3, vcc_lo, v18, v11
	v_add_co_ci_u32_e32 v11, vcc_lo, 0, v12, vcc_lo
	s_delay_alu instid0(VALU_DEP_2) | instskip(NEXT) | instid1(VALU_DEP_2)
	v_add_co_u32 v3, vcc_lo, v3, v13
	v_add_co_ci_u32_e32 v3, vcc_lo, v11, v14, vcc_lo
	v_add_co_ci_u32_e32 v11, vcc_lo, 0, v16, vcc_lo
	s_delay_alu instid0(VALU_DEP_2) | instskip(NEXT) | instid1(VALU_DEP_2)
	v_add_co_u32 v3, vcc_lo, v3, v15
	v_add_co_ci_u32_e32 v13, vcc_lo, 0, v11, vcc_lo
	s_delay_alu instid0(VALU_DEP_2) | instskip(SKIP_1) | instid1(VALU_DEP_3)
	v_mul_lo_u32 v14, s27, v3
	v_mad_u64_u32 v[11:12], null, s26, v3, 0
	v_mul_lo_u32 v15, s26, v13
	s_delay_alu instid0(VALU_DEP_2) | instskip(NEXT) | instid1(VALU_DEP_2)
	v_sub_co_u32 v11, vcc_lo, v7, v11
	v_add3_u32 v12, v12, v15, v14
	s_delay_alu instid0(VALU_DEP_1) | instskip(NEXT) | instid1(VALU_DEP_1)
	v_sub_nc_u32_e32 v14, v8, v12
	v_subrev_co_ci_u32_e64 v14, s1, s27, v14, vcc_lo
	v_add_co_u32 v15, s1, v3, 2
	s_delay_alu instid0(VALU_DEP_1) | instskip(SKIP_3) | instid1(VALU_DEP_3)
	v_add_co_ci_u32_e64 v16, s1, 0, v13, s1
	v_sub_co_u32 v17, s1, v11, s26
	v_sub_co_ci_u32_e32 v12, vcc_lo, v8, v12, vcc_lo
	v_subrev_co_ci_u32_e64 v14, s1, 0, v14, s1
	v_cmp_le_u32_e32 vcc_lo, s26, v17
	s_delay_alu instid0(VALU_DEP_3) | instskip(SKIP_1) | instid1(VALU_DEP_4)
	v_cmp_eq_u32_e64 s1, s27, v12
	v_cndmask_b32_e64 v17, 0, -1, vcc_lo
	v_cmp_le_u32_e32 vcc_lo, s27, v14
	v_cndmask_b32_e64 v18, 0, -1, vcc_lo
	v_cmp_le_u32_e32 vcc_lo, s26, v11
	;; [unrolled: 2-line block ×3, first 2 shown]
	v_cndmask_b32_e64 v19, 0, -1, vcc_lo
	v_cmp_eq_u32_e32 vcc_lo, s27, v14
	s_delay_alu instid0(VALU_DEP_2) | instskip(SKIP_3) | instid1(VALU_DEP_3)
	v_cndmask_b32_e64 v11, v19, v11, s1
	v_cndmask_b32_e32 v14, v18, v17, vcc_lo
	v_add_co_u32 v17, vcc_lo, v3, 1
	v_add_co_ci_u32_e32 v18, vcc_lo, 0, v13, vcc_lo
	v_cmp_ne_u32_e32 vcc_lo, 0, v14
	s_delay_alu instid0(VALU_DEP_3) | instskip(NEXT) | instid1(VALU_DEP_3)
	v_cndmask_b32_e32 v14, v17, v15, vcc_lo
	v_cndmask_b32_e32 v12, v18, v16, vcc_lo
	v_cmp_ne_u32_e32 vcc_lo, 0, v11
	s_delay_alu instid0(VALU_DEP_2)
	v_dual_cndmask_b32 v11, v3, v14 :: v_dual_cndmask_b32 v12, v13, v12
.LBB32_7:                               ;   in Loop: Header=BB32_5 Depth=2
	s_and_not1_saveexec_b32 s1, s44
	s_cbranch_execz .LBB32_9
; %bb.8:                                ;   in Loop: Header=BB32_5 Depth=2
	v_cvt_f32_u32_e32 v3, s26
	s_sub_i32 s44, 0, s26
	s_delay_alu instid0(VALU_DEP_1) | instskip(SKIP_2) | instid1(VALU_DEP_1)
	v_rcp_iflag_f32_e32 v3, v3
	s_waitcnt_depctr 0xfff
	v_mul_f32_e32 v3, 0x4f7ffffe, v3
	v_cvt_u32_f32_e32 v3, v3
	s_delay_alu instid0(VALU_DEP_1) | instskip(NEXT) | instid1(VALU_DEP_1)
	v_mul_lo_u32 v11, s44, v3
	v_mul_hi_u32 v11, v3, v11
	s_delay_alu instid0(VALU_DEP_1) | instskip(NEXT) | instid1(VALU_DEP_1)
	v_add_nc_u32_e32 v3, v3, v11
	v_mul_hi_u32 v3, v7, v3
	s_delay_alu instid0(VALU_DEP_1) | instskip(NEXT) | instid1(VALU_DEP_1)
	v_mul_lo_u32 v11, v3, s26
	v_sub_nc_u32_e32 v11, v7, v11
	s_delay_alu instid0(VALU_DEP_1) | instskip(SKIP_1) | instid1(VALU_DEP_2)
	v_subrev_nc_u32_e32 v13, s26, v11
	v_cmp_le_u32_e32 vcc_lo, s26, v11
	v_dual_cndmask_b32 v11, v11, v13 :: v_dual_add_nc_u32 v12, 1, v3
	s_delay_alu instid0(VALU_DEP_1) | instskip(NEXT) | instid1(VALU_DEP_2)
	v_cndmask_b32_e32 v3, v3, v12, vcc_lo
	v_cmp_le_u32_e32 vcc_lo, s26, v11
	s_delay_alu instid0(VALU_DEP_2) | instskip(NEXT) | instid1(VALU_DEP_1)
	v_add_nc_u32_e32 v12, 1, v3
	v_dual_cndmask_b32 v11, v3, v12 :: v_dual_mov_b32 v12, v2
.LBB32_9:                               ;   in Loop: Header=BB32_5 Depth=2
	s_or_b32 exec_lo, exec_lo, s1
	s_load_b64 s[44:45], s[24:25], 0xc8
	s_delay_alu instid0(VALU_DEP_1) | instskip(NEXT) | instid1(VALU_DEP_2)
	v_mul_lo_u32 v3, v12, s26
	v_mul_lo_u32 v15, v11, s27
	v_mad_u64_u32 v[13:14], null, v11, s26, 0
	s_add_i32 s43, s43, -1
	s_add_u32 s24, s24, -8
	s_addc_u32 s25, s25, -1
	s_cmp_gt_u32 s43, 2
	s_delay_alu instid0(VALU_DEP_1) | instskip(NEXT) | instid1(VALU_DEP_2)
	v_add3_u32 v3, v14, v15, v3
	v_sub_co_u32 v13, vcc_lo, v7, v13
	s_delay_alu instid0(VALU_DEP_2) | instskip(SKIP_1) | instid1(VALU_DEP_2)
	v_sub_co_ci_u32_e32 v3, vcc_lo, v8, v3, vcc_lo
	s_waitcnt lgkmcnt(0)
	v_mul_lo_u32 v14, s45, v13
	s_delay_alu instid0(VALU_DEP_2) | instskip(SKIP_1) | instid1(VALU_DEP_1)
	v_mul_lo_u32 v3, s44, v3
	v_mad_u64_u32 v[7:8], null, s44, v13, v[9:10]
	v_add3_u32 v10, v14, v8, v3
	s_delay_alu instid0(VALU_DEP_2)
	v_mov_b32_e32 v9, v7
	s_cbranch_scc0 .LBB32_11
; %bb.10:                               ;   in Loop: Header=BB32_5 Depth=2
	v_dual_mov_b32 v7, v11 :: v_dual_mov_b32 v8, v12
	s_branch .LBB32_5
.LBB32_11:                              ;   in Loop: Header=BB32_3 Depth=1
	s_delay_alu instid0(VALU_DEP_1) | instskip(SKIP_2) | instid1(VALU_DEP_1)
	v_mad_u64_u32 v[7:8], null, s14, v11, v[9:10]
	v_mul_lo_u32 v3, s14, v12
	v_mul_lo_u32 v9, s15, v11
	v_add3_u32 v8, v9, v8, v3
.LBB32_12:                              ;   in Loop: Header=BB32_3 Depth=1
	s_or_b32 exec_lo, exec_lo, s42
	v_mov_b32_e32 v9, 0
	v_mov_b32_e32 v10, 0
	s_and_saveexec_b32 s1, s0
	s_cbranch_execz .LBB32_21
; %bb.13:                               ;   in Loop: Header=BB32_3 Depth=1
	v_dual_mov_b32 v11, 0 :: v_dual_mov_b32 v10, v5
	v_dual_mov_b32 v12, 0 :: v_dual_mov_b32 v9, v4
	;; [unrolled: 1-line block ×3, first 2 shown]
	s_and_not1_b32 vcc_lo, exec_lo, s29
	s_mov_b64 s[24:25], s[22:23]
	s_mov_b32 s42, s34
	s_cbranch_vccnz .LBB32_20
.LBB32_14:                              ;   Parent Loop BB32_3 Depth=1
                                        ; =>  This Inner Loop Header: Depth=2
	s_load_b64 s[26:27], s[24:25], 0x0
                                        ; implicit-def: $vgpr13_vgpr14
	s_mov_b32 s0, exec_lo
	s_waitcnt lgkmcnt(0)
	v_or_b32_e32 v3, s27, v10
	s_delay_alu instid0(VALU_DEP_1)
	v_cmpx_ne_u64_e32 0, v[2:3]
	s_xor_b32 s43, exec_lo, s0
	s_cbranch_execz .LBB32_16
; %bb.15:                               ;   in Loop: Header=BB32_14 Depth=2
	v_cvt_f32_u32_e32 v3, s26
	v_cvt_f32_u32_e32 v13, s27
	s_sub_u32 s0, 0, s26
	s_subb_u32 s44, 0, s27
	s_delay_alu instid0(VALU_DEP_1) | instskip(NEXT) | instid1(VALU_DEP_1)
	v_fmac_f32_e32 v3, 0x4f800000, v13
	v_rcp_f32_e32 v3, v3
	s_waitcnt_depctr 0xfff
	v_mul_f32_e32 v3, 0x5f7ffffc, v3
	s_delay_alu instid0(VALU_DEP_1) | instskip(NEXT) | instid1(VALU_DEP_1)
	v_mul_f32_e32 v13, 0x2f800000, v3
	v_trunc_f32_e32 v13, v13
	s_delay_alu instid0(VALU_DEP_1) | instskip(SKIP_1) | instid1(VALU_DEP_2)
	v_fmac_f32_e32 v3, 0xcf800000, v13
	v_cvt_u32_f32_e32 v13, v13
	v_cvt_u32_f32_e32 v3, v3
	s_delay_alu instid0(VALU_DEP_2) | instskip(NEXT) | instid1(VALU_DEP_2)
	v_mul_lo_u32 v14, s0, v13
	v_mul_hi_u32 v15, s0, v3
	v_mul_lo_u32 v16, s44, v3
	s_delay_alu instid0(VALU_DEP_2) | instskip(SKIP_1) | instid1(VALU_DEP_2)
	v_add_nc_u32_e32 v14, v15, v14
	v_mul_lo_u32 v15, s0, v3
	v_add_nc_u32_e32 v14, v14, v16
	s_delay_alu instid0(VALU_DEP_2) | instskip(NEXT) | instid1(VALU_DEP_2)
	v_mul_hi_u32 v16, v3, v15
	v_mul_lo_u32 v17, v3, v14
	v_mul_hi_u32 v18, v3, v14
	v_mul_hi_u32 v19, v13, v15
	v_mul_lo_u32 v15, v13, v15
	v_mul_hi_u32 v20, v13, v14
	v_mul_lo_u32 v14, v13, v14
	v_add_co_u32 v16, vcc_lo, v16, v17
	v_add_co_ci_u32_e32 v17, vcc_lo, 0, v18, vcc_lo
	s_delay_alu instid0(VALU_DEP_2) | instskip(NEXT) | instid1(VALU_DEP_2)
	v_add_co_u32 v15, vcc_lo, v16, v15
	v_add_co_ci_u32_e32 v15, vcc_lo, v17, v19, vcc_lo
	v_add_co_ci_u32_e32 v16, vcc_lo, 0, v20, vcc_lo
	s_delay_alu instid0(VALU_DEP_2) | instskip(NEXT) | instid1(VALU_DEP_2)
	v_add_co_u32 v14, vcc_lo, v15, v14
	v_add_co_ci_u32_e32 v15, vcc_lo, 0, v16, vcc_lo
	s_delay_alu instid0(VALU_DEP_2) | instskip(NEXT) | instid1(VALU_DEP_2)
	v_add_co_u32 v3, vcc_lo, v3, v14
	v_add_co_ci_u32_e32 v13, vcc_lo, v13, v15, vcc_lo
	s_delay_alu instid0(VALU_DEP_2) | instskip(SKIP_1) | instid1(VALU_DEP_3)
	v_mul_hi_u32 v14, s0, v3
	v_mul_lo_u32 v16, s44, v3
	v_mul_lo_u32 v15, s0, v13
	s_delay_alu instid0(VALU_DEP_1) | instskip(SKIP_1) | instid1(VALU_DEP_2)
	v_add_nc_u32_e32 v14, v14, v15
	v_mul_lo_u32 v15, s0, v3
	v_add_nc_u32_e32 v14, v14, v16
	s_delay_alu instid0(VALU_DEP_2) | instskip(NEXT) | instid1(VALU_DEP_2)
	v_mul_hi_u32 v16, v3, v15
	v_mul_lo_u32 v17, v3, v14
	v_mul_hi_u32 v18, v3, v14
	v_mul_hi_u32 v19, v13, v15
	v_mul_lo_u32 v15, v13, v15
	v_mul_hi_u32 v20, v13, v14
	v_mul_lo_u32 v14, v13, v14
	v_add_co_u32 v16, vcc_lo, v16, v17
	v_add_co_ci_u32_e32 v17, vcc_lo, 0, v18, vcc_lo
	s_delay_alu instid0(VALU_DEP_2) | instskip(NEXT) | instid1(VALU_DEP_2)
	v_add_co_u32 v15, vcc_lo, v16, v15
	v_add_co_ci_u32_e32 v15, vcc_lo, v17, v19, vcc_lo
	v_add_co_ci_u32_e32 v16, vcc_lo, 0, v20, vcc_lo
	s_delay_alu instid0(VALU_DEP_2) | instskip(NEXT) | instid1(VALU_DEP_2)
	v_add_co_u32 v14, vcc_lo, v15, v14
	v_add_co_ci_u32_e32 v15, vcc_lo, 0, v16, vcc_lo
	s_delay_alu instid0(VALU_DEP_2) | instskip(NEXT) | instid1(VALU_DEP_2)
	v_add_co_u32 v3, vcc_lo, v3, v14
	v_add_co_ci_u32_e32 v19, vcc_lo, v13, v15, vcc_lo
	s_delay_alu instid0(VALU_DEP_2) | instskip(SKIP_1) | instid1(VALU_DEP_3)
	v_mul_hi_u32 v20, v9, v3
	v_mad_u64_u32 v[15:16], null, v10, v3, 0
	v_mad_u64_u32 v[13:14], null, v9, v19, 0
	v_mad_u64_u32 v[17:18], null, v10, v19, 0
	s_delay_alu instid0(VALU_DEP_2) | instskip(NEXT) | instid1(VALU_DEP_3)
	v_add_co_u32 v3, vcc_lo, v20, v13
	v_add_co_ci_u32_e32 v13, vcc_lo, 0, v14, vcc_lo
	s_delay_alu instid0(VALU_DEP_2) | instskip(NEXT) | instid1(VALU_DEP_2)
	v_add_co_u32 v3, vcc_lo, v3, v15
	v_add_co_ci_u32_e32 v3, vcc_lo, v13, v16, vcc_lo
	v_add_co_ci_u32_e32 v13, vcc_lo, 0, v18, vcc_lo
	s_delay_alu instid0(VALU_DEP_2) | instskip(NEXT) | instid1(VALU_DEP_2)
	v_add_co_u32 v3, vcc_lo, v3, v17
	v_add_co_ci_u32_e32 v15, vcc_lo, 0, v13, vcc_lo
	s_delay_alu instid0(VALU_DEP_2) | instskip(SKIP_1) | instid1(VALU_DEP_3)
	v_mul_lo_u32 v16, s27, v3
	v_mad_u64_u32 v[13:14], null, s26, v3, 0
	v_mul_lo_u32 v17, s26, v15
	s_delay_alu instid0(VALU_DEP_2) | instskip(NEXT) | instid1(VALU_DEP_2)
	v_sub_co_u32 v13, vcc_lo, v9, v13
	v_add3_u32 v14, v14, v17, v16
	s_delay_alu instid0(VALU_DEP_1) | instskip(NEXT) | instid1(VALU_DEP_1)
	v_sub_nc_u32_e32 v16, v10, v14
	v_subrev_co_ci_u32_e64 v16, s0, s27, v16, vcc_lo
	v_add_co_u32 v17, s0, v3, 2
	s_delay_alu instid0(VALU_DEP_1) | instskip(SKIP_3) | instid1(VALU_DEP_3)
	v_add_co_ci_u32_e64 v18, s0, 0, v15, s0
	v_sub_co_u32 v19, s0, v13, s26
	v_sub_co_ci_u32_e32 v14, vcc_lo, v10, v14, vcc_lo
	v_subrev_co_ci_u32_e64 v16, s0, 0, v16, s0
	v_cmp_le_u32_e32 vcc_lo, s26, v19
	s_delay_alu instid0(VALU_DEP_3) | instskip(SKIP_1) | instid1(VALU_DEP_4)
	v_cmp_eq_u32_e64 s0, s27, v14
	v_cndmask_b32_e64 v19, 0, -1, vcc_lo
	v_cmp_le_u32_e32 vcc_lo, s27, v16
	v_cndmask_b32_e64 v20, 0, -1, vcc_lo
	v_cmp_le_u32_e32 vcc_lo, s26, v13
	;; [unrolled: 2-line block ×3, first 2 shown]
	v_cndmask_b32_e64 v21, 0, -1, vcc_lo
	v_cmp_eq_u32_e32 vcc_lo, s27, v16
	s_delay_alu instid0(VALU_DEP_2) | instskip(SKIP_3) | instid1(VALU_DEP_3)
	v_cndmask_b32_e64 v13, v21, v13, s0
	v_cndmask_b32_e32 v16, v20, v19, vcc_lo
	v_add_co_u32 v19, vcc_lo, v3, 1
	v_add_co_ci_u32_e32 v20, vcc_lo, 0, v15, vcc_lo
	v_cmp_ne_u32_e32 vcc_lo, 0, v16
	s_delay_alu instid0(VALU_DEP_3) | instskip(NEXT) | instid1(VALU_DEP_3)
	v_cndmask_b32_e32 v16, v19, v17, vcc_lo
	v_cndmask_b32_e32 v14, v20, v18, vcc_lo
	v_cmp_ne_u32_e32 vcc_lo, 0, v13
	s_delay_alu instid0(VALU_DEP_3) | instskip(NEXT) | instid1(VALU_DEP_3)
	v_cndmask_b32_e32 v13, v3, v16, vcc_lo
	v_cndmask_b32_e32 v14, v15, v14, vcc_lo
.LBB32_16:                              ;   in Loop: Header=BB32_14 Depth=2
	s_and_not1_saveexec_b32 s0, s43
	s_cbranch_execz .LBB32_18
; %bb.17:                               ;   in Loop: Header=BB32_14 Depth=2
	v_cvt_f32_u32_e32 v3, s26
	s_sub_i32 s43, 0, s26
	s_delay_alu instid0(VALU_DEP_1) | instskip(SKIP_2) | instid1(VALU_DEP_1)
	v_rcp_iflag_f32_e32 v3, v3
	s_waitcnt_depctr 0xfff
	v_mul_f32_e32 v3, 0x4f7ffffe, v3
	v_cvt_u32_f32_e32 v3, v3
	s_delay_alu instid0(VALU_DEP_1) | instskip(NEXT) | instid1(VALU_DEP_1)
	v_mul_lo_u32 v13, s43, v3
	v_mul_hi_u32 v13, v3, v13
	s_delay_alu instid0(VALU_DEP_1) | instskip(NEXT) | instid1(VALU_DEP_1)
	v_add_nc_u32_e32 v3, v3, v13
	v_mul_hi_u32 v3, v9, v3
	s_delay_alu instid0(VALU_DEP_1) | instskip(SKIP_1) | instid1(VALU_DEP_2)
	v_mul_lo_u32 v13, v3, s26
	v_add_nc_u32_e32 v14, 1, v3
	v_sub_nc_u32_e32 v13, v9, v13
	s_delay_alu instid0(VALU_DEP_1) | instskip(SKIP_1) | instid1(VALU_DEP_2)
	v_subrev_nc_u32_e32 v15, s26, v13
	v_cmp_le_u32_e32 vcc_lo, s26, v13
	v_cndmask_b32_e32 v13, v13, v15, vcc_lo
	v_cndmask_b32_e32 v3, v3, v14, vcc_lo
	s_delay_alu instid0(VALU_DEP_2) | instskip(NEXT) | instid1(VALU_DEP_2)
	v_cmp_le_u32_e32 vcc_lo, s26, v13
	v_add_nc_u32_e32 v14, 1, v3
	s_delay_alu instid0(VALU_DEP_1)
	v_dual_cndmask_b32 v13, v3, v14 :: v_dual_mov_b32 v14, v2
.LBB32_18:                              ;   in Loop: Header=BB32_14 Depth=2
	s_or_b32 exec_lo, exec_lo, s0
	s_load_b64 s[44:45], s[24:25], 0xc8
	s_delay_alu instid0(VALU_DEP_1) | instskip(NEXT) | instid1(VALU_DEP_2)
	v_mul_lo_u32 v3, v14, s26
	v_mul_lo_u32 v17, v13, s27
	v_mad_u64_u32 v[15:16], null, v13, s26, 0
	s_add_i32 s42, s42, -1
	s_add_u32 s24, s24, -8
	s_addc_u32 s25, s25, -1
	s_cmp_gt_u32 s42, 2
	s_delay_alu instid0(VALU_DEP_1) | instskip(NEXT) | instid1(VALU_DEP_2)
	v_add3_u32 v3, v16, v17, v3
	v_sub_co_u32 v15, vcc_lo, v9, v15
	s_delay_alu instid0(VALU_DEP_2) | instskip(SKIP_1) | instid1(VALU_DEP_2)
	v_sub_co_ci_u32_e32 v3, vcc_lo, v10, v3, vcc_lo
	s_waitcnt lgkmcnt(0)
	v_mul_lo_u32 v16, s45, v15
	s_delay_alu instid0(VALU_DEP_2) | instskip(SKIP_1) | instid1(VALU_DEP_1)
	v_mul_lo_u32 v3, s44, v3
	v_mad_u64_u32 v[9:10], null, s44, v15, v[11:12]
	v_add3_u32 v12, v16, v10, v3
	s_delay_alu instid0(VALU_DEP_2)
	v_mov_b32_e32 v11, v9
	s_cbranch_scc0 .LBB32_20
; %bb.19:                               ;   in Loop: Header=BB32_14 Depth=2
	v_dual_mov_b32 v9, v13 :: v_dual_mov_b32 v10, v14
	s_branch .LBB32_14
.LBB32_20:                              ;   in Loop: Header=BB32_3 Depth=1
	s_delay_alu instid0(VALU_DEP_1) | instskip(SKIP_2) | instid1(VALU_DEP_1)
	v_mad_u64_u32 v[9:10], null, s2, v13, v[11:12]
	v_mul_lo_u32 v3, s2, v14
	v_mul_lo_u32 v11, s3, v13
	v_add3_u32 v10, v11, v10, v3
.LBB32_21:                              ;   in Loop: Header=BB32_3 Depth=1
	s_or_b32 exec_lo, exec_lo, s1
	v_dual_mov_b32 v16, v5 :: v_dual_mov_b32 v11, 0
	v_or_b32_e32 v15, 1, v4
	v_mov_b32_e32 v12, 0
	v_cmp_lt_i32_e64 s0, 1, v38
	s_delay_alu instid0(VALU_DEP_1)
	s_and_saveexec_b32 s42, s0
	s_cbranch_execz .LBB32_30
; %bb.22:                               ;   in Loop: Header=BB32_3 Depth=1
	v_mov_b32_e32 v13, 0
	v_dual_mov_b32 v14, 0 :: v_dual_mov_b32 v11, v15
	v_mov_b32_e32 v12, v16
	v_dual_mov_b32 v18, v16 :: v_dual_mov_b32 v17, v15
	s_and_not1_b32 vcc_lo, exec_lo, s28
	s_mov_b64 s[24:25], s[20:21]
	s_mov_b32 s43, s33
	s_cbranch_vccnz .LBB32_29
.LBB32_23:                              ;   Parent Loop BB32_3 Depth=1
                                        ; =>  This Inner Loop Header: Depth=2
	s_load_b64 s[26:27], s[24:25], 0x0
                                        ; implicit-def: $vgpr17_vgpr18
	s_mov_b32 s1, exec_lo
	s_waitcnt lgkmcnt(0)
	v_or_b32_e32 v3, s27, v12
	s_delay_alu instid0(VALU_DEP_1)
	v_cmpx_ne_u64_e32 0, v[2:3]
	s_xor_b32 s44, exec_lo, s1
	s_cbranch_execz .LBB32_25
; %bb.24:                               ;   in Loop: Header=BB32_23 Depth=2
	v_cvt_f32_u32_e32 v3, s26
	v_cvt_f32_u32_e32 v17, s27
	s_sub_u32 s1, 0, s26
	s_subb_u32 s45, 0, s27
	s_delay_alu instid0(VALU_DEP_1) | instskip(NEXT) | instid1(VALU_DEP_1)
	v_fmac_f32_e32 v3, 0x4f800000, v17
	v_rcp_f32_e32 v3, v3
	s_waitcnt_depctr 0xfff
	v_mul_f32_e32 v3, 0x5f7ffffc, v3
	s_delay_alu instid0(VALU_DEP_1) | instskip(NEXT) | instid1(VALU_DEP_1)
	v_mul_f32_e32 v17, 0x2f800000, v3
	v_trunc_f32_e32 v17, v17
	s_delay_alu instid0(VALU_DEP_1) | instskip(SKIP_1) | instid1(VALU_DEP_2)
	v_fmac_f32_e32 v3, 0xcf800000, v17
	v_cvt_u32_f32_e32 v17, v17
	v_cvt_u32_f32_e32 v3, v3
	s_delay_alu instid0(VALU_DEP_2) | instskip(NEXT) | instid1(VALU_DEP_2)
	v_mul_lo_u32 v18, s1, v17
	v_mul_hi_u32 v19, s1, v3
	v_mul_lo_u32 v20, s45, v3
	s_delay_alu instid0(VALU_DEP_2) | instskip(SKIP_1) | instid1(VALU_DEP_2)
	v_add_nc_u32_e32 v18, v19, v18
	v_mul_lo_u32 v19, s1, v3
	v_add_nc_u32_e32 v18, v18, v20
	s_delay_alu instid0(VALU_DEP_2) | instskip(NEXT) | instid1(VALU_DEP_2)
	v_mul_hi_u32 v20, v3, v19
	v_mul_lo_u32 v21, v3, v18
	v_mul_hi_u32 v22, v3, v18
	v_mul_hi_u32 v23, v17, v19
	v_mul_lo_u32 v19, v17, v19
	v_mul_hi_u32 v24, v17, v18
	v_mul_lo_u32 v18, v17, v18
	v_add_co_u32 v20, vcc_lo, v20, v21
	v_add_co_ci_u32_e32 v21, vcc_lo, 0, v22, vcc_lo
	s_delay_alu instid0(VALU_DEP_2) | instskip(NEXT) | instid1(VALU_DEP_2)
	v_add_co_u32 v19, vcc_lo, v20, v19
	v_add_co_ci_u32_e32 v19, vcc_lo, v21, v23, vcc_lo
	v_add_co_ci_u32_e32 v20, vcc_lo, 0, v24, vcc_lo
	s_delay_alu instid0(VALU_DEP_2) | instskip(NEXT) | instid1(VALU_DEP_2)
	v_add_co_u32 v18, vcc_lo, v19, v18
	v_add_co_ci_u32_e32 v19, vcc_lo, 0, v20, vcc_lo
	s_delay_alu instid0(VALU_DEP_2) | instskip(NEXT) | instid1(VALU_DEP_2)
	v_add_co_u32 v3, vcc_lo, v3, v18
	v_add_co_ci_u32_e32 v17, vcc_lo, v17, v19, vcc_lo
	s_delay_alu instid0(VALU_DEP_2) | instskip(SKIP_1) | instid1(VALU_DEP_3)
	v_mul_hi_u32 v18, s1, v3
	v_mul_lo_u32 v20, s45, v3
	v_mul_lo_u32 v19, s1, v17
	s_delay_alu instid0(VALU_DEP_1) | instskip(SKIP_1) | instid1(VALU_DEP_2)
	v_add_nc_u32_e32 v18, v18, v19
	v_mul_lo_u32 v19, s1, v3
	v_add_nc_u32_e32 v18, v18, v20
	s_delay_alu instid0(VALU_DEP_2) | instskip(NEXT) | instid1(VALU_DEP_2)
	v_mul_hi_u32 v20, v3, v19
	v_mul_lo_u32 v21, v3, v18
	v_mul_hi_u32 v22, v3, v18
	v_mul_hi_u32 v23, v17, v19
	v_mul_lo_u32 v19, v17, v19
	v_mul_hi_u32 v24, v17, v18
	v_mul_lo_u32 v18, v17, v18
	v_add_co_u32 v20, vcc_lo, v20, v21
	v_add_co_ci_u32_e32 v21, vcc_lo, 0, v22, vcc_lo
	s_delay_alu instid0(VALU_DEP_2) | instskip(NEXT) | instid1(VALU_DEP_2)
	v_add_co_u32 v19, vcc_lo, v20, v19
	v_add_co_ci_u32_e32 v19, vcc_lo, v21, v23, vcc_lo
	v_add_co_ci_u32_e32 v20, vcc_lo, 0, v24, vcc_lo
	s_delay_alu instid0(VALU_DEP_2) | instskip(NEXT) | instid1(VALU_DEP_2)
	v_add_co_u32 v18, vcc_lo, v19, v18
	v_add_co_ci_u32_e32 v19, vcc_lo, 0, v20, vcc_lo
	s_delay_alu instid0(VALU_DEP_2) | instskip(NEXT) | instid1(VALU_DEP_2)
	v_add_co_u32 v3, vcc_lo, v3, v18
	v_add_co_ci_u32_e32 v23, vcc_lo, v17, v19, vcc_lo
	s_delay_alu instid0(VALU_DEP_2) | instskip(SKIP_1) | instid1(VALU_DEP_3)
	v_mul_hi_u32 v24, v11, v3
	v_mad_u64_u32 v[19:20], null, v12, v3, 0
	v_mad_u64_u32 v[17:18], null, v11, v23, 0
	;; [unrolled: 1-line block ×3, first 2 shown]
	s_delay_alu instid0(VALU_DEP_2) | instskip(NEXT) | instid1(VALU_DEP_3)
	v_add_co_u32 v3, vcc_lo, v24, v17
	v_add_co_ci_u32_e32 v17, vcc_lo, 0, v18, vcc_lo
	s_delay_alu instid0(VALU_DEP_2) | instskip(NEXT) | instid1(VALU_DEP_2)
	v_add_co_u32 v3, vcc_lo, v3, v19
	v_add_co_ci_u32_e32 v3, vcc_lo, v17, v20, vcc_lo
	v_add_co_ci_u32_e32 v17, vcc_lo, 0, v22, vcc_lo
	s_delay_alu instid0(VALU_DEP_2) | instskip(NEXT) | instid1(VALU_DEP_2)
	v_add_co_u32 v3, vcc_lo, v3, v21
	v_add_co_ci_u32_e32 v19, vcc_lo, 0, v17, vcc_lo
	s_delay_alu instid0(VALU_DEP_2) | instskip(SKIP_1) | instid1(VALU_DEP_3)
	v_mul_lo_u32 v20, s27, v3
	v_mad_u64_u32 v[17:18], null, s26, v3, 0
	v_mul_lo_u32 v21, s26, v19
	s_delay_alu instid0(VALU_DEP_2) | instskip(NEXT) | instid1(VALU_DEP_2)
	v_sub_co_u32 v17, vcc_lo, v11, v17
	v_add3_u32 v18, v18, v21, v20
	s_delay_alu instid0(VALU_DEP_1) | instskip(NEXT) | instid1(VALU_DEP_1)
	v_sub_nc_u32_e32 v20, v12, v18
	v_subrev_co_ci_u32_e64 v20, s1, s27, v20, vcc_lo
	v_add_co_u32 v21, s1, v3, 2
	s_delay_alu instid0(VALU_DEP_1) | instskip(SKIP_3) | instid1(VALU_DEP_3)
	v_add_co_ci_u32_e64 v22, s1, 0, v19, s1
	v_sub_co_u32 v23, s1, v17, s26
	v_sub_co_ci_u32_e32 v18, vcc_lo, v12, v18, vcc_lo
	v_subrev_co_ci_u32_e64 v20, s1, 0, v20, s1
	v_cmp_le_u32_e32 vcc_lo, s26, v23
	s_delay_alu instid0(VALU_DEP_3) | instskip(SKIP_1) | instid1(VALU_DEP_4)
	v_cmp_eq_u32_e64 s1, s27, v18
	v_cndmask_b32_e64 v23, 0, -1, vcc_lo
	v_cmp_le_u32_e32 vcc_lo, s27, v20
	v_cndmask_b32_e64 v24, 0, -1, vcc_lo
	v_cmp_le_u32_e32 vcc_lo, s26, v17
	;; [unrolled: 2-line block ×3, first 2 shown]
	v_cndmask_b32_e64 v25, 0, -1, vcc_lo
	v_cmp_eq_u32_e32 vcc_lo, s27, v20
	s_delay_alu instid0(VALU_DEP_2) | instskip(SKIP_3) | instid1(VALU_DEP_3)
	v_cndmask_b32_e64 v17, v25, v17, s1
	v_cndmask_b32_e32 v20, v24, v23, vcc_lo
	v_add_co_u32 v23, vcc_lo, v3, 1
	v_add_co_ci_u32_e32 v24, vcc_lo, 0, v19, vcc_lo
	v_cmp_ne_u32_e32 vcc_lo, 0, v20
	s_delay_alu instid0(VALU_DEP_3) | instskip(NEXT) | instid1(VALU_DEP_3)
	v_cndmask_b32_e32 v20, v23, v21, vcc_lo
	v_cndmask_b32_e32 v18, v24, v22, vcc_lo
	v_cmp_ne_u32_e32 vcc_lo, 0, v17
	s_delay_alu instid0(VALU_DEP_3) | instskip(NEXT) | instid1(VALU_DEP_3)
	v_cndmask_b32_e32 v17, v3, v20, vcc_lo
	v_cndmask_b32_e32 v18, v19, v18, vcc_lo
.LBB32_25:                              ;   in Loop: Header=BB32_23 Depth=2
	s_and_not1_saveexec_b32 s1, s44
	s_cbranch_execz .LBB32_27
; %bb.26:                               ;   in Loop: Header=BB32_23 Depth=2
	v_cvt_f32_u32_e32 v3, s26
	s_sub_i32 s44, 0, s26
	s_delay_alu instid0(VALU_DEP_1) | instskip(SKIP_2) | instid1(VALU_DEP_1)
	v_rcp_iflag_f32_e32 v3, v3
	s_waitcnt_depctr 0xfff
	v_mul_f32_e32 v3, 0x4f7ffffe, v3
	v_cvt_u32_f32_e32 v3, v3
	s_delay_alu instid0(VALU_DEP_1) | instskip(NEXT) | instid1(VALU_DEP_1)
	v_mul_lo_u32 v17, s44, v3
	v_mul_hi_u32 v17, v3, v17
	s_delay_alu instid0(VALU_DEP_1) | instskip(NEXT) | instid1(VALU_DEP_1)
	v_add_nc_u32_e32 v3, v3, v17
	v_mul_hi_u32 v3, v11, v3
	s_delay_alu instid0(VALU_DEP_1) | instskip(SKIP_1) | instid1(VALU_DEP_2)
	v_mul_lo_u32 v17, v3, s26
	v_add_nc_u32_e32 v18, 1, v3
	v_sub_nc_u32_e32 v17, v11, v17
	s_delay_alu instid0(VALU_DEP_1) | instskip(SKIP_1) | instid1(VALU_DEP_2)
	v_subrev_nc_u32_e32 v19, s26, v17
	v_cmp_le_u32_e32 vcc_lo, s26, v17
	v_cndmask_b32_e32 v17, v17, v19, vcc_lo
	v_cndmask_b32_e32 v3, v3, v18, vcc_lo
	s_delay_alu instid0(VALU_DEP_2) | instskip(NEXT) | instid1(VALU_DEP_2)
	v_cmp_le_u32_e32 vcc_lo, s26, v17
	v_add_nc_u32_e32 v18, 1, v3
	s_delay_alu instid0(VALU_DEP_1)
	v_dual_cndmask_b32 v17, v3, v18 :: v_dual_mov_b32 v18, v2
.LBB32_27:                              ;   in Loop: Header=BB32_23 Depth=2
	s_or_b32 exec_lo, exec_lo, s1
	s_load_b64 s[44:45], s[24:25], 0xc8
	s_delay_alu instid0(VALU_DEP_1) | instskip(NEXT) | instid1(VALU_DEP_2)
	v_mul_lo_u32 v3, v18, s26
	v_mul_lo_u32 v21, v17, s27
	v_mad_u64_u32 v[19:20], null, v17, s26, 0
	s_add_i32 s43, s43, -1
	s_add_u32 s24, s24, -8
	s_addc_u32 s25, s25, -1
	s_cmp_gt_u32 s43, 2
	s_delay_alu instid0(VALU_DEP_1) | instskip(NEXT) | instid1(VALU_DEP_2)
	v_add3_u32 v3, v20, v21, v3
	v_sub_co_u32 v19, vcc_lo, v11, v19
	s_delay_alu instid0(VALU_DEP_2) | instskip(SKIP_1) | instid1(VALU_DEP_2)
	v_sub_co_ci_u32_e32 v3, vcc_lo, v12, v3, vcc_lo
	s_waitcnt lgkmcnt(0)
	v_mul_lo_u32 v20, s45, v19
	s_delay_alu instid0(VALU_DEP_2) | instskip(SKIP_1) | instid1(VALU_DEP_1)
	v_mul_lo_u32 v3, s44, v3
	v_mad_u64_u32 v[11:12], null, s44, v19, v[13:14]
	v_add3_u32 v14, v20, v12, v3
	s_delay_alu instid0(VALU_DEP_2)
	v_mov_b32_e32 v13, v11
	s_cbranch_scc0 .LBB32_29
; %bb.28:                               ;   in Loop: Header=BB32_23 Depth=2
	v_dual_mov_b32 v11, v17 :: v_dual_mov_b32 v12, v18
	s_branch .LBB32_23
.LBB32_29:                              ;   in Loop: Header=BB32_3 Depth=1
	s_delay_alu instid0(VALU_DEP_1) | instskip(SKIP_2) | instid1(VALU_DEP_1)
	v_mad_u64_u32 v[11:12], null, s14, v17, v[13:14]
	v_mul_lo_u32 v3, s14, v18
	v_mul_lo_u32 v13, s15, v17
	v_add3_u32 v12, v13, v12, v3
.LBB32_30:                              ;   in Loop: Header=BB32_3 Depth=1
	s_or_b32 exec_lo, exec_lo, s42
	v_mov_b32_e32 v13, 0
	v_mov_b32_e32 v14, 0
	s_and_saveexec_b32 s1, s0
	s_cbranch_execz .LBB32_33
; %bb.31:                               ;   in Loop: Header=BB32_3 Depth=1
	v_mov_b32_e32 v17, 0
	v_mov_b32_e32 v18, 0
	s_and_not1_b32 vcc_lo, exec_lo, s29
	s_mov_b64 s[24:25], s[22:23]
	s_mov_b32 s42, s34
	s_cbranch_vccz .LBB32_42
.LBB32_32:                              ;   in Loop: Header=BB32_3 Depth=1
	s_delay_alu instid0(VALU_DEP_1) | instskip(NEXT) | instid1(VALU_DEP_3)
	v_mad_u64_u32 v[13:14], null, s2, v15, v[17:18]
	v_mul_lo_u32 v3, s2, v16
	v_mul_lo_u32 v15, s3, v15
	s_delay_alu instid0(VALU_DEP_1)
	v_add3_u32 v14, v15, v14, v3
.LBB32_33:                              ;   in Loop: Header=BB32_3 Depth=1
	s_or_b32 exec_lo, exec_lo, s1
	v_dual_mov_b32 v20, v5 :: v_dual_mov_b32 v15, 0
	v_or_b32_e32 v19, 2, v4
	v_mov_b32_e32 v16, 0
	v_cmp_lt_i32_e64 s0, 2, v38
	s_delay_alu instid0(VALU_DEP_1)
	s_and_saveexec_b32 s42, s0
	s_cbranch_execz .LBB32_47
; %bb.34:                               ;   in Loop: Header=BB32_3 Depth=1
	v_mov_b32_e32 v17, 0
	v_dual_mov_b32 v18, 0 :: v_dual_mov_b32 v15, v19
	v_mov_b32_e32 v16, v20
	v_dual_mov_b32 v22, v20 :: v_dual_mov_b32 v21, v19
	s_and_not1_b32 vcc_lo, exec_lo, s28
	s_mov_b64 s[24:25], s[20:21]
	s_mov_b32 s43, s33
	s_cbranch_vccnz .LBB32_46
.LBB32_35:                              ;   Parent Loop BB32_3 Depth=1
                                        ; =>  This Inner Loop Header: Depth=2
	s_load_b64 s[26:27], s[24:25], 0x0
                                        ; implicit-def: $vgpr21_vgpr22
	s_mov_b32 s1, exec_lo
	s_waitcnt lgkmcnt(0)
	v_or_b32_e32 v3, s27, v16
	s_delay_alu instid0(VALU_DEP_1)
	v_cmpx_ne_u64_e32 0, v[2:3]
	s_xor_b32 s44, exec_lo, s1
	s_cbranch_execz .LBB32_37
; %bb.36:                               ;   in Loop: Header=BB32_35 Depth=2
	v_cvt_f32_u32_e32 v3, s26
	v_cvt_f32_u32_e32 v21, s27
	s_sub_u32 s1, 0, s26
	s_subb_u32 s45, 0, s27
	s_delay_alu instid0(VALU_DEP_1) | instskip(NEXT) | instid1(VALU_DEP_1)
	v_fmac_f32_e32 v3, 0x4f800000, v21
	v_rcp_f32_e32 v3, v3
	s_waitcnt_depctr 0xfff
	v_mul_f32_e32 v3, 0x5f7ffffc, v3
	s_delay_alu instid0(VALU_DEP_1) | instskip(NEXT) | instid1(VALU_DEP_1)
	v_mul_f32_e32 v21, 0x2f800000, v3
	v_trunc_f32_e32 v21, v21
	s_delay_alu instid0(VALU_DEP_1) | instskip(SKIP_1) | instid1(VALU_DEP_2)
	v_fmac_f32_e32 v3, 0xcf800000, v21
	v_cvt_u32_f32_e32 v21, v21
	v_cvt_u32_f32_e32 v3, v3
	s_delay_alu instid0(VALU_DEP_2) | instskip(NEXT) | instid1(VALU_DEP_2)
	v_mul_lo_u32 v22, s1, v21
	v_mul_hi_u32 v23, s1, v3
	v_mul_lo_u32 v24, s45, v3
	s_delay_alu instid0(VALU_DEP_2) | instskip(SKIP_1) | instid1(VALU_DEP_2)
	v_add_nc_u32_e32 v22, v23, v22
	v_mul_lo_u32 v23, s1, v3
	v_add_nc_u32_e32 v22, v22, v24
	s_delay_alu instid0(VALU_DEP_2) | instskip(NEXT) | instid1(VALU_DEP_2)
	v_mul_hi_u32 v24, v3, v23
	v_mul_lo_u32 v25, v3, v22
	v_mul_hi_u32 v26, v3, v22
	v_mul_hi_u32 v27, v21, v23
	v_mul_lo_u32 v23, v21, v23
	v_mul_hi_u32 v28, v21, v22
	v_mul_lo_u32 v22, v21, v22
	v_add_co_u32 v24, vcc_lo, v24, v25
	v_add_co_ci_u32_e32 v25, vcc_lo, 0, v26, vcc_lo
	s_delay_alu instid0(VALU_DEP_2) | instskip(NEXT) | instid1(VALU_DEP_2)
	v_add_co_u32 v23, vcc_lo, v24, v23
	v_add_co_ci_u32_e32 v23, vcc_lo, v25, v27, vcc_lo
	v_add_co_ci_u32_e32 v24, vcc_lo, 0, v28, vcc_lo
	s_delay_alu instid0(VALU_DEP_2) | instskip(NEXT) | instid1(VALU_DEP_2)
	v_add_co_u32 v22, vcc_lo, v23, v22
	v_add_co_ci_u32_e32 v23, vcc_lo, 0, v24, vcc_lo
	s_delay_alu instid0(VALU_DEP_2) | instskip(NEXT) | instid1(VALU_DEP_2)
	v_add_co_u32 v3, vcc_lo, v3, v22
	v_add_co_ci_u32_e32 v21, vcc_lo, v21, v23, vcc_lo
	s_delay_alu instid0(VALU_DEP_2) | instskip(SKIP_1) | instid1(VALU_DEP_3)
	v_mul_hi_u32 v22, s1, v3
	v_mul_lo_u32 v24, s45, v3
	v_mul_lo_u32 v23, s1, v21
	s_delay_alu instid0(VALU_DEP_1) | instskip(SKIP_1) | instid1(VALU_DEP_2)
	v_add_nc_u32_e32 v22, v22, v23
	v_mul_lo_u32 v23, s1, v3
	v_add_nc_u32_e32 v22, v22, v24
	s_delay_alu instid0(VALU_DEP_2) | instskip(NEXT) | instid1(VALU_DEP_2)
	v_mul_hi_u32 v24, v3, v23
	v_mul_lo_u32 v25, v3, v22
	v_mul_hi_u32 v26, v3, v22
	v_mul_hi_u32 v27, v21, v23
	v_mul_lo_u32 v23, v21, v23
	v_mul_hi_u32 v28, v21, v22
	v_mul_lo_u32 v22, v21, v22
	v_add_co_u32 v24, vcc_lo, v24, v25
	v_add_co_ci_u32_e32 v25, vcc_lo, 0, v26, vcc_lo
	s_delay_alu instid0(VALU_DEP_2) | instskip(NEXT) | instid1(VALU_DEP_2)
	v_add_co_u32 v23, vcc_lo, v24, v23
	v_add_co_ci_u32_e32 v23, vcc_lo, v25, v27, vcc_lo
	v_add_co_ci_u32_e32 v24, vcc_lo, 0, v28, vcc_lo
	s_delay_alu instid0(VALU_DEP_2) | instskip(NEXT) | instid1(VALU_DEP_2)
	v_add_co_u32 v22, vcc_lo, v23, v22
	v_add_co_ci_u32_e32 v23, vcc_lo, 0, v24, vcc_lo
	s_delay_alu instid0(VALU_DEP_2) | instskip(NEXT) | instid1(VALU_DEP_2)
	v_add_co_u32 v3, vcc_lo, v3, v22
	v_add_co_ci_u32_e32 v27, vcc_lo, v21, v23, vcc_lo
	s_delay_alu instid0(VALU_DEP_2) | instskip(SKIP_1) | instid1(VALU_DEP_3)
	v_mul_hi_u32 v28, v15, v3
	v_mad_u64_u32 v[23:24], null, v16, v3, 0
	v_mad_u64_u32 v[21:22], null, v15, v27, 0
	;; [unrolled: 1-line block ×3, first 2 shown]
	s_delay_alu instid0(VALU_DEP_2) | instskip(NEXT) | instid1(VALU_DEP_3)
	v_add_co_u32 v3, vcc_lo, v28, v21
	v_add_co_ci_u32_e32 v21, vcc_lo, 0, v22, vcc_lo
	s_delay_alu instid0(VALU_DEP_2) | instskip(NEXT) | instid1(VALU_DEP_2)
	v_add_co_u32 v3, vcc_lo, v3, v23
	v_add_co_ci_u32_e32 v3, vcc_lo, v21, v24, vcc_lo
	v_add_co_ci_u32_e32 v21, vcc_lo, 0, v26, vcc_lo
	s_delay_alu instid0(VALU_DEP_2) | instskip(NEXT) | instid1(VALU_DEP_2)
	v_add_co_u32 v3, vcc_lo, v3, v25
	v_add_co_ci_u32_e32 v23, vcc_lo, 0, v21, vcc_lo
	s_delay_alu instid0(VALU_DEP_2) | instskip(SKIP_1) | instid1(VALU_DEP_3)
	v_mul_lo_u32 v24, s27, v3
	v_mad_u64_u32 v[21:22], null, s26, v3, 0
	v_mul_lo_u32 v25, s26, v23
	s_delay_alu instid0(VALU_DEP_2) | instskip(NEXT) | instid1(VALU_DEP_2)
	v_sub_co_u32 v21, vcc_lo, v15, v21
	v_add3_u32 v22, v22, v25, v24
	s_delay_alu instid0(VALU_DEP_1) | instskip(NEXT) | instid1(VALU_DEP_1)
	v_sub_nc_u32_e32 v24, v16, v22
	v_subrev_co_ci_u32_e64 v24, s1, s27, v24, vcc_lo
	v_add_co_u32 v25, s1, v3, 2
	s_delay_alu instid0(VALU_DEP_1) | instskip(SKIP_3) | instid1(VALU_DEP_3)
	v_add_co_ci_u32_e64 v26, s1, 0, v23, s1
	v_sub_co_u32 v27, s1, v21, s26
	v_sub_co_ci_u32_e32 v22, vcc_lo, v16, v22, vcc_lo
	v_subrev_co_ci_u32_e64 v24, s1, 0, v24, s1
	v_cmp_le_u32_e32 vcc_lo, s26, v27
	s_delay_alu instid0(VALU_DEP_3) | instskip(SKIP_1) | instid1(VALU_DEP_4)
	v_cmp_eq_u32_e64 s1, s27, v22
	v_cndmask_b32_e64 v27, 0, -1, vcc_lo
	v_cmp_le_u32_e32 vcc_lo, s27, v24
	v_cndmask_b32_e64 v28, 0, -1, vcc_lo
	v_cmp_le_u32_e32 vcc_lo, s26, v21
	;; [unrolled: 2-line block ×3, first 2 shown]
	v_cndmask_b32_e64 v29, 0, -1, vcc_lo
	v_cmp_eq_u32_e32 vcc_lo, s27, v24
	s_delay_alu instid0(VALU_DEP_2) | instskip(SKIP_3) | instid1(VALU_DEP_3)
	v_cndmask_b32_e64 v21, v29, v21, s1
	v_cndmask_b32_e32 v24, v28, v27, vcc_lo
	v_add_co_u32 v27, vcc_lo, v3, 1
	v_add_co_ci_u32_e32 v28, vcc_lo, 0, v23, vcc_lo
	v_cmp_ne_u32_e32 vcc_lo, 0, v24
	s_delay_alu instid0(VALU_DEP_3) | instskip(NEXT) | instid1(VALU_DEP_3)
	v_cndmask_b32_e32 v24, v27, v25, vcc_lo
	v_cndmask_b32_e32 v22, v28, v26, vcc_lo
	v_cmp_ne_u32_e32 vcc_lo, 0, v21
	s_delay_alu instid0(VALU_DEP_3) | instskip(NEXT) | instid1(VALU_DEP_3)
	v_cndmask_b32_e32 v21, v3, v24, vcc_lo
	v_cndmask_b32_e32 v22, v23, v22, vcc_lo
.LBB32_37:                              ;   in Loop: Header=BB32_35 Depth=2
	s_and_not1_saveexec_b32 s1, s44
	s_cbranch_execz .LBB32_39
; %bb.38:                               ;   in Loop: Header=BB32_35 Depth=2
	v_cvt_f32_u32_e32 v3, s26
	s_sub_i32 s44, 0, s26
	s_delay_alu instid0(VALU_DEP_1) | instskip(SKIP_2) | instid1(VALU_DEP_1)
	v_rcp_iflag_f32_e32 v3, v3
	s_waitcnt_depctr 0xfff
	v_mul_f32_e32 v3, 0x4f7ffffe, v3
	v_cvt_u32_f32_e32 v3, v3
	s_delay_alu instid0(VALU_DEP_1) | instskip(NEXT) | instid1(VALU_DEP_1)
	v_mul_lo_u32 v21, s44, v3
	v_mul_hi_u32 v21, v3, v21
	s_delay_alu instid0(VALU_DEP_1) | instskip(NEXT) | instid1(VALU_DEP_1)
	v_add_nc_u32_e32 v3, v3, v21
	v_mul_hi_u32 v3, v15, v3
	s_delay_alu instid0(VALU_DEP_1) | instskip(SKIP_1) | instid1(VALU_DEP_2)
	v_mul_lo_u32 v21, v3, s26
	v_add_nc_u32_e32 v22, 1, v3
	v_sub_nc_u32_e32 v21, v15, v21
	s_delay_alu instid0(VALU_DEP_1) | instskip(SKIP_1) | instid1(VALU_DEP_2)
	v_subrev_nc_u32_e32 v23, s26, v21
	v_cmp_le_u32_e32 vcc_lo, s26, v21
	v_cndmask_b32_e32 v21, v21, v23, vcc_lo
	v_cndmask_b32_e32 v3, v3, v22, vcc_lo
	s_delay_alu instid0(VALU_DEP_2) | instskip(NEXT) | instid1(VALU_DEP_2)
	v_cmp_le_u32_e32 vcc_lo, s26, v21
	v_add_nc_u32_e32 v22, 1, v3
	s_delay_alu instid0(VALU_DEP_1)
	v_dual_cndmask_b32 v21, v3, v22 :: v_dual_mov_b32 v22, v2
.LBB32_39:                              ;   in Loop: Header=BB32_35 Depth=2
	s_or_b32 exec_lo, exec_lo, s1
	s_load_b64 s[44:45], s[24:25], 0xc8
	s_delay_alu instid0(VALU_DEP_1) | instskip(NEXT) | instid1(VALU_DEP_2)
	v_mul_lo_u32 v3, v22, s26
	v_mul_lo_u32 v25, v21, s27
	v_mad_u64_u32 v[23:24], null, v21, s26, 0
	s_add_i32 s43, s43, -1
	s_add_u32 s24, s24, -8
	s_addc_u32 s25, s25, -1
	s_cmp_gt_u32 s43, 2
	s_delay_alu instid0(VALU_DEP_1) | instskip(NEXT) | instid1(VALU_DEP_2)
	v_add3_u32 v3, v24, v25, v3
	v_sub_co_u32 v23, vcc_lo, v15, v23
	s_delay_alu instid0(VALU_DEP_2) | instskip(SKIP_1) | instid1(VALU_DEP_2)
	v_sub_co_ci_u32_e32 v3, vcc_lo, v16, v3, vcc_lo
	s_waitcnt lgkmcnt(0)
	v_mul_lo_u32 v24, s45, v23
	s_delay_alu instid0(VALU_DEP_2) | instskip(SKIP_1) | instid1(VALU_DEP_1)
	v_mul_lo_u32 v3, s44, v3
	v_mad_u64_u32 v[15:16], null, s44, v23, v[17:18]
	v_add3_u32 v18, v24, v16, v3
	s_delay_alu instid0(VALU_DEP_2)
	v_mov_b32_e32 v17, v15
	s_cbranch_scc0 .LBB32_46
; %bb.40:                               ;   in Loop: Header=BB32_35 Depth=2
	v_dual_mov_b32 v15, v21 :: v_dual_mov_b32 v16, v22
	s_branch .LBB32_35
.LBB32_41:                              ;   in Loop: Header=BB32_42 Depth=2
	s_or_b32 exec_lo, exec_lo, s0
	s_load_b64 s[44:45], s[24:25], 0xc8
	s_delay_alu instid0(VALU_DEP_1)
	v_mul_lo_u32 v3, v14, s26
	v_mul_lo_u32 v21, v13, s27
	v_mad_u64_u32 v[19:20], null, v13, s26, 0
	s_add_i32 s42, s42, -1
	s_add_u32 s24, s24, -8
	s_addc_u32 s25, s25, -1
	s_cmp_gt_u32 s42, 2
	s_delay_alu instid0(VALU_DEP_1) | instskip(NEXT) | instid1(VALU_DEP_2)
	v_add3_u32 v3, v20, v21, v3
	v_sub_co_u32 v19, vcc_lo, v15, v19
	s_delay_alu instid0(VALU_DEP_2) | instskip(SKIP_1) | instid1(VALU_DEP_2)
	v_sub_co_ci_u32_e32 v3, vcc_lo, v16, v3, vcc_lo
	s_waitcnt lgkmcnt(0)
	v_mul_lo_u32 v20, s45, v19
	s_delay_alu instid0(VALU_DEP_2) | instskip(SKIP_1) | instid1(VALU_DEP_1)
	v_mul_lo_u32 v3, s44, v3
	v_mad_u64_u32 v[15:16], null, s44, v19, v[17:18]
	v_add3_u32 v18, v20, v16, v3
	s_delay_alu instid0(VALU_DEP_2)
	v_dual_mov_b32 v17, v15 :: v_dual_mov_b32 v16, v14
	v_mov_b32_e32 v15, v13
	s_cbranch_scc0 .LBB32_32
.LBB32_42:                              ;   Parent Loop BB32_3 Depth=1
                                        ; =>  This Inner Loop Header: Depth=2
	s_load_b64 s[26:27], s[24:25], 0x0
                                        ; implicit-def: $vgpr13_vgpr14
	s_mov_b32 s0, exec_lo
	s_waitcnt lgkmcnt(0)
	v_or_b32_e32 v3, s27, v16
	s_delay_alu instid0(VALU_DEP_1)
	v_cmpx_ne_u64_e32 0, v[2:3]
	s_xor_b32 s43, exec_lo, s0
	s_cbranch_execz .LBB32_44
; %bb.43:                               ;   in Loop: Header=BB32_42 Depth=2
	v_cvt_f32_u32_e32 v3, s26
	v_cvt_f32_u32_e32 v13, s27
	s_sub_u32 s0, 0, s26
	s_subb_u32 s44, 0, s27
	s_delay_alu instid0(VALU_DEP_1) | instskip(NEXT) | instid1(VALU_DEP_1)
	v_fmac_f32_e32 v3, 0x4f800000, v13
	v_rcp_f32_e32 v3, v3
	s_waitcnt_depctr 0xfff
	v_mul_f32_e32 v3, 0x5f7ffffc, v3
	s_delay_alu instid0(VALU_DEP_1) | instskip(NEXT) | instid1(VALU_DEP_1)
	v_mul_f32_e32 v13, 0x2f800000, v3
	v_trunc_f32_e32 v13, v13
	s_delay_alu instid0(VALU_DEP_1) | instskip(SKIP_1) | instid1(VALU_DEP_2)
	v_fmac_f32_e32 v3, 0xcf800000, v13
	v_cvt_u32_f32_e32 v13, v13
	v_cvt_u32_f32_e32 v3, v3
	s_delay_alu instid0(VALU_DEP_2) | instskip(NEXT) | instid1(VALU_DEP_2)
	v_mul_lo_u32 v14, s0, v13
	v_mul_hi_u32 v19, s0, v3
	v_mul_lo_u32 v20, s44, v3
	s_delay_alu instid0(VALU_DEP_2) | instskip(SKIP_1) | instid1(VALU_DEP_2)
	v_add_nc_u32_e32 v14, v19, v14
	v_mul_lo_u32 v19, s0, v3
	v_add_nc_u32_e32 v14, v14, v20
	s_delay_alu instid0(VALU_DEP_2) | instskip(NEXT) | instid1(VALU_DEP_2)
	v_mul_hi_u32 v20, v3, v19
	v_mul_lo_u32 v21, v3, v14
	v_mul_hi_u32 v22, v3, v14
	v_mul_hi_u32 v23, v13, v19
	v_mul_lo_u32 v19, v13, v19
	v_mul_hi_u32 v24, v13, v14
	v_mul_lo_u32 v14, v13, v14
	v_add_co_u32 v20, vcc_lo, v20, v21
	v_add_co_ci_u32_e32 v21, vcc_lo, 0, v22, vcc_lo
	s_delay_alu instid0(VALU_DEP_2) | instskip(NEXT) | instid1(VALU_DEP_2)
	v_add_co_u32 v19, vcc_lo, v20, v19
	v_add_co_ci_u32_e32 v19, vcc_lo, v21, v23, vcc_lo
	v_add_co_ci_u32_e32 v20, vcc_lo, 0, v24, vcc_lo
	s_delay_alu instid0(VALU_DEP_2) | instskip(NEXT) | instid1(VALU_DEP_2)
	v_add_co_u32 v14, vcc_lo, v19, v14
	v_add_co_ci_u32_e32 v19, vcc_lo, 0, v20, vcc_lo
	s_delay_alu instid0(VALU_DEP_2) | instskip(NEXT) | instid1(VALU_DEP_2)
	v_add_co_u32 v3, vcc_lo, v3, v14
	v_add_co_ci_u32_e32 v13, vcc_lo, v13, v19, vcc_lo
	s_delay_alu instid0(VALU_DEP_2) | instskip(SKIP_1) | instid1(VALU_DEP_3)
	v_mul_hi_u32 v14, s0, v3
	v_mul_lo_u32 v20, s44, v3
	v_mul_lo_u32 v19, s0, v13
	s_delay_alu instid0(VALU_DEP_1) | instskip(SKIP_1) | instid1(VALU_DEP_2)
	v_add_nc_u32_e32 v14, v14, v19
	v_mul_lo_u32 v19, s0, v3
	v_add_nc_u32_e32 v14, v14, v20
	s_delay_alu instid0(VALU_DEP_2) | instskip(NEXT) | instid1(VALU_DEP_2)
	v_mul_hi_u32 v20, v3, v19
	v_mul_lo_u32 v21, v3, v14
	v_mul_hi_u32 v22, v3, v14
	v_mul_hi_u32 v23, v13, v19
	v_mul_lo_u32 v19, v13, v19
	v_mul_hi_u32 v24, v13, v14
	v_mul_lo_u32 v14, v13, v14
	v_add_co_u32 v20, vcc_lo, v20, v21
	v_add_co_ci_u32_e32 v21, vcc_lo, 0, v22, vcc_lo
	s_delay_alu instid0(VALU_DEP_2) | instskip(NEXT) | instid1(VALU_DEP_2)
	v_add_co_u32 v19, vcc_lo, v20, v19
	v_add_co_ci_u32_e32 v19, vcc_lo, v21, v23, vcc_lo
	v_add_co_ci_u32_e32 v20, vcc_lo, 0, v24, vcc_lo
	s_delay_alu instid0(VALU_DEP_2) | instskip(NEXT) | instid1(VALU_DEP_2)
	v_add_co_u32 v14, vcc_lo, v19, v14
	v_add_co_ci_u32_e32 v19, vcc_lo, 0, v20, vcc_lo
	s_delay_alu instid0(VALU_DEP_2) | instskip(NEXT) | instid1(VALU_DEP_2)
	v_add_co_u32 v3, vcc_lo, v3, v14
	v_add_co_ci_u32_e32 v23, vcc_lo, v13, v19, vcc_lo
	s_delay_alu instid0(VALU_DEP_2) | instskip(SKIP_1) | instid1(VALU_DEP_3)
	v_mul_hi_u32 v24, v15, v3
	v_mad_u64_u32 v[19:20], null, v16, v3, 0
	v_mad_u64_u32 v[13:14], null, v15, v23, 0
	;; [unrolled: 1-line block ×3, first 2 shown]
	s_delay_alu instid0(VALU_DEP_2) | instskip(NEXT) | instid1(VALU_DEP_3)
	v_add_co_u32 v3, vcc_lo, v24, v13
	v_add_co_ci_u32_e32 v13, vcc_lo, 0, v14, vcc_lo
	s_delay_alu instid0(VALU_DEP_2) | instskip(NEXT) | instid1(VALU_DEP_2)
	v_add_co_u32 v3, vcc_lo, v3, v19
	v_add_co_ci_u32_e32 v3, vcc_lo, v13, v20, vcc_lo
	v_add_co_ci_u32_e32 v13, vcc_lo, 0, v22, vcc_lo
	s_delay_alu instid0(VALU_DEP_2) | instskip(NEXT) | instid1(VALU_DEP_2)
	v_add_co_u32 v3, vcc_lo, v3, v21
	v_add_co_ci_u32_e32 v19, vcc_lo, 0, v13, vcc_lo
	s_delay_alu instid0(VALU_DEP_2) | instskip(SKIP_1) | instid1(VALU_DEP_3)
	v_mul_lo_u32 v20, s27, v3
	v_mad_u64_u32 v[13:14], null, s26, v3, 0
	v_mul_lo_u32 v21, s26, v19
	s_delay_alu instid0(VALU_DEP_2) | instskip(NEXT) | instid1(VALU_DEP_2)
	v_sub_co_u32 v13, vcc_lo, v15, v13
	v_add3_u32 v14, v14, v21, v20
	s_delay_alu instid0(VALU_DEP_1) | instskip(NEXT) | instid1(VALU_DEP_1)
	v_sub_nc_u32_e32 v20, v16, v14
	v_subrev_co_ci_u32_e64 v20, s0, s27, v20, vcc_lo
	v_add_co_u32 v21, s0, v3, 2
	s_delay_alu instid0(VALU_DEP_1) | instskip(SKIP_3) | instid1(VALU_DEP_3)
	v_add_co_ci_u32_e64 v22, s0, 0, v19, s0
	v_sub_co_u32 v23, s0, v13, s26
	v_sub_co_ci_u32_e32 v14, vcc_lo, v16, v14, vcc_lo
	v_subrev_co_ci_u32_e64 v20, s0, 0, v20, s0
	v_cmp_le_u32_e32 vcc_lo, s26, v23
	s_delay_alu instid0(VALU_DEP_3) | instskip(SKIP_1) | instid1(VALU_DEP_4)
	v_cmp_eq_u32_e64 s0, s27, v14
	v_cndmask_b32_e64 v23, 0, -1, vcc_lo
	v_cmp_le_u32_e32 vcc_lo, s27, v20
	v_cndmask_b32_e64 v24, 0, -1, vcc_lo
	v_cmp_le_u32_e32 vcc_lo, s26, v13
	;; [unrolled: 2-line block ×3, first 2 shown]
	v_cndmask_b32_e64 v25, 0, -1, vcc_lo
	v_cmp_eq_u32_e32 vcc_lo, s27, v20
	s_delay_alu instid0(VALU_DEP_2) | instskip(SKIP_3) | instid1(VALU_DEP_3)
	v_cndmask_b32_e64 v13, v25, v13, s0
	v_cndmask_b32_e32 v20, v24, v23, vcc_lo
	v_add_co_u32 v23, vcc_lo, v3, 1
	v_add_co_ci_u32_e32 v24, vcc_lo, 0, v19, vcc_lo
	v_cmp_ne_u32_e32 vcc_lo, 0, v20
	s_delay_alu instid0(VALU_DEP_3) | instskip(NEXT) | instid1(VALU_DEP_3)
	v_cndmask_b32_e32 v20, v23, v21, vcc_lo
	v_cndmask_b32_e32 v14, v24, v22, vcc_lo
	v_cmp_ne_u32_e32 vcc_lo, 0, v13
	s_delay_alu instid0(VALU_DEP_3) | instskip(NEXT) | instid1(VALU_DEP_3)
	v_cndmask_b32_e32 v13, v3, v20, vcc_lo
	v_cndmask_b32_e32 v14, v19, v14, vcc_lo
.LBB32_44:                              ;   in Loop: Header=BB32_42 Depth=2
	s_and_not1_saveexec_b32 s0, s43
	s_cbranch_execz .LBB32_41
; %bb.45:                               ;   in Loop: Header=BB32_42 Depth=2
	v_cvt_f32_u32_e32 v3, s26
	s_sub_i32 s43, 0, s26
	s_delay_alu instid0(VALU_DEP_1) | instskip(SKIP_2) | instid1(VALU_DEP_1)
	v_rcp_iflag_f32_e32 v3, v3
	s_waitcnt_depctr 0xfff
	v_mul_f32_e32 v3, 0x4f7ffffe, v3
	v_cvt_u32_f32_e32 v3, v3
	s_delay_alu instid0(VALU_DEP_1) | instskip(NEXT) | instid1(VALU_DEP_1)
	v_mul_lo_u32 v13, s43, v3
	v_mul_hi_u32 v13, v3, v13
	s_delay_alu instid0(VALU_DEP_1) | instskip(NEXT) | instid1(VALU_DEP_1)
	v_add_nc_u32_e32 v3, v3, v13
	v_mul_hi_u32 v3, v15, v3
	s_delay_alu instid0(VALU_DEP_1) | instskip(SKIP_1) | instid1(VALU_DEP_2)
	v_mul_lo_u32 v13, v3, s26
	v_add_nc_u32_e32 v14, 1, v3
	v_sub_nc_u32_e32 v13, v15, v13
	s_delay_alu instid0(VALU_DEP_1) | instskip(SKIP_1) | instid1(VALU_DEP_2)
	v_subrev_nc_u32_e32 v19, s26, v13
	v_cmp_le_u32_e32 vcc_lo, s26, v13
	v_cndmask_b32_e32 v13, v13, v19, vcc_lo
	v_cndmask_b32_e32 v3, v3, v14, vcc_lo
	s_delay_alu instid0(VALU_DEP_2) | instskip(NEXT) | instid1(VALU_DEP_2)
	v_cmp_le_u32_e32 vcc_lo, s26, v13
	v_add_nc_u32_e32 v14, 1, v3
	s_delay_alu instid0(VALU_DEP_1)
	v_dual_cndmask_b32 v13, v3, v14 :: v_dual_mov_b32 v14, v2
	s_branch .LBB32_41
.LBB32_46:                              ;   in Loop: Header=BB32_3 Depth=1
	s_delay_alu instid0(VALU_DEP_1) | instskip(SKIP_2) | instid1(VALU_DEP_1)
	v_mad_u64_u32 v[15:16], null, s14, v21, v[17:18]
	v_mul_lo_u32 v3, s14, v22
	v_mul_lo_u32 v17, s15, v21
	v_add3_u32 v16, v17, v16, v3
.LBB32_47:                              ;   in Loop: Header=BB32_3 Depth=1
	s_or_b32 exec_lo, exec_lo, s42
	v_mov_b32_e32 v17, 0
	v_mov_b32_e32 v18, 0
	s_and_saveexec_b32 s1, s0
	s_cbranch_execz .LBB32_50
; %bb.48:                               ;   in Loop: Header=BB32_3 Depth=1
	v_mov_b32_e32 v21, 0
	v_mov_b32_e32 v22, 0
	s_and_not1_b32 vcc_lo, exec_lo, s29
	s_mov_b64 s[24:25], s[22:23]
	s_mov_b32 s42, s34
	s_cbranch_vccz .LBB32_59
.LBB32_49:                              ;   in Loop: Header=BB32_3 Depth=1
	s_delay_alu instid0(VALU_DEP_1) | instskip(NEXT) | instid1(VALU_DEP_3)
	v_mad_u64_u32 v[17:18], null, s2, v19, v[21:22]
	v_mul_lo_u32 v3, s2, v20
	v_mul_lo_u32 v19, s3, v19
	s_delay_alu instid0(VALU_DEP_1)
	v_add3_u32 v18, v19, v18, v3
.LBB32_50:                              ;   in Loop: Header=BB32_3 Depth=1
	s_or_b32 exec_lo, exec_lo, s1
	v_dual_mov_b32 v22, v5 :: v_dual_mov_b32 v19, 0
	v_or_b32_e32 v21, 3, v4
	v_mov_b32_e32 v20, 0
	v_cmp_lt_i32_e64 s0, 3, v38
	s_delay_alu instid0(VALU_DEP_1)
	s_and_saveexec_b32 s42, s0
	s_cbranch_execz .LBB32_64
; %bb.51:                               ;   in Loop: Header=BB32_3 Depth=1
	v_mov_b32_e32 v23, 0
	v_dual_mov_b32 v24, 0 :: v_dual_mov_b32 v19, v21
	v_mov_b32_e32 v20, v22
	v_dual_mov_b32 v26, v22 :: v_dual_mov_b32 v25, v21
	s_and_not1_b32 vcc_lo, exec_lo, s28
	s_mov_b64 s[24:25], s[20:21]
	s_mov_b32 s43, s33
	s_cbranch_vccnz .LBB32_63
.LBB32_52:                              ;   Parent Loop BB32_3 Depth=1
                                        ; =>  This Inner Loop Header: Depth=2
	s_load_b64 s[26:27], s[24:25], 0x0
                                        ; implicit-def: $vgpr25_vgpr26
	s_mov_b32 s1, exec_lo
	s_waitcnt lgkmcnt(0)
	v_or_b32_e32 v3, s27, v20
	s_delay_alu instid0(VALU_DEP_1)
	v_cmpx_ne_u64_e32 0, v[2:3]
	s_xor_b32 s44, exec_lo, s1
	s_cbranch_execz .LBB32_54
; %bb.53:                               ;   in Loop: Header=BB32_52 Depth=2
	v_cvt_f32_u32_e32 v3, s26
	v_cvt_f32_u32_e32 v25, s27
	s_sub_u32 s1, 0, s26
	s_subb_u32 s45, 0, s27
	s_delay_alu instid0(VALU_DEP_1) | instskip(NEXT) | instid1(VALU_DEP_1)
	v_fmac_f32_e32 v3, 0x4f800000, v25
	v_rcp_f32_e32 v3, v3
	s_waitcnt_depctr 0xfff
	v_mul_f32_e32 v3, 0x5f7ffffc, v3
	s_delay_alu instid0(VALU_DEP_1) | instskip(NEXT) | instid1(VALU_DEP_1)
	v_mul_f32_e32 v25, 0x2f800000, v3
	v_trunc_f32_e32 v25, v25
	s_delay_alu instid0(VALU_DEP_1) | instskip(SKIP_1) | instid1(VALU_DEP_2)
	v_fmac_f32_e32 v3, 0xcf800000, v25
	v_cvt_u32_f32_e32 v25, v25
	v_cvt_u32_f32_e32 v3, v3
	s_delay_alu instid0(VALU_DEP_2) | instskip(NEXT) | instid1(VALU_DEP_2)
	v_mul_lo_u32 v26, s1, v25
	v_mul_hi_u32 v27, s1, v3
	v_mul_lo_u32 v28, s45, v3
	s_delay_alu instid0(VALU_DEP_2) | instskip(SKIP_1) | instid1(VALU_DEP_2)
	v_add_nc_u32_e32 v26, v27, v26
	v_mul_lo_u32 v27, s1, v3
	v_add_nc_u32_e32 v26, v26, v28
	s_delay_alu instid0(VALU_DEP_2) | instskip(NEXT) | instid1(VALU_DEP_2)
	v_mul_hi_u32 v28, v3, v27
	v_mul_lo_u32 v29, v3, v26
	v_mul_hi_u32 v30, v3, v26
	v_mul_hi_u32 v31, v25, v27
	v_mul_lo_u32 v27, v25, v27
	v_mul_hi_u32 v32, v25, v26
	v_mul_lo_u32 v26, v25, v26
	v_add_co_u32 v28, vcc_lo, v28, v29
	v_add_co_ci_u32_e32 v29, vcc_lo, 0, v30, vcc_lo
	s_delay_alu instid0(VALU_DEP_2) | instskip(NEXT) | instid1(VALU_DEP_2)
	v_add_co_u32 v27, vcc_lo, v28, v27
	v_add_co_ci_u32_e32 v27, vcc_lo, v29, v31, vcc_lo
	v_add_co_ci_u32_e32 v28, vcc_lo, 0, v32, vcc_lo
	s_delay_alu instid0(VALU_DEP_2) | instskip(NEXT) | instid1(VALU_DEP_2)
	v_add_co_u32 v26, vcc_lo, v27, v26
	v_add_co_ci_u32_e32 v27, vcc_lo, 0, v28, vcc_lo
	s_delay_alu instid0(VALU_DEP_2) | instskip(NEXT) | instid1(VALU_DEP_2)
	v_add_co_u32 v3, vcc_lo, v3, v26
	v_add_co_ci_u32_e32 v25, vcc_lo, v25, v27, vcc_lo
	s_delay_alu instid0(VALU_DEP_2) | instskip(SKIP_1) | instid1(VALU_DEP_3)
	v_mul_hi_u32 v26, s1, v3
	v_mul_lo_u32 v28, s45, v3
	v_mul_lo_u32 v27, s1, v25
	s_delay_alu instid0(VALU_DEP_1) | instskip(SKIP_1) | instid1(VALU_DEP_2)
	v_add_nc_u32_e32 v26, v26, v27
	v_mul_lo_u32 v27, s1, v3
	v_add_nc_u32_e32 v26, v26, v28
	s_delay_alu instid0(VALU_DEP_2) | instskip(NEXT) | instid1(VALU_DEP_2)
	v_mul_hi_u32 v28, v3, v27
	v_mul_lo_u32 v29, v3, v26
	v_mul_hi_u32 v30, v3, v26
	v_mul_hi_u32 v31, v25, v27
	v_mul_lo_u32 v27, v25, v27
	v_mul_hi_u32 v32, v25, v26
	v_mul_lo_u32 v26, v25, v26
	v_add_co_u32 v28, vcc_lo, v28, v29
	v_add_co_ci_u32_e32 v29, vcc_lo, 0, v30, vcc_lo
	s_delay_alu instid0(VALU_DEP_2) | instskip(NEXT) | instid1(VALU_DEP_2)
	v_add_co_u32 v27, vcc_lo, v28, v27
	v_add_co_ci_u32_e32 v27, vcc_lo, v29, v31, vcc_lo
	v_add_co_ci_u32_e32 v28, vcc_lo, 0, v32, vcc_lo
	s_delay_alu instid0(VALU_DEP_2) | instskip(NEXT) | instid1(VALU_DEP_2)
	v_add_co_u32 v26, vcc_lo, v27, v26
	v_add_co_ci_u32_e32 v27, vcc_lo, 0, v28, vcc_lo
	s_delay_alu instid0(VALU_DEP_2) | instskip(NEXT) | instid1(VALU_DEP_2)
	v_add_co_u32 v3, vcc_lo, v3, v26
	v_add_co_ci_u32_e32 v31, vcc_lo, v25, v27, vcc_lo
	s_delay_alu instid0(VALU_DEP_2) | instskip(SKIP_1) | instid1(VALU_DEP_3)
	v_mul_hi_u32 v32, v19, v3
	v_mad_u64_u32 v[27:28], null, v20, v3, 0
	v_mad_u64_u32 v[25:26], null, v19, v31, 0
	;; [unrolled: 1-line block ×3, first 2 shown]
	s_delay_alu instid0(VALU_DEP_2) | instskip(NEXT) | instid1(VALU_DEP_3)
	v_add_co_u32 v3, vcc_lo, v32, v25
	v_add_co_ci_u32_e32 v25, vcc_lo, 0, v26, vcc_lo
	s_delay_alu instid0(VALU_DEP_2) | instskip(NEXT) | instid1(VALU_DEP_2)
	v_add_co_u32 v3, vcc_lo, v3, v27
	v_add_co_ci_u32_e32 v3, vcc_lo, v25, v28, vcc_lo
	v_add_co_ci_u32_e32 v25, vcc_lo, 0, v30, vcc_lo
	s_delay_alu instid0(VALU_DEP_2) | instskip(NEXT) | instid1(VALU_DEP_2)
	v_add_co_u32 v3, vcc_lo, v3, v29
	v_add_co_ci_u32_e32 v27, vcc_lo, 0, v25, vcc_lo
	s_delay_alu instid0(VALU_DEP_2) | instskip(SKIP_1) | instid1(VALU_DEP_3)
	v_mul_lo_u32 v28, s27, v3
	v_mad_u64_u32 v[25:26], null, s26, v3, 0
	v_mul_lo_u32 v29, s26, v27
	s_delay_alu instid0(VALU_DEP_2) | instskip(NEXT) | instid1(VALU_DEP_2)
	v_sub_co_u32 v25, vcc_lo, v19, v25
	v_add3_u32 v26, v26, v29, v28
	s_delay_alu instid0(VALU_DEP_1) | instskip(NEXT) | instid1(VALU_DEP_1)
	v_sub_nc_u32_e32 v28, v20, v26
	v_subrev_co_ci_u32_e64 v28, s1, s27, v28, vcc_lo
	v_add_co_u32 v29, s1, v3, 2
	s_delay_alu instid0(VALU_DEP_1) | instskip(SKIP_3) | instid1(VALU_DEP_3)
	v_add_co_ci_u32_e64 v30, s1, 0, v27, s1
	v_sub_co_u32 v31, s1, v25, s26
	v_sub_co_ci_u32_e32 v26, vcc_lo, v20, v26, vcc_lo
	v_subrev_co_ci_u32_e64 v28, s1, 0, v28, s1
	v_cmp_le_u32_e32 vcc_lo, s26, v31
	s_delay_alu instid0(VALU_DEP_3) | instskip(SKIP_1) | instid1(VALU_DEP_4)
	v_cmp_eq_u32_e64 s1, s27, v26
	v_cndmask_b32_e64 v31, 0, -1, vcc_lo
	v_cmp_le_u32_e32 vcc_lo, s27, v28
	v_cndmask_b32_e64 v32, 0, -1, vcc_lo
	v_cmp_le_u32_e32 vcc_lo, s26, v25
	;; [unrolled: 2-line block ×3, first 2 shown]
	v_cndmask_b32_e64 v33, 0, -1, vcc_lo
	v_cmp_eq_u32_e32 vcc_lo, s27, v28
	s_delay_alu instid0(VALU_DEP_2) | instskip(SKIP_3) | instid1(VALU_DEP_3)
	v_cndmask_b32_e64 v25, v33, v25, s1
	v_cndmask_b32_e32 v28, v32, v31, vcc_lo
	v_add_co_u32 v31, vcc_lo, v3, 1
	v_add_co_ci_u32_e32 v32, vcc_lo, 0, v27, vcc_lo
	v_cmp_ne_u32_e32 vcc_lo, 0, v28
	s_delay_alu instid0(VALU_DEP_3) | instskip(NEXT) | instid1(VALU_DEP_3)
	v_cndmask_b32_e32 v28, v31, v29, vcc_lo
	v_cndmask_b32_e32 v26, v32, v30, vcc_lo
	v_cmp_ne_u32_e32 vcc_lo, 0, v25
	s_delay_alu instid0(VALU_DEP_3) | instskip(NEXT) | instid1(VALU_DEP_3)
	v_cndmask_b32_e32 v25, v3, v28, vcc_lo
	v_cndmask_b32_e32 v26, v27, v26, vcc_lo
.LBB32_54:                              ;   in Loop: Header=BB32_52 Depth=2
	s_and_not1_saveexec_b32 s1, s44
	s_cbranch_execz .LBB32_56
; %bb.55:                               ;   in Loop: Header=BB32_52 Depth=2
	v_cvt_f32_u32_e32 v3, s26
	s_sub_i32 s44, 0, s26
	s_delay_alu instid0(VALU_DEP_1) | instskip(SKIP_2) | instid1(VALU_DEP_1)
	v_rcp_iflag_f32_e32 v3, v3
	s_waitcnt_depctr 0xfff
	v_mul_f32_e32 v3, 0x4f7ffffe, v3
	v_cvt_u32_f32_e32 v3, v3
	s_delay_alu instid0(VALU_DEP_1) | instskip(NEXT) | instid1(VALU_DEP_1)
	v_mul_lo_u32 v25, s44, v3
	v_mul_hi_u32 v25, v3, v25
	s_delay_alu instid0(VALU_DEP_1) | instskip(NEXT) | instid1(VALU_DEP_1)
	v_add_nc_u32_e32 v3, v3, v25
	v_mul_hi_u32 v3, v19, v3
	s_delay_alu instid0(VALU_DEP_1) | instskip(SKIP_1) | instid1(VALU_DEP_2)
	v_mul_lo_u32 v25, v3, s26
	v_add_nc_u32_e32 v26, 1, v3
	v_sub_nc_u32_e32 v25, v19, v25
	s_delay_alu instid0(VALU_DEP_1) | instskip(SKIP_1) | instid1(VALU_DEP_2)
	v_subrev_nc_u32_e32 v27, s26, v25
	v_cmp_le_u32_e32 vcc_lo, s26, v25
	v_cndmask_b32_e32 v25, v25, v27, vcc_lo
	v_cndmask_b32_e32 v3, v3, v26, vcc_lo
	s_delay_alu instid0(VALU_DEP_2) | instskip(NEXT) | instid1(VALU_DEP_2)
	v_cmp_le_u32_e32 vcc_lo, s26, v25
	v_add_nc_u32_e32 v26, 1, v3
	s_delay_alu instid0(VALU_DEP_1)
	v_dual_cndmask_b32 v25, v3, v26 :: v_dual_mov_b32 v26, v2
.LBB32_56:                              ;   in Loop: Header=BB32_52 Depth=2
	s_or_b32 exec_lo, exec_lo, s1
	s_load_b64 s[44:45], s[24:25], 0xc8
	s_delay_alu instid0(VALU_DEP_1) | instskip(NEXT) | instid1(VALU_DEP_2)
	v_mul_lo_u32 v3, v26, s26
	v_mul_lo_u32 v29, v25, s27
	v_mad_u64_u32 v[27:28], null, v25, s26, 0
	s_add_i32 s43, s43, -1
	s_add_u32 s24, s24, -8
	s_addc_u32 s25, s25, -1
	s_cmp_gt_u32 s43, 2
	s_delay_alu instid0(VALU_DEP_1) | instskip(NEXT) | instid1(VALU_DEP_2)
	v_add3_u32 v3, v28, v29, v3
	v_sub_co_u32 v27, vcc_lo, v19, v27
	s_delay_alu instid0(VALU_DEP_2) | instskip(SKIP_1) | instid1(VALU_DEP_2)
	v_sub_co_ci_u32_e32 v3, vcc_lo, v20, v3, vcc_lo
	s_waitcnt lgkmcnt(0)
	v_mul_lo_u32 v28, s45, v27
	s_delay_alu instid0(VALU_DEP_2) | instskip(SKIP_1) | instid1(VALU_DEP_1)
	v_mul_lo_u32 v3, s44, v3
	v_mad_u64_u32 v[19:20], null, s44, v27, v[23:24]
	v_add3_u32 v24, v28, v20, v3
	s_delay_alu instid0(VALU_DEP_2)
	v_mov_b32_e32 v23, v19
	s_cbranch_scc0 .LBB32_63
; %bb.57:                               ;   in Loop: Header=BB32_52 Depth=2
	v_dual_mov_b32 v19, v25 :: v_dual_mov_b32 v20, v26
	s_branch .LBB32_52
.LBB32_58:                              ;   in Loop: Header=BB32_59 Depth=2
	s_or_b32 exec_lo, exec_lo, s0
	s_load_b64 s[44:45], s[24:25], 0xc8
	s_delay_alu instid0(VALU_DEP_1)
	v_mul_lo_u32 v3, v18, s26
	v_mul_lo_u32 v25, v17, s27
	v_mad_u64_u32 v[23:24], null, v17, s26, 0
	s_add_i32 s42, s42, -1
	s_add_u32 s24, s24, -8
	s_addc_u32 s25, s25, -1
	s_cmp_gt_u32 s42, 2
	s_delay_alu instid0(VALU_DEP_1) | instskip(NEXT) | instid1(VALU_DEP_2)
	v_add3_u32 v3, v24, v25, v3
	v_sub_co_u32 v23, vcc_lo, v19, v23
	s_delay_alu instid0(VALU_DEP_2) | instskip(SKIP_1) | instid1(VALU_DEP_2)
	v_sub_co_ci_u32_e32 v3, vcc_lo, v20, v3, vcc_lo
	s_waitcnt lgkmcnt(0)
	v_mul_lo_u32 v24, s45, v23
	s_delay_alu instid0(VALU_DEP_2) | instskip(SKIP_1) | instid1(VALU_DEP_1)
	v_mul_lo_u32 v3, s44, v3
	v_mad_u64_u32 v[19:20], null, s44, v23, v[21:22]
	v_add3_u32 v22, v24, v20, v3
	s_delay_alu instid0(VALU_DEP_2)
	v_dual_mov_b32 v21, v19 :: v_dual_mov_b32 v20, v18
	v_mov_b32_e32 v19, v17
	s_cbranch_scc0 .LBB32_49
.LBB32_59:                              ;   Parent Loop BB32_3 Depth=1
                                        ; =>  This Inner Loop Header: Depth=2
	s_load_b64 s[26:27], s[24:25], 0x0
                                        ; implicit-def: $vgpr17_vgpr18
	s_mov_b32 s0, exec_lo
	s_waitcnt lgkmcnt(0)
	v_or_b32_e32 v3, s27, v20
	s_delay_alu instid0(VALU_DEP_1)
	v_cmpx_ne_u64_e32 0, v[2:3]
	s_xor_b32 s43, exec_lo, s0
	s_cbranch_execz .LBB32_61
; %bb.60:                               ;   in Loop: Header=BB32_59 Depth=2
	v_cvt_f32_u32_e32 v3, s26
	v_cvt_f32_u32_e32 v17, s27
	s_sub_u32 s0, 0, s26
	s_subb_u32 s44, 0, s27
	s_delay_alu instid0(VALU_DEP_1) | instskip(NEXT) | instid1(VALU_DEP_1)
	v_fmac_f32_e32 v3, 0x4f800000, v17
	v_rcp_f32_e32 v3, v3
	s_waitcnt_depctr 0xfff
	v_mul_f32_e32 v3, 0x5f7ffffc, v3
	s_delay_alu instid0(VALU_DEP_1) | instskip(NEXT) | instid1(VALU_DEP_1)
	v_mul_f32_e32 v17, 0x2f800000, v3
	v_trunc_f32_e32 v17, v17
	s_delay_alu instid0(VALU_DEP_1) | instskip(SKIP_1) | instid1(VALU_DEP_2)
	v_fmac_f32_e32 v3, 0xcf800000, v17
	v_cvt_u32_f32_e32 v17, v17
	v_cvt_u32_f32_e32 v3, v3
	s_delay_alu instid0(VALU_DEP_2) | instskip(NEXT) | instid1(VALU_DEP_2)
	v_mul_lo_u32 v18, s0, v17
	v_mul_hi_u32 v23, s0, v3
	v_mul_lo_u32 v24, s44, v3
	s_delay_alu instid0(VALU_DEP_2) | instskip(SKIP_1) | instid1(VALU_DEP_2)
	v_add_nc_u32_e32 v18, v23, v18
	v_mul_lo_u32 v23, s0, v3
	v_add_nc_u32_e32 v18, v18, v24
	s_delay_alu instid0(VALU_DEP_2) | instskip(NEXT) | instid1(VALU_DEP_2)
	v_mul_hi_u32 v24, v3, v23
	v_mul_lo_u32 v25, v3, v18
	v_mul_hi_u32 v26, v3, v18
	v_mul_hi_u32 v27, v17, v23
	v_mul_lo_u32 v23, v17, v23
	v_mul_hi_u32 v28, v17, v18
	v_mul_lo_u32 v18, v17, v18
	v_add_co_u32 v24, vcc_lo, v24, v25
	v_add_co_ci_u32_e32 v25, vcc_lo, 0, v26, vcc_lo
	s_delay_alu instid0(VALU_DEP_2) | instskip(NEXT) | instid1(VALU_DEP_2)
	v_add_co_u32 v23, vcc_lo, v24, v23
	v_add_co_ci_u32_e32 v23, vcc_lo, v25, v27, vcc_lo
	v_add_co_ci_u32_e32 v24, vcc_lo, 0, v28, vcc_lo
	s_delay_alu instid0(VALU_DEP_2) | instskip(NEXT) | instid1(VALU_DEP_2)
	v_add_co_u32 v18, vcc_lo, v23, v18
	v_add_co_ci_u32_e32 v23, vcc_lo, 0, v24, vcc_lo
	s_delay_alu instid0(VALU_DEP_2) | instskip(NEXT) | instid1(VALU_DEP_2)
	v_add_co_u32 v3, vcc_lo, v3, v18
	v_add_co_ci_u32_e32 v17, vcc_lo, v17, v23, vcc_lo
	s_delay_alu instid0(VALU_DEP_2) | instskip(SKIP_1) | instid1(VALU_DEP_3)
	v_mul_hi_u32 v18, s0, v3
	v_mul_lo_u32 v24, s44, v3
	v_mul_lo_u32 v23, s0, v17
	s_delay_alu instid0(VALU_DEP_1) | instskip(SKIP_1) | instid1(VALU_DEP_2)
	v_add_nc_u32_e32 v18, v18, v23
	v_mul_lo_u32 v23, s0, v3
	v_add_nc_u32_e32 v18, v18, v24
	s_delay_alu instid0(VALU_DEP_2) | instskip(NEXT) | instid1(VALU_DEP_2)
	v_mul_hi_u32 v24, v3, v23
	v_mul_lo_u32 v25, v3, v18
	v_mul_hi_u32 v26, v3, v18
	v_mul_hi_u32 v27, v17, v23
	v_mul_lo_u32 v23, v17, v23
	v_mul_hi_u32 v28, v17, v18
	v_mul_lo_u32 v18, v17, v18
	v_add_co_u32 v24, vcc_lo, v24, v25
	v_add_co_ci_u32_e32 v25, vcc_lo, 0, v26, vcc_lo
	s_delay_alu instid0(VALU_DEP_2) | instskip(NEXT) | instid1(VALU_DEP_2)
	v_add_co_u32 v23, vcc_lo, v24, v23
	v_add_co_ci_u32_e32 v23, vcc_lo, v25, v27, vcc_lo
	v_add_co_ci_u32_e32 v24, vcc_lo, 0, v28, vcc_lo
	s_delay_alu instid0(VALU_DEP_2) | instskip(NEXT) | instid1(VALU_DEP_2)
	v_add_co_u32 v18, vcc_lo, v23, v18
	v_add_co_ci_u32_e32 v23, vcc_lo, 0, v24, vcc_lo
	s_delay_alu instid0(VALU_DEP_2) | instskip(NEXT) | instid1(VALU_DEP_2)
	v_add_co_u32 v3, vcc_lo, v3, v18
	v_add_co_ci_u32_e32 v27, vcc_lo, v17, v23, vcc_lo
	s_delay_alu instid0(VALU_DEP_2) | instskip(SKIP_1) | instid1(VALU_DEP_3)
	v_mul_hi_u32 v28, v19, v3
	v_mad_u64_u32 v[23:24], null, v20, v3, 0
	v_mad_u64_u32 v[17:18], null, v19, v27, 0
	;; [unrolled: 1-line block ×3, first 2 shown]
	s_delay_alu instid0(VALU_DEP_2) | instskip(NEXT) | instid1(VALU_DEP_3)
	v_add_co_u32 v3, vcc_lo, v28, v17
	v_add_co_ci_u32_e32 v17, vcc_lo, 0, v18, vcc_lo
	s_delay_alu instid0(VALU_DEP_2) | instskip(NEXT) | instid1(VALU_DEP_2)
	v_add_co_u32 v3, vcc_lo, v3, v23
	v_add_co_ci_u32_e32 v3, vcc_lo, v17, v24, vcc_lo
	v_add_co_ci_u32_e32 v17, vcc_lo, 0, v26, vcc_lo
	s_delay_alu instid0(VALU_DEP_2) | instskip(NEXT) | instid1(VALU_DEP_2)
	v_add_co_u32 v3, vcc_lo, v3, v25
	v_add_co_ci_u32_e32 v23, vcc_lo, 0, v17, vcc_lo
	s_delay_alu instid0(VALU_DEP_2) | instskip(SKIP_1) | instid1(VALU_DEP_3)
	v_mul_lo_u32 v24, s27, v3
	v_mad_u64_u32 v[17:18], null, s26, v3, 0
	v_mul_lo_u32 v25, s26, v23
	s_delay_alu instid0(VALU_DEP_2) | instskip(NEXT) | instid1(VALU_DEP_2)
	v_sub_co_u32 v17, vcc_lo, v19, v17
	v_add3_u32 v18, v18, v25, v24
	s_delay_alu instid0(VALU_DEP_1) | instskip(NEXT) | instid1(VALU_DEP_1)
	v_sub_nc_u32_e32 v24, v20, v18
	v_subrev_co_ci_u32_e64 v24, s0, s27, v24, vcc_lo
	v_add_co_u32 v25, s0, v3, 2
	s_delay_alu instid0(VALU_DEP_1) | instskip(SKIP_3) | instid1(VALU_DEP_3)
	v_add_co_ci_u32_e64 v26, s0, 0, v23, s0
	v_sub_co_u32 v27, s0, v17, s26
	v_sub_co_ci_u32_e32 v18, vcc_lo, v20, v18, vcc_lo
	v_subrev_co_ci_u32_e64 v24, s0, 0, v24, s0
	v_cmp_le_u32_e32 vcc_lo, s26, v27
	s_delay_alu instid0(VALU_DEP_3) | instskip(SKIP_1) | instid1(VALU_DEP_4)
	v_cmp_eq_u32_e64 s0, s27, v18
	v_cndmask_b32_e64 v27, 0, -1, vcc_lo
	v_cmp_le_u32_e32 vcc_lo, s27, v24
	v_cndmask_b32_e64 v28, 0, -1, vcc_lo
	v_cmp_le_u32_e32 vcc_lo, s26, v17
	;; [unrolled: 2-line block ×3, first 2 shown]
	v_cndmask_b32_e64 v29, 0, -1, vcc_lo
	v_cmp_eq_u32_e32 vcc_lo, s27, v24
	s_delay_alu instid0(VALU_DEP_2) | instskip(SKIP_3) | instid1(VALU_DEP_3)
	v_cndmask_b32_e64 v17, v29, v17, s0
	v_cndmask_b32_e32 v24, v28, v27, vcc_lo
	v_add_co_u32 v27, vcc_lo, v3, 1
	v_add_co_ci_u32_e32 v28, vcc_lo, 0, v23, vcc_lo
	v_cmp_ne_u32_e32 vcc_lo, 0, v24
	s_delay_alu instid0(VALU_DEP_3) | instskip(NEXT) | instid1(VALU_DEP_3)
	v_cndmask_b32_e32 v24, v27, v25, vcc_lo
	v_cndmask_b32_e32 v18, v28, v26, vcc_lo
	v_cmp_ne_u32_e32 vcc_lo, 0, v17
	s_delay_alu instid0(VALU_DEP_3) | instskip(NEXT) | instid1(VALU_DEP_3)
	v_cndmask_b32_e32 v17, v3, v24, vcc_lo
	v_cndmask_b32_e32 v18, v23, v18, vcc_lo
.LBB32_61:                              ;   in Loop: Header=BB32_59 Depth=2
	s_and_not1_saveexec_b32 s0, s43
	s_cbranch_execz .LBB32_58
; %bb.62:                               ;   in Loop: Header=BB32_59 Depth=2
	v_cvt_f32_u32_e32 v3, s26
	s_sub_i32 s43, 0, s26
	s_delay_alu instid0(VALU_DEP_1) | instskip(SKIP_2) | instid1(VALU_DEP_1)
	v_rcp_iflag_f32_e32 v3, v3
	s_waitcnt_depctr 0xfff
	v_mul_f32_e32 v3, 0x4f7ffffe, v3
	v_cvt_u32_f32_e32 v3, v3
	s_delay_alu instid0(VALU_DEP_1) | instskip(NEXT) | instid1(VALU_DEP_1)
	v_mul_lo_u32 v17, s43, v3
	v_mul_hi_u32 v17, v3, v17
	s_delay_alu instid0(VALU_DEP_1) | instskip(NEXT) | instid1(VALU_DEP_1)
	v_add_nc_u32_e32 v3, v3, v17
	v_mul_hi_u32 v3, v19, v3
	s_delay_alu instid0(VALU_DEP_1) | instskip(SKIP_1) | instid1(VALU_DEP_2)
	v_mul_lo_u32 v17, v3, s26
	v_add_nc_u32_e32 v18, 1, v3
	v_sub_nc_u32_e32 v17, v19, v17
	s_delay_alu instid0(VALU_DEP_1) | instskip(SKIP_1) | instid1(VALU_DEP_2)
	v_subrev_nc_u32_e32 v23, s26, v17
	v_cmp_le_u32_e32 vcc_lo, s26, v17
	v_cndmask_b32_e32 v17, v17, v23, vcc_lo
	v_cndmask_b32_e32 v3, v3, v18, vcc_lo
	s_delay_alu instid0(VALU_DEP_2) | instskip(NEXT) | instid1(VALU_DEP_2)
	v_cmp_le_u32_e32 vcc_lo, s26, v17
	v_add_nc_u32_e32 v18, 1, v3
	s_delay_alu instid0(VALU_DEP_1)
	v_dual_cndmask_b32 v17, v3, v18 :: v_dual_mov_b32 v18, v2
	s_branch .LBB32_58
.LBB32_63:                              ;   in Loop: Header=BB32_3 Depth=1
	s_delay_alu instid0(VALU_DEP_1) | instskip(SKIP_2) | instid1(VALU_DEP_1)
	v_mad_u64_u32 v[19:20], null, s14, v25, v[23:24]
	v_mul_lo_u32 v3, s14, v26
	v_mul_lo_u32 v23, s15, v25
	v_add3_u32 v20, v23, v20, v3
.LBB32_64:                              ;   in Loop: Header=BB32_3 Depth=1
	s_or_b32 exec_lo, exec_lo, s42
	v_mov_b32_e32 v25, 0
	v_mov_b32_e32 v26, 0
	s_and_saveexec_b32 s1, s0
	s_cbranch_execz .LBB32_67
; %bb.65:                               ;   in Loop: Header=BB32_3 Depth=1
	v_mov_b32_e32 v23, 0
	v_mov_b32_e32 v24, 0
	s_and_not1_b32 vcc_lo, exec_lo, s29
	s_mov_b64 s[24:25], s[22:23]
	s_mov_b32 s42, s34
	s_cbranch_vccz .LBB32_97
.LBB32_66:                              ;   in Loop: Header=BB32_3 Depth=1
	s_delay_alu instid0(VALU_DEP_1) | instskip(NEXT) | instid1(VALU_DEP_2)
	v_mad_u64_u32 v[25:26], null, s2, v21, v[23:24]
	v_mul_lo_u32 v3, s2, v22
	v_mul_lo_u32 v21, s3, v21
	s_delay_alu instid0(VALU_DEP_1)
	v_add3_u32 v26, v21, v26, v3
.LBB32_67:                              ;   in Loop: Header=BB32_3 Depth=1
	s_or_b32 exec_lo, exec_lo, s1
	s_delay_alu instid0(VALU_DEP_1) | instskip(SKIP_2) | instid1(VALU_DEP_3)
	v_lshlrev_b64 v[21:22], 2, v[25:26]
	v_dual_mov_b32 v26, s9 :: v_dual_mov_b32 v25, s8
	v_dual_mov_b32 v28, s7 :: v_dual_mov_b32 v27, s6
	v_add_co_u32 v21, vcc_lo, s12, v21
	s_delay_alu instid0(VALU_DEP_4)
	v_add_co_ci_u32_e32 v22, vcc_lo, s13, v22, vcc_lo
	s_and_not1_b32 vcc_lo, exec_lo, s30
	global_load_b32 v3, v[21:22], off
	s_cbranch_vccnz .LBB32_69
; %bb.68:                               ;   in Loop: Header=BB32_3 Depth=1
	v_dual_mov_b32 v22, s9 :: v_dual_mov_b32 v21, s8
	v_dual_mov_b32 v24, s7 :: v_dual_mov_b32 v23, s6
	flat_load_b64 v[21:22], v[21:22]
	flat_load_b64 v[27:28], v[23:24]
	s_waitcnt vmcnt(1) lgkmcnt(1)
	v_add_co_u32 v25, vcc_lo, v21, s10
	v_add_co_ci_u32_e32 v26, vcc_lo, s11, v22, vcc_lo
.LBB32_69:                              ;   in Loop: Header=BB32_3 Depth=1
	s_delay_alu instid0(VALU_DEP_1)
	v_alignbit_b32 v24, v26, v25, 2
	v_lshrrev_b32_e32 v23, 2, v26
	s_waitcnt vmcnt(0) lgkmcnt(0)
	v_add_nc_u32_e32 v39, 0x9e3779b9, v27
	v_add_nc_u32_e32 v41, 0x76cf5d0a, v28
	;; [unrolled: 1-line block ×3, first 2 shown]
	v_add_co_u32 v26, vcc_lo, v24, 1
	s_delay_alu instid0(VALU_DEP_1) | instskip(SKIP_4) | instid1(VALU_DEP_4)
	v_cndmask_b32_e64 v21, 0, 1, vcc_lo
	v_add_co_ci_u32_e32 v35, vcc_lo, 0, v23, vcc_lo
	v_xor3_b32 v31, v0, v27, v23
	v_add_nc_u32_e32 v43, 0x32370b8f, v28
	v_add_nc_u32_e32 v44, 0xed9eba14, v28
	v_cmp_eq_u32_e32 vcc_lo, 0, v35
	v_add_nc_u32_e32 v45, 0x1715609d, v27
	v_add_nc_u32_e32 v46, 0xa9066899, v28
	s_mov_b32 s0, exec_lo
	v_dual_cndmask_b32 v29, 0, v21 :: v_dual_add_nc_u32 v40, 0xbb67ae85, v28
	v_mad_u64_u32 v[21:22], null, 0xd2511f53, v26, 0
	s_delay_alu instid0(VALU_DEP_2) | instskip(NEXT) | instid1(VALU_DEP_2)
	v_add_nc_u32_e32 v26, v29, v1
	v_xor_b32_e32 v30, v22, v28
	s_delay_alu instid0(VALU_DEP_2) | instskip(SKIP_2) | instid1(VALU_DEP_1)
	v_cmp_eq_u32_e32 vcc_lo, 0, v26
	v_mad_u64_u32 v[22:23], null, 0xd2511f53, v24, 0
	v_cndmask_b32_e32 v29, 0, v29, vcc_lo
	v_xor_b32_e32 v24, v29, v30
	v_mad_u64_u32 v[29:30], null, 0xd2511f53, v31, 0
	v_mad_u64_u32 v[31:32], null, 0xcd9e8d57, v26, 0
	v_add_nc_u32_e32 v26, 0x3c6ef372, v27
	s_delay_alu instid0(VALU_DEP_4) | instskip(SKIP_2) | instid1(VALU_DEP_2)
	v_mad_u64_u32 v[33:34], null, 0xcd9e8d57, v24, 0
	v_xor_b32_e32 v24, v23, v28
	v_xor3_b32 v36, v40, v30, v22
	v_mad_u64_u32 v[22:23], null, 0xcd9e8d57, v24, 0
	v_xor3_b32 v24, v32, v27, v35
	v_xor3_b32 v32, v39, v34, v31
	s_delay_alu instid0(VALU_DEP_4) | instskip(NEXT) | instid1(VALU_DEP_3)
	v_mad_u64_u32 v[30:31], null, 0xcd9e8d57, v36, 0
	v_mad_u64_u32 v[34:35], null, 0xd2511f53, v24, 0
	s_delay_alu instid0(VALU_DEP_3) | instskip(SKIP_1) | instid1(VALU_DEP_4)
	v_mad_u64_u32 v[36:37], null, 0xd2511f53, v32, 0
	v_xor3_b32 v24, v6, v23, v39
	v_xor3_b32 v39, v26, v31, v22
	s_delay_alu instid0(VALU_DEP_4) | instskip(NEXT) | instid1(VALU_DEP_3)
	v_xor3_b32 v21, v40, v35, v21
	v_mad_u64_u32 v[22:23], null, 0xd2511f53, v24, 0
	v_xor3_b32 v24, v41, v37, v34
	s_delay_alu instid0(VALU_DEP_4) | instskip(NEXT) | instid1(VALU_DEP_4)
	v_mad_u64_u32 v[31:32], null, 0xd2511f53, v39, 0
	v_mad_u64_u32 v[34:35], null, 0xcd9e8d57, v21, 0
	s_delay_alu instid0(VALU_DEP_3) | instskip(SKIP_4) | instid1(VALU_DEP_4)
	v_mad_u64_u32 v[39:40], null, 0xcd9e8d57, v24, 0
	v_xor3_b32 v23, v41, v23, v29
	v_add_nc_u32_e32 v37, 0x78dde6e4, v27
	v_xor3_b32 v29, v43, v32, v22
	v_xor3_b32 v26, v26, v35, v33
	v_mad_u64_u32 v[21:22], null, 0xcd9e8d57, v23, 0
	v_xor3_b32 v40, v42, v40, v34
	s_delay_alu instid0(VALU_DEP_4) | instskip(NEXT) | instid1(VALU_DEP_4)
	v_mad_u64_u32 v[23:24], null, 0xcd9e8d57, v29, 0
	v_mad_u64_u32 v[32:33], null, 0xd2511f53, v26, 0
	s_delay_alu instid0(VALU_DEP_3) | instskip(SKIP_1) | instid1(VALU_DEP_4)
	v_mad_u64_u32 v[34:35], null, 0xd2511f53, v40, 0
	v_xor3_b32 v26, v42, v22, v30
	v_xor3_b32 v24, v37, v24, v21
	s_delay_alu instid0(VALU_DEP_2) | instskip(SKIP_2) | instid1(VALU_DEP_4)
	v_mad_u64_u32 v[21:22], null, 0xd2511f53, v26, 0
	v_xor3_b32 v26, v43, v33, v36
	v_xor3_b32 v32, v44, v35, v32
	v_mad_u64_u32 v[35:36], null, 0xd2511f53, v24, 0
	s_delay_alu instid0(VALU_DEP_3) | instskip(NEXT) | instid1(VALU_DEP_3)
	v_mad_u64_u32 v[29:30], null, 0xcd9e8d57, v26, 0
	v_mad_u64_u32 v[40:41], null, 0xcd9e8d57, v32, 0
	v_xor3_b32 v24, v44, v22, v31
	s_delay_alu instid0(VALU_DEP_4) | instskip(SKIP_2) | instid1(VALU_DEP_4)
	v_xor3_b32 v32, v46, v36, v21
	v_add_nc_u32_e32 v26, 0xb54cda56, v27
	v_add_nc_u32_e32 v31, 0x646e171e, v28
	v_mad_u64_u32 v[21:22], null, 0xcd9e8d57, v24, 0
	v_xor3_b32 v24, v37, v30, v39
	v_xor3_b32 v33, v45, v41, v29
	v_mad_u64_u32 v[41:42], null, 0xcd9e8d57, v32, 0
	v_add_nc_u32_e32 v37, 0x5384540f, v27
	s_delay_alu instid0(VALU_DEP_4) | instskip(NEXT) | instid1(VALU_DEP_4)
	v_mad_u64_u32 v[29:30], null, 0xd2511f53, v24, 0
	v_mad_u64_u32 v[43:44], null, 0xd2511f53, v33, 0
	v_xor3_b32 v23, v45, v22, v23
	v_xor3_b32 v24, v26, v42, v21
	v_add_nc_u32_e32 v45, 0x1fd5c5a3, v28
	v_add_co_u32 v39, null, 0xf1bbcdc8, v27
	v_xor3_b32 v32, v46, v30, v34
	v_xor3_b32 v34, v31, v44, v29
	v_mad_u64_u32 v[21:22], null, 0xd2511f53, v23, 0
	v_mad_u64_u32 v[29:30], null, 0xd2511f53, v24, 0
	s_delay_alu instid0(VALU_DEP_4) | instskip(NEXT) | instid1(VALU_DEP_4)
	v_mad_u64_u32 v[23:24], null, 0xcd9e8d57, v32, 0
	v_mad_u64_u32 v[32:33], null, 0xcd9e8d57, v34, 0
	s_delay_alu instid0(VALU_DEP_4) | instskip(NEXT) | instid1(VALU_DEP_4)
	v_xor3_b32 v31, v31, v22, v35
	v_xor3_b32 v34, v45, v30, v21
	s_delay_alu instid0(VALU_DEP_4) | instskip(NEXT) | instid1(VALU_DEP_3)
	v_xor3_b32 v26, v26, v24, v40
	v_mad_u64_u32 v[21:22], null, 0xcd9e8d57, v31, 0
	v_xor3_b32 v33, v37, v33, v23
	s_delay_alu instid0(VALU_DEP_4) | instskip(NEXT) | instid1(VALU_DEP_4)
	v_mad_u64_u32 v[30:31], null, 0xcd9e8d57, v34, 0
	v_mad_u64_u32 v[23:24], null, 0xd2511f53, v26, 0
	s_delay_alu instid0(VALU_DEP_3)
	v_mad_u64_u32 v[35:36], null, 0xd2511f53, v33, 0
	v_add_nc_u32_e32 v40, 0xdb3d7428, v28
	v_xor3_b32 v22, v37, v22, v41
	v_xor3_b32 v26, v39, v31, v21
	v_add_nc_u32_e32 v41, 0x96a522ad, v28
	v_xor3_b32 v24, v45, v24, v43
	v_and_b32_e32 v28, 3, v25
	v_xor3_b32 v31, v40, v36, v23
	v_mad_u64_u32 v[33:34], null, 0xd2511f53, v22, 0
	v_mad_u64_u32 v[21:22], null, 0xd2511f53, v26, 0
	;; [unrolled: 1-line block ×3, first 2 shown]
	s_delay_alu instid0(VALU_DEP_4) | instskip(SKIP_1) | instid1(VALU_DEP_4)
	v_mad_u64_u32 v[23:24], null, 0xcd9e8d57, v31, 0
	v_add_nc_u32_e32 v31, 0x8ff34781, v27
                                        ; implicit-def: $vgpr26
	v_xor3_b32 v27, v22, v33, v41
	s_delay_alu instid0(VALU_DEP_2)
	v_xor3_b32 v22, v24, v36, v31
	v_cmpx_lt_i32_e32 1, v28
	s_xor_b32 s0, exec_lo, s0
	s_cbranch_execz .LBB32_75
; %bb.70:                               ;   in Loop: Header=BB32_3 Depth=1
	s_mov_b32 s1, exec_lo
                                        ; implicit-def: $vgpr26
	v_cmpx_lt_i32_e32 2, v28
	s_xor_b32 s1, exec_lo, s1
; %bb.71:                               ;   in Loop: Header=BB32_3 Depth=1
	v_xor3_b32 v24, v39, v37, v32
                                        ; implicit-def: $vgpr27
	s_delay_alu instid0(VALU_DEP_1) | instskip(NEXT) | instid1(VALU_DEP_1)
	v_mul_hi_u32 v24, 0xd2511f53, v24
	v_xor3_b32 v26, v24, v35, v41
; %bb.72:                               ;   in Loop: Header=BB32_3 Depth=1
	s_and_not1_saveexec_b32 s1, s1
; %bb.73:                               ;   in Loop: Header=BB32_3 Depth=1
	v_dual_mov_b32 v26, v23 :: v_dual_mov_b32 v23, v22
	v_dual_mov_b32 v22, v21 :: v_dual_mov_b32 v21, v27
; %bb.74:                               ;   in Loop: Header=BB32_3 Depth=1
	s_or_b32 exec_lo, exec_lo, s1
                                        ; implicit-def: $vgpr29_vgpr30
                                        ; implicit-def: $vgpr28
                                        ; implicit-def: $vgpr27
                                        ; implicit-def: $vgpr40
                                        ; implicit-def: $vgpr33_vgpr34
                                        ; implicit-def: $vgpr30_vgpr31
                                        ; implicit-def: $vgpr31
.LBB32_75:                              ;   in Loop: Header=BB32_3 Depth=1
	s_and_not1_saveexec_b32 s0, s0
	s_cbranch_execz .LBB32_79
; %bb.76:                               ;   in Loop: Header=BB32_3 Depth=1
	v_xor3_b32 v23, v40, v34, v29
	v_cmp_eq_u32_e32 vcc_lo, 1, v28
	v_mov_b32_e32 v26, v21
	s_delay_alu instid0(VALU_DEP_3) | instskip(SKIP_1) | instid1(VALU_DEP_2)
	v_mad_u64_u32 v[24:25], null, 0xcd9e8d57, v23, 0
	v_mov_b32_e32 v23, v27
	v_xor3_b32 v28, v25, v30, v31
	s_delay_alu instid0(VALU_DEP_3)
	v_mov_b32_e32 v25, v24
	s_and_saveexec_b32 s1, vcc_lo
; %bb.77:                               ;   in Loop: Header=BB32_3 Depth=1
	v_dual_mov_b32 v26, v22 :: v_dual_mov_b32 v23, v21
	v_dual_mov_b32 v25, v27 :: v_dual_mov_b32 v28, v24
; %bb.78:                               ;   in Loop: Header=BB32_3 Depth=1
	s_or_b32 exec_lo, exec_lo, s1
	s_delay_alu instid0(VALU_DEP_1)
	v_dual_mov_b32 v21, v28 :: v_dual_mov_b32 v22, v25
.LBB32_79:                              ;   in Loop: Header=BB32_3 Depth=1
	s_or_b32 exec_lo, exec_lo, s0
	v_min_i32_e32 v24, 4, v38
	s_mov_b32 s1, 0
	s_mov_b32 s43, 0
	;; [unrolled: 1-line block ×3, first 2 shown]
                                        ; implicit-def: $sgpr25
                                        ; implicit-def: $sgpr26
                                        ; implicit-def: $sgpr27
	s_mov_b32 s0, exec_lo
	v_cmpx_lt_i32_e32 2, v24
	s_xor_b32 s42, exec_lo, s0
	s_cbranch_execz .LBB32_91
; %bb.80:                               ;   in Loop: Header=BB32_3 Depth=1
	s_mov_b32 s0, -1
	s_mov_b32 s44, 0
	s_mov_b32 s26, exec_lo
                                        ; implicit-def: $sgpr24
                                        ; implicit-def: $sgpr25
	v_cmpx_lt_i32_e32 3, v24
	s_cbranch_execz .LBB32_86
; %bb.81:                               ;   in Loop: Header=BB32_3 Depth=1
	s_mov_b32 s0, 0
	s_mov_b32 s44, -1
	s_mov_b32 s27, exec_lo
                                        ; implicit-def: $sgpr24
                                        ; implicit-def: $sgpr25
	v_cmpx_eq_u32_e32 4, v24
	s_cbranch_execz .LBB32_85
; %bb.82:                               ;   in Loop: Header=BB32_3 Depth=1
	v_cmp_le_f32_e32 vcc_lo, 0, v3
	v_cmp_ge_f32_e64 s0, 1.0, v3
	s_mov_b32 s24, 0
	s_delay_alu instid0(VALU_DEP_1)
	s_and_b32 s44, vcc_lo, s0
	s_mov_b32 s0, 0
	s_and_saveexec_b32 s25, s44
	s_cbranch_execz .LBB32_84
; %bb.83:                               ;   in Loop: Header=BB32_3 Depth=1
	v_cvt_f32_u32_e32 v25, v26
	v_add_co_u32 v19, vcc_lo, s16, v19
	v_add_co_ci_u32_e32 v20, vcc_lo, s17, v20, vcc_lo
	s_delay_alu instid0(VALU_DEP_3) | instskip(SKIP_1) | instid1(VALU_DEP_1)
	v_fmaak_f32 v25, 0x2f800000, v25, 0x2f800000
	s_mov_b32 s0, exec_lo
	v_cmp_le_f32_e32 vcc_lo, v25, v3
	v_cndmask_b32_e64 v3, 0, 1, vcc_lo
	global_store_b8 v[19:20], v3, off
.LBB32_84:                              ;   in Loop: Header=BB32_3 Depth=1
	s_or_b32 exec_lo, exec_lo, s25
	s_mov_b32 s25, -1
	s_xor_b32 s44, exec_lo, -1
	s_and_b32 s0, s0, exec_lo
.LBB32_85:                              ;   in Loop: Header=BB32_3 Depth=1
	s_or_b32 exec_lo, exec_lo, s27
	s_delay_alu instid0(SALU_CYCLE_1)
	s_and_b32 s44, s44, exec_lo
	s_or_not1_b32 s0, s0, exec_lo
.LBB32_86:                              ;   in Loop: Header=BB32_3 Depth=1
	s_or_b32 exec_lo, exec_lo, s26
	s_mov_b32 s27, s24
	s_and_saveexec_b32 s26, s0
	s_cbranch_execz .LBB32_90
; %bb.87:                               ;   in Loop: Header=BB32_3 Depth=1
	v_lshlrev_b64 v[17:18], 2, v[17:18]
	s_delay_alu instid0(VALU_DEP_1) | instskip(NEXT) | instid1(VALU_DEP_2)
	v_add_co_u32 v17, vcc_lo, s12, v17
	v_add_co_ci_u32_e32 v18, vcc_lo, s13, v18, vcc_lo
	global_load_b32 v3, v[17:18], off
	s_waitcnt vmcnt(0)
	v_cmp_le_f32_e32 vcc_lo, 0, v3
	v_cmp_ge_f32_e64 s0, 1.0, v3
	s_delay_alu instid0(VALU_DEP_1) | instskip(SKIP_2) | instid1(SALU_CYCLE_1)
	s_and_b32 s27, vcc_lo, s0
	s_mov_b32 s0, 0
	s_and_saveexec_b32 s43, s27
	s_xor_b32 s27, exec_lo, s43
	s_cbranch_execz .LBB32_89
; %bb.88:                               ;   in Loop: Header=BB32_3 Depth=1
	v_cvt_f32_u32_e32 v17, v23
	v_add_co_u32 v15, vcc_lo, s16, v15
	v_add_co_ci_u32_e32 v16, vcc_lo, s17, v16, vcc_lo
	s_delay_alu instid0(VALU_DEP_3) | instskip(SKIP_1) | instid1(VALU_DEP_1)
	v_fmaak_f32 v17, 0x2f800000, v17, 0x2f800000
	s_mov_b32 s0, exec_lo
	v_cmp_le_f32_e32 vcc_lo, v17, v3
	v_cndmask_b32_e64 v3, 0, 1, vcc_lo
	global_store_b8 v[15:16], v3, off
.LBB32_89:                              ;   in Loop: Header=BB32_3 Depth=1
	s_or_b32 exec_lo, exec_lo, s27
	s_delay_alu instid0(SALU_CYCLE_1)
	s_and_not1_b32 s27, s24, exec_lo
	s_or_b32 s24, s24, exec_lo
	s_and_not1_b32 s25, s25, exec_lo
	s_and_b32 s43, s0, exec_lo
.LBB32_90:                              ;   in Loop: Header=BB32_3 Depth=1
	s_or_b32 exec_lo, exec_lo, s26
	s_delay_alu instid0(SALU_CYCLE_1)
	s_and_b32 s27, s27, exec_lo
	s_and_b32 s26, s24, exec_lo
	;; [unrolled: 1-line block ×5, first 2 shown]
.LBB32_91:                              ;   in Loop: Header=BB32_3 Depth=1
	s_and_not1_saveexec_b32 s0, s42
; %bb.92:                               ;   in Loop: Header=BB32_3 Depth=1
	v_cmp_lt_i32_e32 vcc_lo, 1, v24
	s_and_not1_b32 s42, s43, exec_lo
	s_mov_b32 s1, exec_lo
	s_and_not1_b32 s27, s27, exec_lo
	s_and_not1_b32 s26, s26, exec_lo
	s_and_b32 s43, vcc_lo, exec_lo
	s_and_not1_b32 s25, s25, exec_lo
	s_or_b32 s43, s42, s43
; %bb.93:                               ;   in Loop: Header=BB32_3 Depth=1
	s_or_b32 exec_lo, exec_lo, s0
	s_mov_b32 s0, 0
	s_mov_b32 s42, s27
	s_and_saveexec_b32 s44, s43
	s_cbranch_execnz .LBB32_101
; %bb.94:                               ;   in Loop: Header=BB32_3 Depth=1
	s_or_b32 exec_lo, exec_lo, s44
	s_and_saveexec_b32 s43, s1
	s_cbranch_execnz .LBB32_104
.LBB32_95:                              ;   in Loop: Header=BB32_3 Depth=1
	s_or_b32 exec_lo, exec_lo, s43
	s_and_saveexec_b32 s1, s0
	s_cbranch_execnz .LBB32_105
	s_branch .LBB32_108
.LBB32_96:                              ;   in Loop: Header=BB32_97 Depth=2
	s_or_b32 exec_lo, exec_lo, s0
	s_load_b64 s[44:45], s[24:25], 0xc8
	s_delay_alu instid0(VALU_DEP_1)
	v_mul_lo_u32 v3, v26, s26
	v_mul_lo_u32 v29, v25, s27
	v_mad_u64_u32 v[27:28], null, v25, s26, 0
	s_add_i32 s42, s42, -1
	s_add_u32 s24, s24, -8
	s_addc_u32 s25, s25, -1
	s_cmp_gt_u32 s42, 2
	s_delay_alu instid0(VALU_DEP_1) | instskip(NEXT) | instid1(VALU_DEP_2)
	v_add3_u32 v3, v28, v29, v3
	v_sub_co_u32 v27, vcc_lo, v21, v27
	s_delay_alu instid0(VALU_DEP_2) | instskip(SKIP_1) | instid1(VALU_DEP_2)
	v_sub_co_ci_u32_e32 v3, vcc_lo, v22, v3, vcc_lo
	s_waitcnt lgkmcnt(0)
	v_mul_lo_u32 v28, s45, v27
	s_delay_alu instid0(VALU_DEP_2) | instskip(SKIP_1) | instid1(VALU_DEP_1)
	v_mul_lo_u32 v3, s44, v3
	v_mad_u64_u32 v[21:22], null, s44, v27, v[23:24]
	v_add3_u32 v24, v28, v22, v3
	s_delay_alu instid0(VALU_DEP_2)
	v_mov_b32_e32 v23, v21
	v_dual_mov_b32 v21, v25 :: v_dual_mov_b32 v22, v26
	s_cbranch_scc0 .LBB32_66
.LBB32_97:                              ;   Parent Loop BB32_3 Depth=1
                                        ; =>  This Inner Loop Header: Depth=2
	s_load_b64 s[26:27], s[24:25], 0x0
                                        ; implicit-def: $vgpr25_vgpr26
	s_mov_b32 s0, exec_lo
	s_waitcnt lgkmcnt(0)
	v_or_b32_e32 v3, s27, v22
	s_delay_alu instid0(VALU_DEP_1)
	v_cmpx_ne_u64_e32 0, v[2:3]
	s_xor_b32 s43, exec_lo, s0
	s_cbranch_execz .LBB32_99
; %bb.98:                               ;   in Loop: Header=BB32_97 Depth=2
	v_cvt_f32_u32_e32 v3, s26
	v_cvt_f32_u32_e32 v25, s27
	s_sub_u32 s0, 0, s26
	s_subb_u32 s44, 0, s27
	s_delay_alu instid0(VALU_DEP_1) | instskip(NEXT) | instid1(VALU_DEP_1)
	v_fmac_f32_e32 v3, 0x4f800000, v25
	v_rcp_f32_e32 v3, v3
	s_waitcnt_depctr 0xfff
	v_mul_f32_e32 v3, 0x5f7ffffc, v3
	s_delay_alu instid0(VALU_DEP_1) | instskip(NEXT) | instid1(VALU_DEP_1)
	v_mul_f32_e32 v25, 0x2f800000, v3
	v_trunc_f32_e32 v25, v25
	s_delay_alu instid0(VALU_DEP_1) | instskip(SKIP_1) | instid1(VALU_DEP_2)
	v_fmac_f32_e32 v3, 0xcf800000, v25
	v_cvt_u32_f32_e32 v25, v25
	v_cvt_u32_f32_e32 v3, v3
	s_delay_alu instid0(VALU_DEP_2) | instskip(NEXT) | instid1(VALU_DEP_2)
	v_mul_lo_u32 v26, s0, v25
	v_mul_hi_u32 v27, s0, v3
	v_mul_lo_u32 v28, s44, v3
	s_delay_alu instid0(VALU_DEP_2) | instskip(SKIP_1) | instid1(VALU_DEP_2)
	v_add_nc_u32_e32 v26, v27, v26
	v_mul_lo_u32 v27, s0, v3
	v_add_nc_u32_e32 v26, v26, v28
	s_delay_alu instid0(VALU_DEP_2) | instskip(NEXT) | instid1(VALU_DEP_2)
	v_mul_hi_u32 v28, v3, v27
	v_mul_lo_u32 v29, v3, v26
	v_mul_hi_u32 v30, v3, v26
	v_mul_hi_u32 v31, v25, v27
	v_mul_lo_u32 v27, v25, v27
	v_mul_hi_u32 v32, v25, v26
	v_mul_lo_u32 v26, v25, v26
	v_add_co_u32 v28, vcc_lo, v28, v29
	v_add_co_ci_u32_e32 v29, vcc_lo, 0, v30, vcc_lo
	s_delay_alu instid0(VALU_DEP_2) | instskip(NEXT) | instid1(VALU_DEP_2)
	v_add_co_u32 v27, vcc_lo, v28, v27
	v_add_co_ci_u32_e32 v27, vcc_lo, v29, v31, vcc_lo
	v_add_co_ci_u32_e32 v28, vcc_lo, 0, v32, vcc_lo
	s_delay_alu instid0(VALU_DEP_2) | instskip(NEXT) | instid1(VALU_DEP_2)
	v_add_co_u32 v26, vcc_lo, v27, v26
	v_add_co_ci_u32_e32 v27, vcc_lo, 0, v28, vcc_lo
	s_delay_alu instid0(VALU_DEP_2) | instskip(NEXT) | instid1(VALU_DEP_2)
	v_add_co_u32 v3, vcc_lo, v3, v26
	v_add_co_ci_u32_e32 v25, vcc_lo, v25, v27, vcc_lo
	s_delay_alu instid0(VALU_DEP_2) | instskip(SKIP_1) | instid1(VALU_DEP_3)
	v_mul_hi_u32 v26, s0, v3
	v_mul_lo_u32 v28, s44, v3
	v_mul_lo_u32 v27, s0, v25
	s_delay_alu instid0(VALU_DEP_1) | instskip(SKIP_1) | instid1(VALU_DEP_2)
	v_add_nc_u32_e32 v26, v26, v27
	v_mul_lo_u32 v27, s0, v3
	v_add_nc_u32_e32 v26, v26, v28
	s_delay_alu instid0(VALU_DEP_2) | instskip(NEXT) | instid1(VALU_DEP_2)
	v_mul_hi_u32 v28, v3, v27
	v_mul_lo_u32 v29, v3, v26
	v_mul_hi_u32 v30, v3, v26
	v_mul_hi_u32 v31, v25, v27
	v_mul_lo_u32 v27, v25, v27
	v_mul_hi_u32 v32, v25, v26
	v_mul_lo_u32 v26, v25, v26
	v_add_co_u32 v28, vcc_lo, v28, v29
	v_add_co_ci_u32_e32 v29, vcc_lo, 0, v30, vcc_lo
	s_delay_alu instid0(VALU_DEP_2) | instskip(NEXT) | instid1(VALU_DEP_2)
	v_add_co_u32 v27, vcc_lo, v28, v27
	v_add_co_ci_u32_e32 v27, vcc_lo, v29, v31, vcc_lo
	v_add_co_ci_u32_e32 v28, vcc_lo, 0, v32, vcc_lo
	s_delay_alu instid0(VALU_DEP_2) | instskip(NEXT) | instid1(VALU_DEP_2)
	v_add_co_u32 v26, vcc_lo, v27, v26
	v_add_co_ci_u32_e32 v27, vcc_lo, 0, v28, vcc_lo
	s_delay_alu instid0(VALU_DEP_2) | instskip(NEXT) | instid1(VALU_DEP_2)
	v_add_co_u32 v3, vcc_lo, v3, v26
	v_add_co_ci_u32_e32 v31, vcc_lo, v25, v27, vcc_lo
	s_delay_alu instid0(VALU_DEP_2) | instskip(SKIP_1) | instid1(VALU_DEP_3)
	v_mul_hi_u32 v32, v21, v3
	v_mad_u64_u32 v[27:28], null, v22, v3, 0
	v_mad_u64_u32 v[25:26], null, v21, v31, 0
	;; [unrolled: 1-line block ×3, first 2 shown]
	s_delay_alu instid0(VALU_DEP_2) | instskip(NEXT) | instid1(VALU_DEP_3)
	v_add_co_u32 v3, vcc_lo, v32, v25
	v_add_co_ci_u32_e32 v25, vcc_lo, 0, v26, vcc_lo
	s_delay_alu instid0(VALU_DEP_2) | instskip(NEXT) | instid1(VALU_DEP_2)
	v_add_co_u32 v3, vcc_lo, v3, v27
	v_add_co_ci_u32_e32 v3, vcc_lo, v25, v28, vcc_lo
	v_add_co_ci_u32_e32 v25, vcc_lo, 0, v30, vcc_lo
	s_delay_alu instid0(VALU_DEP_2) | instskip(NEXT) | instid1(VALU_DEP_2)
	v_add_co_u32 v3, vcc_lo, v3, v29
	v_add_co_ci_u32_e32 v27, vcc_lo, 0, v25, vcc_lo
	s_delay_alu instid0(VALU_DEP_2) | instskip(SKIP_1) | instid1(VALU_DEP_3)
	v_mul_lo_u32 v28, s27, v3
	v_mad_u64_u32 v[25:26], null, s26, v3, 0
	v_mul_lo_u32 v29, s26, v27
	s_delay_alu instid0(VALU_DEP_2) | instskip(NEXT) | instid1(VALU_DEP_2)
	v_sub_co_u32 v25, vcc_lo, v21, v25
	v_add3_u32 v26, v26, v29, v28
	s_delay_alu instid0(VALU_DEP_1) | instskip(NEXT) | instid1(VALU_DEP_1)
	v_sub_nc_u32_e32 v28, v22, v26
	v_subrev_co_ci_u32_e64 v28, s0, s27, v28, vcc_lo
	v_add_co_u32 v29, s0, v3, 2
	s_delay_alu instid0(VALU_DEP_1) | instskip(SKIP_3) | instid1(VALU_DEP_3)
	v_add_co_ci_u32_e64 v30, s0, 0, v27, s0
	v_sub_co_u32 v31, s0, v25, s26
	v_sub_co_ci_u32_e32 v26, vcc_lo, v22, v26, vcc_lo
	v_subrev_co_ci_u32_e64 v28, s0, 0, v28, s0
	v_cmp_le_u32_e32 vcc_lo, s26, v31
	s_delay_alu instid0(VALU_DEP_3) | instskip(SKIP_1) | instid1(VALU_DEP_4)
	v_cmp_eq_u32_e64 s0, s27, v26
	v_cndmask_b32_e64 v31, 0, -1, vcc_lo
	v_cmp_le_u32_e32 vcc_lo, s27, v28
	v_cndmask_b32_e64 v32, 0, -1, vcc_lo
	v_cmp_le_u32_e32 vcc_lo, s26, v25
	;; [unrolled: 2-line block ×3, first 2 shown]
	v_cndmask_b32_e64 v33, 0, -1, vcc_lo
	v_cmp_eq_u32_e32 vcc_lo, s27, v28
	s_delay_alu instid0(VALU_DEP_2) | instskip(SKIP_3) | instid1(VALU_DEP_3)
	v_cndmask_b32_e64 v25, v33, v25, s0
	v_cndmask_b32_e32 v28, v32, v31, vcc_lo
	v_add_co_u32 v31, vcc_lo, v3, 1
	v_add_co_ci_u32_e32 v32, vcc_lo, 0, v27, vcc_lo
	v_cmp_ne_u32_e32 vcc_lo, 0, v28
	s_delay_alu instid0(VALU_DEP_3) | instskip(NEXT) | instid1(VALU_DEP_3)
	v_cndmask_b32_e32 v28, v31, v29, vcc_lo
	v_cndmask_b32_e32 v26, v32, v30, vcc_lo
	v_cmp_ne_u32_e32 vcc_lo, 0, v25
	s_delay_alu instid0(VALU_DEP_3) | instskip(NEXT) | instid1(VALU_DEP_3)
	v_cndmask_b32_e32 v25, v3, v28, vcc_lo
	v_cndmask_b32_e32 v26, v27, v26, vcc_lo
.LBB32_99:                              ;   in Loop: Header=BB32_97 Depth=2
	s_and_not1_saveexec_b32 s0, s43
	s_cbranch_execz .LBB32_96
; %bb.100:                              ;   in Loop: Header=BB32_97 Depth=2
	v_cvt_f32_u32_e32 v3, s26
	s_sub_i32 s43, 0, s26
	s_delay_alu instid0(VALU_DEP_1) | instskip(SKIP_2) | instid1(VALU_DEP_1)
	v_rcp_iflag_f32_e32 v3, v3
	s_waitcnt_depctr 0xfff
	v_mul_f32_e32 v3, 0x4f7ffffe, v3
	v_cvt_u32_f32_e32 v3, v3
	s_delay_alu instid0(VALU_DEP_1) | instskip(NEXT) | instid1(VALU_DEP_1)
	v_mul_lo_u32 v25, s43, v3
	v_mul_hi_u32 v25, v3, v25
	s_delay_alu instid0(VALU_DEP_1) | instskip(NEXT) | instid1(VALU_DEP_1)
	v_add_nc_u32_e32 v3, v3, v25
	v_mul_hi_u32 v3, v21, v3
	s_delay_alu instid0(VALU_DEP_1) | instskip(SKIP_1) | instid1(VALU_DEP_2)
	v_mul_lo_u32 v25, v3, s26
	v_add_nc_u32_e32 v26, 1, v3
	v_sub_nc_u32_e32 v25, v21, v25
	s_delay_alu instid0(VALU_DEP_1) | instskip(SKIP_1) | instid1(VALU_DEP_2)
	v_subrev_nc_u32_e32 v27, s26, v25
	v_cmp_le_u32_e32 vcc_lo, s26, v25
	v_cndmask_b32_e32 v25, v25, v27, vcc_lo
	v_cndmask_b32_e32 v3, v3, v26, vcc_lo
	s_delay_alu instid0(VALU_DEP_2) | instskip(NEXT) | instid1(VALU_DEP_2)
	v_cmp_le_u32_e32 vcc_lo, s26, v25
	v_add_nc_u32_e32 v26, 1, v3
	s_delay_alu instid0(VALU_DEP_1)
	v_dual_cndmask_b32 v25, v3, v26 :: v_dual_mov_b32 v26, v2
	s_branch .LBB32_96
.LBB32_101:                             ;   in Loop: Header=BB32_3 Depth=1
	v_lshlrev_b64 v[13:14], 2, v[13:14]
	s_delay_alu instid0(VALU_DEP_1) | instskip(NEXT) | instid1(VALU_DEP_2)
	v_add_co_u32 v13, vcc_lo, s12, v13
	v_add_co_ci_u32_e32 v14, vcc_lo, s13, v14, vcc_lo
	global_load_b32 v3, v[13:14], off
	s_waitcnt vmcnt(0)
	v_cmp_le_f32_e32 vcc_lo, 0, v3
	v_cmp_ge_f32_e64 s0, 1.0, v3
	s_delay_alu instid0(VALU_DEP_1) | instskip(SKIP_2) | instid1(SALU_CYCLE_1)
	s_and_b32 s42, vcc_lo, s0
	s_mov_b32 s0, 0
	s_and_saveexec_b32 s43, s42
	s_xor_b32 s42, exec_lo, s43
	s_cbranch_execz .LBB32_103
; %bb.102:                              ;   in Loop: Header=BB32_3 Depth=1
	v_cvt_f32_u32_e32 v13, v22
	v_add_co_u32 v11, vcc_lo, s16, v11
	v_add_co_ci_u32_e32 v12, vcc_lo, s17, v12, vcc_lo
	s_delay_alu instid0(VALU_DEP_3) | instskip(SKIP_1) | instid1(VALU_DEP_1)
	v_fmaak_f32 v13, 0x2f800000, v13, 0x2f800000
	s_mov_b32 s0, exec_lo
	v_cmp_le_f32_e32 vcc_lo, v13, v3
	v_cndmask_b32_e64 v3, 0, 1, vcc_lo
	global_store_b8 v[11:12], v3, off
.LBB32_103:                             ;   in Loop: Header=BB32_3 Depth=1
	s_or_b32 exec_lo, exec_lo, s42
	s_delay_alu instid0(SALU_CYCLE_1)
	s_and_not1_b32 s42, s27, exec_lo
	s_or_b32 s27, s27, exec_lo
	s_and_not1_b32 s26, s26, exec_lo
	s_and_not1_b32 s25, s25, exec_lo
	s_and_b32 s0, s0, exec_lo
	s_and_not1_b32 s1, s1, exec_lo
	s_or_b32 exec_lo, exec_lo, s44
	s_and_saveexec_b32 s43, s1
	s_cbranch_execz .LBB32_95
.LBB32_104:                             ;   in Loop: Header=BB32_3 Depth=1
	v_cmp_eq_u32_e32 vcc_lo, 1, v24
	s_and_not1_b32 s0, s0, exec_lo
	s_and_not1_b32 s42, s42, exec_lo
	;; [unrolled: 1-line block ×4, first 2 shown]
	s_and_b32 s1, vcc_lo, exec_lo
	s_and_not1_b32 s25, s25, exec_lo
	s_or_b32 s24, s24, exec_lo
	s_or_b32 s0, s0, s1
	s_or_b32 exec_lo, exec_lo, s43
	s_and_saveexec_b32 s1, s0
	s_cbranch_execz .LBB32_108
.LBB32_105:                             ;   in Loop: Header=BB32_3 Depth=1
	v_lshlrev_b64 v[9:10], 2, v[9:10]
	s_delay_alu instid0(VALU_DEP_1) | instskip(NEXT) | instid1(VALU_DEP_2)
	v_add_co_u32 v9, vcc_lo, s12, v9
	v_add_co_ci_u32_e32 v10, vcc_lo, s13, v10, vcc_lo
	global_load_b32 v3, v[9:10], off
	s_waitcnt vmcnt(0)
	v_cmp_le_f32_e32 vcc_lo, 0, v3
	v_cmp_ge_f32_e64 s0, 1.0, v3
	s_delay_alu instid0(VALU_DEP_1)
	s_and_b32 s44, vcc_lo, s0
	s_mov_b32 s0, 0
	s_and_saveexec_b32 s43, s44
	s_cbranch_execz .LBB32_107
; %bb.106:                              ;   in Loop: Header=BB32_3 Depth=1
	v_cvt_f32_u32_e32 v9, v21
	v_add_co_u32 v7, vcc_lo, s16, v7
	v_add_co_ci_u32_e32 v8, vcc_lo, s17, v8, vcc_lo
	s_delay_alu instid0(VALU_DEP_3) | instskip(SKIP_1) | instid1(VALU_DEP_1)
	v_fmaak_f32 v9, 0x2f800000, v9, 0x2f800000
	s_mov_b32 s0, exec_lo
	v_cmp_le_f32_e32 vcc_lo, v9, v3
	v_cndmask_b32_e64 v3, 0, 1, vcc_lo
	global_store_b8 v[7:8], v3, off
.LBB32_107:                             ;   in Loop: Header=BB32_3 Depth=1
	s_or_b32 exec_lo, exec_lo, s43
	s_delay_alu instid0(SALU_CYCLE_1)
	s_and_not1_b32 s24, s24, exec_lo
	s_and_b32 s0, s0, exec_lo
	s_or_b32 s42, s42, exec_lo
	s_and_not1_b32 s27, s27, exec_lo
	s_and_not1_b32 s26, s26, exec_lo
	;; [unrolled: 1-line block ×3, first 2 shown]
	s_or_b32 s24, s24, s0
.LBB32_108:                             ;   in Loop: Header=BB32_3 Depth=1
	s_or_b32 exec_lo, exec_lo, s1
	s_delay_alu instid0(SALU_CYCLE_1)
	s_and_not1_b32 s1, s41, exec_lo
	s_and_b32 s41, s42, exec_lo
	s_and_not1_b32 s39, s39, exec_lo
	s_and_b32 s27, s27, exec_lo
	s_or_b32 s41, s1, s41
	s_or_b32 s39, s39, s27
	s_and_not1_b32 s1, s40, exec_lo
	s_and_b32 s26, s26, exec_lo
	s_and_not1_b32 s27, s38, exec_lo
	s_and_b32 s25, s25, exec_lo
	s_mov_b32 s0, -1
	s_or_b32 s40, s1, s26
	s_or_b32 s38, s27, s25
	s_and_saveexec_b32 s1, s24
	s_cbranch_execz .LBB32_2
; %bb.109:                              ;   in Loop: Header=BB32_3 Depth=1
	v_add_co_u32 v4, vcc_lo, v4, s31
	v_add_co_ci_u32_e32 v5, vcc_lo, 0, v5, vcc_lo
	s_and_not1_b32 s41, s41, exec_lo
	s_and_not1_b32 s39, s39, exec_lo
	;; [unrolled: 1-line block ×3, first 2 shown]
	s_delay_alu instid0(VALU_DEP_1)
	v_cmp_le_u64_e32 vcc_lo, s[4:5], v[4:5]
	s_and_not1_b32 s38, s38, exec_lo
	s_or_not1_b32 s0, vcc_lo, exec_lo
	s_branch .LBB32_2
.LBB32_110:
	s_or_b32 exec_lo, exec_lo, s19
	s_xor_b32 s3, s36, -1
	s_xor_b32 s4, s37, -1
	;; [unrolled: 1-line block ×3, first 2 shown]
	s_mov_b32 s1, 0
	s_and_saveexec_b32 s2, s0
	s_delay_alu instid0(SALU_CYCLE_1)
	s_xor_b32 s0, exec_lo, s2
	s_cbranch_execz .LBB32_119
; %bb.111:
	s_mov_b32 s2, 0
	s_and_saveexec_b32 s1, s4
	s_delay_alu instid0(SALU_CYCLE_1)
	s_xor_b32 s1, exec_lo, s1
	s_cbranch_execz .LBB32_117
; %bb.112:
	s_and_saveexec_b32 s4, s3
	s_delay_alu instid0(SALU_CYCLE_1)
	s_xor_b32 s3, exec_lo, s4
	s_cbranch_execz .LBB32_115
; %bb.113:
	s_and_saveexec_b32 s4, s18
	s_delay_alu instid0(SALU_CYCLE_1)
	s_xor_b32 s4, exec_lo, s4
	s_cbranch_execnz .LBB32_133
.LBB32_114:
	s_or_b32 exec_lo, exec_lo, s4
	s_delay_alu instid0(SALU_CYCLE_1)
	s_and_b32 s2, s2, exec_lo
.LBB32_115:
	s_and_not1_saveexec_b32 s3, s3
	s_cbranch_execnz .LBB32_129
.LBB32_116:
	s_or_b32 exec_lo, exec_lo, s3
	s_delay_alu instid0(SALU_CYCLE_1)
	s_and_b32 s2, s2, exec_lo
.LBB32_117:
	s_and_not1_saveexec_b32 s1, s1
	s_cbranch_execnz .LBB32_125
.LBB32_118:
	s_or_b32 exec_lo, exec_lo, s1
	s_delay_alu instid0(SALU_CYCLE_1)
	s_and_b32 s1, s2, exec_lo
.LBB32_119:
	s_and_not1_saveexec_b32 s0, s0
	s_cbranch_execnz .LBB32_123
; %bb.120:
	s_or_b32 exec_lo, exec_lo, s0
	s_delay_alu instid0(SALU_CYCLE_1)
	s_and_b32 exec_lo, exec_lo, s1
.LBB32_121:
	; divergent unreachable
.LBB32_122:
	s_nop 0
	s_sendmsg sendmsg(MSG_DEALLOC_VGPRS)
	s_endpgm
.LBB32_123:
	s_cbranch_execnz .LBB32_127
; %bb.124:
	s_or_b32 s1, s1, exec_lo
	s_or_b32 exec_lo, exec_lo, s0
	s_delay_alu instid0(SALU_CYCLE_1)
	s_and_b32 exec_lo, exec_lo, s1
	s_cbranch_execnz .LBB32_121
	s_branch .LBB32_122
.LBB32_125:
	s_cbranch_execnz .LBB32_131
; %bb.126:
	s_or_b32 s2, s2, exec_lo
	s_branch .LBB32_118
.LBB32_127:
	s_trap 2
	s_sendmsg_rtn_b32 s0, sendmsg(MSG_RTN_GET_DOORBELL)
	s_mov_b32 ttmp2, m0
	s_waitcnt lgkmcnt(0)
	s_and_b32 s0, s0, 0x3ff
	s_delay_alu instid0(SALU_CYCLE_1) | instskip(NEXT) | instid1(SALU_CYCLE_1)
	s_bitset1_b32 s0, 10
	s_mov_b32 m0, s0
	s_sendmsg sendmsg(MSG_INTERRUPT)
	s_mov_b32 m0, ttmp2
.LBB32_128:                             ; =>This Inner Loop Header: Depth=1
	s_sethalt 5
	s_branch .LBB32_128
.LBB32_129:
	s_cbranch_execnz .LBB32_135
; %bb.130:
	s_or_b32 s2, s2, exec_lo
	s_branch .LBB32_116
.LBB32_131:
	s_trap 2
	s_sendmsg_rtn_b32 s0, sendmsg(MSG_RTN_GET_DOORBELL)
	s_mov_b32 ttmp2, m0
	s_waitcnt lgkmcnt(0)
	s_and_b32 s0, s0, 0x3ff
	s_delay_alu instid0(SALU_CYCLE_1) | instskip(NEXT) | instid1(SALU_CYCLE_1)
	s_bitset1_b32 s0, 10
	s_mov_b32 m0, s0
	s_sendmsg sendmsg(MSG_INTERRUPT)
	s_mov_b32 m0, ttmp2
.LBB32_132:                             ; =>This Inner Loop Header: Depth=1
	s_sethalt 5
	s_branch .LBB32_132
.LBB32_133:
	s_cbranch_execnz .LBB32_137
; %bb.134:
	s_mov_b32 s2, exec_lo
	s_branch .LBB32_114
.LBB32_135:
	s_trap 2
	s_sendmsg_rtn_b32 s0, sendmsg(MSG_RTN_GET_DOORBELL)
	s_mov_b32 ttmp2, m0
	s_waitcnt lgkmcnt(0)
	s_and_b32 s0, s0, 0x3ff
	s_delay_alu instid0(SALU_CYCLE_1) | instskip(NEXT) | instid1(SALU_CYCLE_1)
	s_bitset1_b32 s0, 10
	s_mov_b32 m0, s0
	s_sendmsg sendmsg(MSG_INTERRUPT)
	s_mov_b32 m0, ttmp2
.LBB32_136:                             ; =>This Inner Loop Header: Depth=1
	s_sethalt 5
	s_branch .LBB32_136
.LBB32_137:
	s_trap 2
	s_sendmsg_rtn_b32 s0, sendmsg(MSG_RTN_GET_DOORBELL)
	s_mov_b32 ttmp2, m0
	s_waitcnt lgkmcnt(0)
	s_and_b32 s0, s0, 0x3ff
	s_delay_alu instid0(SALU_CYCLE_1) | instskip(NEXT) | instid1(SALU_CYCLE_1)
	s_bitset1_b32 s0, 10
	s_mov_b32 m0, s0
	s_sendmsg sendmsg(MSG_INTERRUPT)
	s_mov_b32 m0, ttmp2
.LBB32_138:                             ; =>This Inner Loop Header: Depth=1
	s_sethalt 5
	s_branch .LBB32_138
	.section	.rodata,"a",@progbits
	.p2align	6, 0x0
	.amdhsa_kernel _ZN2at4cuda12_GLOBAL__N_121kernelPointwiseApply2IZNS_6native9templates4cuda28bernoulli_tensor_cuda_kernelIafEEvRKNS_10TensorBaseES9_NS_15PhiloxCudaStateEEUliRaSB_SB_SB_RKfSD_SD_SD_E_aSC_mLin1ELin1ELi4ELi512ELi2EEEvNS0_6detail10TensorInfoIT0_T2_EENSG_IT1_SI_EESI_T_
		.amdhsa_group_segment_fixed_size 0
		.amdhsa_private_segment_fixed_size 0
		.amdhsa_kernarg_size 1128
		.amdhsa_user_sgpr_count 15
		.amdhsa_user_sgpr_dispatch_ptr 0
		.amdhsa_user_sgpr_queue_ptr 0
		.amdhsa_user_sgpr_kernarg_segment_ptr 1
		.amdhsa_user_sgpr_dispatch_id 0
		.amdhsa_user_sgpr_private_segment_size 0
		.amdhsa_wavefront_size32 1
		.amdhsa_uses_dynamic_stack 0
		.amdhsa_enable_private_segment 0
		.amdhsa_system_sgpr_workgroup_id_x 1
		.amdhsa_system_sgpr_workgroup_id_y 0
		.amdhsa_system_sgpr_workgroup_id_z 0
		.amdhsa_system_sgpr_workgroup_info 0
		.amdhsa_system_vgpr_workitem_id 0
		.amdhsa_next_free_vgpr 47
		.amdhsa_next_free_sgpr 46
		.amdhsa_reserve_vcc 1
		.amdhsa_float_round_mode_32 0
		.amdhsa_float_round_mode_16_64 0
		.amdhsa_float_denorm_mode_32 3
		.amdhsa_float_denorm_mode_16_64 3
		.amdhsa_dx10_clamp 1
		.amdhsa_ieee_mode 1
		.amdhsa_fp16_overflow 0
		.amdhsa_workgroup_processor_mode 1
		.amdhsa_memory_ordered 1
		.amdhsa_forward_progress 0
		.amdhsa_shared_vgpr_count 0
		.amdhsa_exception_fp_ieee_invalid_op 0
		.amdhsa_exception_fp_denorm_src 0
		.amdhsa_exception_fp_ieee_div_zero 0
		.amdhsa_exception_fp_ieee_overflow 0
		.amdhsa_exception_fp_ieee_underflow 0
		.amdhsa_exception_fp_ieee_inexact 0
		.amdhsa_exception_int_div_zero 0
	.end_amdhsa_kernel
	.section	.text._ZN2at4cuda12_GLOBAL__N_121kernelPointwiseApply2IZNS_6native9templates4cuda28bernoulli_tensor_cuda_kernelIafEEvRKNS_10TensorBaseES9_NS_15PhiloxCudaStateEEUliRaSB_SB_SB_RKfSD_SD_SD_E_aSC_mLin1ELin1ELi4ELi512ELi2EEEvNS0_6detail10TensorInfoIT0_T2_EENSG_IT1_SI_EESI_T_,"axG",@progbits,_ZN2at4cuda12_GLOBAL__N_121kernelPointwiseApply2IZNS_6native9templates4cuda28bernoulli_tensor_cuda_kernelIafEEvRKNS_10TensorBaseES9_NS_15PhiloxCudaStateEEUliRaSB_SB_SB_RKfSD_SD_SD_E_aSC_mLin1ELin1ELi4ELi512ELi2EEEvNS0_6detail10TensorInfoIT0_T2_EENSG_IT1_SI_EESI_T_,comdat
.Lfunc_end32:
	.size	_ZN2at4cuda12_GLOBAL__N_121kernelPointwiseApply2IZNS_6native9templates4cuda28bernoulli_tensor_cuda_kernelIafEEvRKNS_10TensorBaseES9_NS_15PhiloxCudaStateEEUliRaSB_SB_SB_RKfSD_SD_SD_E_aSC_mLin1ELin1ELi4ELi512ELi2EEEvNS0_6detail10TensorInfoIT0_T2_EENSG_IT1_SI_EESI_T_, .Lfunc_end32-_ZN2at4cuda12_GLOBAL__N_121kernelPointwiseApply2IZNS_6native9templates4cuda28bernoulli_tensor_cuda_kernelIafEEvRKNS_10TensorBaseES9_NS_15PhiloxCudaStateEEUliRaSB_SB_SB_RKfSD_SD_SD_E_aSC_mLin1ELin1ELi4ELi512ELi2EEEvNS0_6detail10TensorInfoIT0_T2_EENSG_IT1_SI_EESI_T_
                                        ; -- End function
	.section	.AMDGPU.csdata,"",@progbits
; Kernel info:
; codeLenInByte = 12400
; NumSgprs: 48
; NumVgprs: 47
; ScratchSize: 0
; MemoryBound: 0
; FloatMode: 240
; IeeeMode: 1
; LDSByteSize: 0 bytes/workgroup (compile time only)
; SGPRBlocks: 5
; VGPRBlocks: 5
; NumSGPRsForWavesPerEU: 48
; NumVGPRsForWavesPerEU: 47
; Occupancy: 16
; WaveLimiterHint : 1
; COMPUTE_PGM_RSRC2:SCRATCH_EN: 0
; COMPUTE_PGM_RSRC2:USER_SGPR: 15
; COMPUTE_PGM_RSRC2:TRAP_HANDLER: 0
; COMPUTE_PGM_RSRC2:TGID_X_EN: 1
; COMPUTE_PGM_RSRC2:TGID_Y_EN: 0
; COMPUTE_PGM_RSRC2:TGID_Z_EN: 0
; COMPUTE_PGM_RSRC2:TIDIG_COMP_CNT: 0
	.section	.text._ZN2at4cuda12_GLOBAL__N_121kernelPointwiseApply2IZNS_6native9templates4cuda28bernoulli_tensor_cuda_kernelIifEEvRKNS_10TensorBaseES9_NS_15PhiloxCudaStateEEUliRiSB_SB_SB_RKfSD_SD_SD_E_iSC_jLi1ELi1ELi4ELi512ELi2EEEvNS0_6detail10TensorInfoIT0_T2_EENSG_IT1_SI_EESI_T_,"axG",@progbits,_ZN2at4cuda12_GLOBAL__N_121kernelPointwiseApply2IZNS_6native9templates4cuda28bernoulli_tensor_cuda_kernelIifEEvRKNS_10TensorBaseES9_NS_15PhiloxCudaStateEEUliRiSB_SB_SB_RKfSD_SD_SD_E_iSC_jLi1ELi1ELi4ELi512ELi2EEEvNS0_6detail10TensorInfoIT0_T2_EENSG_IT1_SI_EESI_T_,comdat
	.globl	_ZN2at4cuda12_GLOBAL__N_121kernelPointwiseApply2IZNS_6native9templates4cuda28bernoulli_tensor_cuda_kernelIifEEvRKNS_10TensorBaseES9_NS_15PhiloxCudaStateEEUliRiSB_SB_SB_RKfSD_SD_SD_E_iSC_jLi1ELi1ELi4ELi512ELi2EEEvNS0_6detail10TensorInfoIT0_T2_EENSG_IT1_SI_EESI_T_ ; -- Begin function _ZN2at4cuda12_GLOBAL__N_121kernelPointwiseApply2IZNS_6native9templates4cuda28bernoulli_tensor_cuda_kernelIifEEvRKNS_10TensorBaseES9_NS_15PhiloxCudaStateEEUliRiSB_SB_SB_RKfSD_SD_SD_E_iSC_jLi1ELi1ELi4ELi512ELi2EEEvNS0_6detail10TensorInfoIT0_T2_EENSG_IT1_SI_EESI_T_
	.p2align	8
	.type	_ZN2at4cuda12_GLOBAL__N_121kernelPointwiseApply2IZNS_6native9templates4cuda28bernoulli_tensor_cuda_kernelIifEEvRKNS_10TensorBaseES9_NS_15PhiloxCudaStateEEUliRiSB_SB_SB_RKfSD_SD_SD_E_iSC_jLi1ELi1ELi4ELi512ELi2EEEvNS0_6detail10TensorInfoIT0_T2_EENSG_IT1_SI_EESI_T_,@function
_ZN2at4cuda12_GLOBAL__N_121kernelPointwiseApply2IZNS_6native9templates4cuda28bernoulli_tensor_cuda_kernelIifEEvRKNS_10TensorBaseES9_NS_15PhiloxCudaStateEEUliRiSB_SB_SB_RKfSD_SD_SD_E_iSC_jLi1ELi1ELi4ELi512ELi2EEEvNS0_6detail10TensorInfoIT0_T2_EENSG_IT1_SI_EESI_T_: ; @_ZN2at4cuda12_GLOBAL__N_121kernelPointwiseApply2IZNS_6native9templates4cuda28bernoulli_tensor_cuda_kernelIifEEvRKNS_10TensorBaseES9_NS_15PhiloxCudaStateEEUliRiSB_SB_SB_RKfSD_SD_SD_E_iSC_jLi1ELi1ELi4ELi512ELi2EEEvNS0_6detail10TensorInfoIT0_T2_EENSG_IT1_SI_EESI_T_
; %bb.0:
	s_clause 0x1
	s_load_b32 s4, s[0:1], 0x1e4
	s_load_b32 s5, s[0:1], 0x1b0
	s_add_u32 s2, s0, 0x1d8
	s_addc_u32 s3, s1, 0
	s_mov_b32 s6, exec_lo
	s_waitcnt lgkmcnt(0)
	s_and_b32 s4, s4, 0xffff
	s_delay_alu instid0(SALU_CYCLE_1) | instskip(NEXT) | instid1(VALU_DEP_1)
	v_mad_u64_u32 v[1:2], null, s15, s4, v[0:1]
	v_lshlrev_b32_e32 v0, 2, v1
	s_delay_alu instid0(VALU_DEP_1)
	v_cmpx_gt_u32_e64 s5, v0
	s_cbranch_execz .LBB33_51
; %bb.1:
	s_load_b32 s3, s[2:3], 0x0
	s_clause 0x4
	s_load_b32 s17, s[0:1], 0x1d0
	s_load_b32 s2, s[0:1], 0x6c
	;; [unrolled: 1-line block ×3, first 2 shown]
	s_load_b64 s[6:7], s[0:1], 0x0
	s_load_b64 s[12:13], s[0:1], 0xd8
	v_mad_u64_u32 v[2:3], null, 0xcd9e8d57, v1, 0
	s_clause 0x1
	s_load_b64 s[14:15], s[0:1], 0x1c8
	s_load_b128 s[8:11], s[0:1], 0x1b8
	v_dual_mov_b32 v4, 0 :: v_dual_add_nc_u32 v9, 3, v0
	v_add_nc_u32_e32 v8, 2, v0
	v_sub_nc_u32_e32 v24, s5, v0
	s_mov_b32 s16, 0
	v_mov_b32_e32 v25, v3
	s_mov_b32 s24, 0
                                        ; implicit-def: $sgpr26
                                        ; implicit-def: $sgpr25
                                        ; implicit-def: $sgpr27
                                        ; implicit-def: $sgpr29
                                        ; implicit-def: $sgpr28
                                        ; implicit-def: $sgpr30
	s_waitcnt lgkmcnt(0)
	s_mul_i32 s0, s3, s4
	s_bitcmp1_b32 s17, 0
	v_mul_lo_u32 v3, s2, v1
	v_mul_lo_u32 v10, s22, v1
	v_mad_u64_u32 v[5:6], null, s2, v0, s[2:3]
	v_mul_lo_u32 v26, s2, v8
	v_mul_lo_u32 v27, s2, v9
	v_mad_u64_u32 v[6:7], null, s22, v0, s[22:23]
	v_mul_lo_u32 v29, s22, v8
	v_mul_lo_u32 v30, s22, v9
	v_lshlrev_b32_e32 v28, 2, v3
	v_lshlrev_b32_e32 v31, 2, v10
	s_mul_i32 s1, s0, s2
	s_cselect_b32 s18, -1, 0
	s_lshl_b32 s19, s0, 2
	s_mul_i32 s0, s0, s22
	s_lshl_b32 s20, s1, 2
	s_lshl_b32 s21, s0, 2
	s_mov_b32 s22, 0
                                        ; implicit-def: $sgpr23
                                        ; implicit-def: $sgpr17
	s_branch .LBB33_3
.LBB33_2:                               ;   in Loop: Header=BB33_3 Depth=1
	s_or_b32 exec_lo, exec_lo, s1
	s_delay_alu instid0(SALU_CYCLE_1) | instskip(NEXT) | instid1(SALU_CYCLE_1)
	s_and_b32 s0, exec_lo, s0
	s_or_b32 s16, s0, s16
	s_and_not1_b32 s0, s17, exec_lo
	s_and_b32 s1, s30, exec_lo
	s_and_not1_b32 s2, s25, exec_lo
	s_and_b32 s3, s28, exec_lo
	s_or_b32 s17, s0, s1
	s_or_b32 s25, s2, s3
	s_and_not1_b32 s0, s26, exec_lo
	s_and_b32 s1, s29, exec_lo
	s_and_not1_b32 s2, s23, exec_lo
	s_and_b32 s3, s27, exec_lo
	s_or_b32 s26, s0, s1
	s_or_b32 s23, s2, s3
	s_and_not1_b32 exec_lo, exec_lo, s16
	s_cbranch_execz .LBB33_39
.LBB33_3:                               ; =>This Inner Loop Header: Depth=1
	v_add_nc_u32_e32 v3, s22, v31
	v_cmp_lt_i32_e64 s0, 0, v24
	v_add_nc_u32_e32 v9, s22, v6
	v_cmp_lt_i32_e64 s1, 1, v24
	;; [unrolled: 2-line block ×3, first 2 shown]
	v_cndmask_b32_e64 v3, 0, v3, s0
	v_add_nc_u32_e32 v13, s22, v30
	v_cmp_lt_i32_e64 s3, 3, v24
	s_delay_alu instid0(VALU_DEP_3) | instskip(SKIP_1) | instid1(VALU_DEP_1)
	v_lshlrev_b64 v[7:8], 2, v[3:4]
	v_cndmask_b32_e64 v3, 0, v9, s1
	v_lshlrev_b64 v[9:10], 2, v[3:4]
	v_cndmask_b32_e64 v3, 0, v11, s2
	s_delay_alu instid0(VALU_DEP_4) | instskip(SKIP_1) | instid1(VALU_DEP_3)
	v_add_co_u32 v7, vcc_lo, s12, v7
	v_add_co_ci_u32_e32 v8, vcc_lo, s13, v8, vcc_lo
	v_lshlrev_b64 v[11:12], 2, v[3:4]
	v_cndmask_b32_e64 v3, 0, v13, s3
	v_add_co_u32 v9, vcc_lo, s12, v9
	v_add_co_ci_u32_e32 v10, vcc_lo, s13, v10, vcc_lo
	s_delay_alu instid0(VALU_DEP_3) | instskip(SKIP_2) | instid1(VALU_DEP_3)
	v_lshlrev_b64 v[13:14], 2, v[3:4]
	v_add_co_u32 v11, vcc_lo, s12, v11
	v_add_co_ci_u32_e32 v12, vcc_lo, s13, v12, vcc_lo
	v_add_co_u32 v13, vcc_lo, s12, v13
	s_delay_alu instid0(VALU_DEP_4)
	v_add_co_ci_u32_e32 v14, vcc_lo, s13, v14, vcc_lo
	s_clause 0x3
	global_load_b32 v32, v[7:8], off
	global_load_b32 v33, v[9:10], off
	;; [unrolled: 1-line block ×4, first 2 shown]
	v_mov_b32_e32 v14, s9
	v_dual_mov_b32 v12, s11 :: v_dual_mov_b32 v11, s10
	v_mov_b32_e32 v13, s8
	s_and_not1_b32 vcc_lo, exec_lo, s18
	s_cbranch_vccnz .LBB33_5
; %bb.4:                                ;   in Loop: Header=BB33_3 Depth=1
	v_dual_mov_b32 v7, s10 :: v_dual_mov_b32 v8, s11
	v_dual_mov_b32 v10, s9 :: v_dual_mov_b32 v9, s8
	flat_load_b64 v[7:8], v[7:8]
	flat_load_b64 v[13:14], v[9:10]
	s_waitcnt vmcnt(1) lgkmcnt(1)
	v_add_co_u32 v11, vcc_lo, v7, s14
	v_add_co_ci_u32_e32 v12, vcc_lo, s15, v8, vcc_lo
.LBB33_5:                               ;   in Loop: Header=BB33_3 Depth=1
	s_delay_alu instid0(VALU_DEP_1)
	v_alignbit_b32 v3, v12, v11, 2
	v_lshrrev_b32_e32 v9, 2, v12
	s_waitcnt vmcnt(0) lgkmcnt(0)
	v_add_nc_u32_e32 v37, 0xbb67ae85, v14
	v_add_nc_u32_e32 v38, 0x76cf5d0a, v14
	;; [unrolled: 1-line block ×3, first 2 shown]
	v_add_co_u32 v10, vcc_lo, v3, 1
	s_delay_alu instid0(VALU_DEP_1) | instskip(SKIP_4) | instid1(VALU_DEP_4)
	v_cndmask_b32_e64 v7, 0, 1, vcc_lo
	v_add_co_ci_u32_e32 v12, vcc_lo, 0, v9, vcc_lo
	v_xor3_b32 v17, v25, v13, v9
	v_add_nc_u32_e32 v40, 0xed9eba14, v14
	v_add_nc_u32_e32 v42, 0xa9066899, v14
	v_cmp_eq_u32_e32 vcc_lo, 0, v12
	v_add_nc_u32_e32 v43, 0x646e171e, v14
	s_mov_b32 s4, exec_lo
	v_dual_cndmask_b32 v15, 0, v7 :: v_dual_add_nc_u32 v36, 0x9e3779b9, v13
	v_mad_u64_u32 v[7:8], null, 0xd2511f53, v10, 0
	s_delay_alu instid0(VALU_DEP_2) | instskip(NEXT) | instid1(VALU_DEP_2)
	v_add_nc_u32_e32 v10, v15, v1
	v_xor_b32_e32 v16, v8, v14
	s_delay_alu instid0(VALU_DEP_2) | instskip(SKIP_2) | instid1(VALU_DEP_1)
	v_cmp_eq_u32_e32 vcc_lo, 0, v10
	v_mad_u64_u32 v[8:9], null, 0xd2511f53, v3, 0
	v_cndmask_b32_e32 v15, 0, v15, vcc_lo
	v_xor_b32_e32 v3, v15, v16
	v_mad_u64_u32 v[15:16], null, 0xd2511f53, v17, 0
	v_mad_u64_u32 v[17:18], null, 0xcd9e8d57, v10, 0
	s_delay_alu instid0(VALU_DEP_3) | instskip(SKIP_3) | instid1(VALU_DEP_3)
	v_mad_u64_u32 v[19:20], null, 0xcd9e8d57, v3, 0
	v_xor_b32_e32 v3, v9, v14
	v_add_nc_u32_e32 v10, 0x3c6ef372, v13
	v_xor3_b32 v21, v37, v16, v8
	v_mad_u64_u32 v[8:9], null, 0xcd9e8d57, v3, 0
	v_xor3_b32 v3, v18, v13, v12
	v_xor3_b32 v12, v36, v20, v17
	s_delay_alu instid0(VALU_DEP_4) | instskip(NEXT) | instid1(VALU_DEP_3)
	v_mad_u64_u32 v[16:17], null, 0xcd9e8d57, v21, 0
	v_mad_u64_u32 v[20:21], null, 0xd2511f53, v3, 0
	s_delay_alu instid0(VALU_DEP_3) | instskip(SKIP_1) | instid1(VALU_DEP_4)
	v_mad_u64_u32 v[22:23], null, 0xd2511f53, v12, 0
	v_xor3_b32 v3, v2, v9, v36
	v_xor3_b32 v36, v10, v17, v8
	v_add_nc_u32_e32 v12, 0xdaa66d2b, v13
	s_delay_alu instid0(VALU_DEP_3) | instskip(SKIP_4) | instid1(VALU_DEP_4)
	v_mad_u64_u32 v[8:9], null, 0xd2511f53, v3, 0
	v_xor3_b32 v3, v37, v21, v7
	v_xor3_b32 v7, v38, v23, v20
	v_mad_u64_u32 v[17:18], null, 0xd2511f53, v36, 0
	v_add_nc_u32_e32 v23, 0x78dde6e4, v13
	v_mad_u64_u32 v[20:21], null, 0xcd9e8d57, v3, 0
	s_delay_alu instid0(VALU_DEP_4) | instskip(SKIP_2) | instid1(VALU_DEP_2)
	v_mad_u64_u32 v[36:37], null, 0xcd9e8d57, v7, 0
	v_xor3_b32 v3, v38, v9, v15
	v_xor3_b32 v15, v39, v18, v8
	v_mad_u64_u32 v[7:8], null, 0xcd9e8d57, v3, 0
	v_xor3_b32 v3, v10, v21, v19
	v_xor3_b32 v37, v12, v37, v20
	s_delay_alu instid0(VALU_DEP_4) | instskip(NEXT) | instid1(VALU_DEP_3)
	v_mad_u64_u32 v[9:10], null, 0xcd9e8d57, v15, 0
	v_mad_u64_u32 v[18:19], null, 0xd2511f53, v3, 0
	s_delay_alu instid0(VALU_DEP_3) | instskip(SKIP_1) | instid1(VALU_DEP_4)
	v_mad_u64_u32 v[20:21], null, 0xd2511f53, v37, 0
	v_xor3_b32 v3, v12, v8, v16
	v_xor3_b32 v10, v23, v10, v7
	v_add_nc_u32_e32 v12, 0x1715609d, v13
	s_delay_alu instid0(VALU_DEP_3) | instskip(SKIP_3) | instid1(VALU_DEP_3)
	v_mad_u64_u32 v[7:8], null, 0xd2511f53, v3, 0
	v_xor3_b32 v3, v39, v19, v22
	v_xor3_b32 v18, v40, v21, v18
	v_mad_u64_u32 v[21:22], null, 0xd2511f53, v10, 0
	v_mad_u64_u32 v[15:16], null, 0xcd9e8d57, v3, 0
	s_delay_alu instid0(VALU_DEP_3) | instskip(SKIP_1) | instid1(VALU_DEP_4)
	v_mad_u64_u32 v[37:38], null, 0xcd9e8d57, v18, 0
	v_xor3_b32 v3, v40, v8, v17
	v_xor3_b32 v10, v42, v22, v7
	v_add_nc_u32_e32 v17, 0xb54cda56, v13
	s_delay_alu instid0(VALU_DEP_3) | instskip(SKIP_4) | instid1(VALU_DEP_4)
	v_mad_u64_u32 v[7:8], null, 0xcd9e8d57, v3, 0
	v_xor3_b32 v3, v23, v16, v36
	v_xor3_b32 v18, v12, v38, v15
	v_mad_u64_u32 v[38:39], null, 0xcd9e8d57, v10, 0
	v_add_nc_u32_e32 v23, 0x1fd5c5a3, v14
	v_mad_u64_u32 v[15:16], null, 0xd2511f53, v3, 0
	s_delay_alu instid0(VALU_DEP_4) | instskip(SKIP_4) | instid1(VALU_DEP_4)
	v_mad_u64_u32 v[40:41], null, 0xd2511f53, v18, 0
	v_xor3_b32 v3, v12, v8, v9
	v_xor3_b32 v9, v17, v39, v7
	v_add_nc_u32_e32 v12, 0x5384540f, v13
	v_add_co_u32 v36, null, 0xf1bbcdc8, v13
	v_mad_u64_u32 v[7:8], null, 0xd2511f53, v3, 0
	v_xor3_b32 v3, v42, v16, v20
	v_xor3_b32 v20, v43, v41, v15
	v_mad_u64_u32 v[15:16], null, 0xd2511f53, v9, 0
	s_delay_alu instid0(VALU_DEP_3) | instskip(NEXT) | instid1(VALU_DEP_3)
	v_mad_u64_u32 v[9:10], null, 0xcd9e8d57, v3, 0
	v_mad_u64_u32 v[18:19], null, 0xcd9e8d57, v20, 0
	v_xor3_b32 v3, v43, v8, v21
	s_delay_alu instid0(VALU_DEP_4) | instskip(NEXT) | instid1(VALU_DEP_2)
	v_xor3_b32 v20, v23, v16, v7
	v_mad_u64_u32 v[7:8], null, 0xcd9e8d57, v3, 0
	v_xor3_b32 v3, v17, v10, v37
	v_xor3_b32 v19, v12, v19, v9
	s_delay_alu instid0(VALU_DEP_4) | instskip(SKIP_1) | instid1(VALU_DEP_4)
	v_mad_u64_u32 v[16:17], null, 0xcd9e8d57, v20, 0
	v_add_nc_u32_e32 v37, 0xdb3d7428, v14
	v_mad_u64_u32 v[9:10], null, 0xd2511f53, v3, 0
	s_delay_alu instid0(VALU_DEP_4) | instskip(SKIP_2) | instid1(VALU_DEP_2)
	v_mad_u64_u32 v[21:22], null, 0xd2511f53, v19, 0
	v_xor3_b32 v3, v12, v8, v38
	v_xor3_b32 v12, v36, v17, v7
	v_mad_u64_u32 v[19:20], null, 0xd2511f53, v3, 0
	v_xor3_b32 v3, v23, v10, v40
	v_xor3_b32 v17, v37, v22, v9
	s_delay_alu instid0(VALU_DEP_4) | instskip(NEXT) | instid1(VALU_DEP_3)
	v_mad_u64_u32 v[7:8], null, 0xd2511f53, v12, 0
                                        ; implicit-def: $vgpr12
	v_mad_u64_u32 v[22:23], null, 0xcd9e8d57, v3, 0
	s_delay_alu instid0(VALU_DEP_3) | instskip(SKIP_3) | instid1(VALU_DEP_3)
	v_mad_u64_u32 v[9:10], null, 0xcd9e8d57, v17, 0
	v_add_nc_u32_e32 v17, 0x96a522ad, v14
	v_add_nc_u32_e32 v14, 0x8ff34781, v13
	v_and_b32_e32 v13, 3, v11
	v_xor3_b32 v3, v8, v19, v17
	s_delay_alu instid0(VALU_DEP_3) | instskip(NEXT) | instid1(VALU_DEP_3)
	v_xor3_b32 v8, v10, v22, v14
	v_cmpx_lt_i32_e32 1, v13
	s_xor_b32 s4, exec_lo, s4
	s_cbranch_execz .LBB33_11
; %bb.6:                                ;   in Loop: Header=BB33_3 Depth=1
	s_mov_b32 s31, exec_lo
                                        ; implicit-def: $vgpr12
	v_cmpx_lt_i32_e32 2, v13
	s_xor_b32 s31, exec_lo, s31
; %bb.7:                                ;   in Loop: Header=BB33_3 Depth=1
	v_xor3_b32 v3, v36, v23, v18
	s_delay_alu instid0(VALU_DEP_1) | instskip(NEXT) | instid1(VALU_DEP_1)
	v_mul_hi_u32 v3, 0xd2511f53, v3
	v_xor3_b32 v12, v3, v21, v17
                                        ; implicit-def: $vgpr3
; %bb.8:                                ;   in Loop: Header=BB33_3 Depth=1
	s_and_not1_saveexec_b32 s31, s31
; %bb.9:                                ;   in Loop: Header=BB33_3 Depth=1
	v_dual_mov_b32 v12, v9 :: v_dual_mov_b32 v9, v8
	v_mov_b32_e32 v8, v7
	v_mov_b32_e32 v7, v3
; %bb.10:                               ;   in Loop: Header=BB33_3 Depth=1
	s_or_b32 exec_lo, exec_lo, s31
                                        ; implicit-def: $vgpr15_vgpr16
                                        ; implicit-def: $vgpr13
                                        ; implicit-def: $vgpr3
                                        ; implicit-def: $vgpr37
                                        ; implicit-def: $vgpr19_vgpr20
                                        ; implicit-def: $vgpr14
                                        ; implicit-def: $vgpr16_vgpr17
.LBB33_11:                              ;   in Loop: Header=BB33_3 Depth=1
	s_and_not1_saveexec_b32 s4, s4
	s_cbranch_execz .LBB33_15
; %bb.12:                               ;   in Loop: Header=BB33_3 Depth=1
	v_xor3_b32 v9, v37, v20, v15
	v_cmp_eq_u32_e32 vcc_lo, 1, v13
	s_delay_alu instid0(VALU_DEP_2) | instskip(SKIP_2) | instid1(VALU_DEP_3)
	v_mad_u64_u32 v[10:11], null, 0xcd9e8d57, v9, 0
	v_mov_b32_e32 v12, v7
	v_mov_b32_e32 v9, v3
	v_xor3_b32 v13, v11, v16, v14
	s_delay_alu instid0(VALU_DEP_4)
	v_mov_b32_e32 v11, v10
	s_and_saveexec_b32 s31, vcc_lo
; %bb.13:                               ;   in Loop: Header=BB33_3 Depth=1
	v_dual_mov_b32 v12, v8 :: v_dual_mov_b32 v9, v7
	v_mov_b32_e32 v11, v3
	v_mov_b32_e32 v13, v10
; %bb.14:                               ;   in Loop: Header=BB33_3 Depth=1
	s_or_b32 exec_lo, exec_lo, s31
	s_delay_alu instid0(VALU_DEP_1)
	v_dual_mov_b32 v7, v13 :: v_dual_mov_b32 v8, v11
.LBB33_15:                              ;   in Loop: Header=BB33_3 Depth=1
	s_or_b32 exec_lo, exec_lo, s4
	v_min_i32_e32 v10, 4, v24
	s_mov_b32 s31, 0
	s_mov_b32 s36, 0
	s_mov_b32 s35, exec_lo
                                        ; implicit-def: $sgpr4
                                        ; implicit-def: $sgpr33
                                        ; implicit-def: $sgpr34
	s_delay_alu instid0(VALU_DEP_1)
	v_cmpx_lt_i32_e32 2, v10
	s_xor_b32 s35, exec_lo, s35
	s_cbranch_execz .LBB33_25
; %bb.16:                               ;   in Loop: Header=BB33_3 Depth=1
	s_mov_b32 s36, -1
	s_mov_b32 s34, exec_lo
                                        ; implicit-def: $sgpr33
                                        ; implicit-def: $sgpr4
	v_cmpx_lt_i32_e32 3, v10
	s_cbranch_execz .LBB33_20
; %bb.17:                               ;   in Loop: Header=BB33_3 Depth=1
	v_cmp_le_f32_e32 vcc_lo, 0, v35
	v_cmp_ge_f32_e64 s4, 1.0, v35
	s_mov_b32 s33, 0
	s_mov_b32 s36, 0
	s_delay_alu instid0(VALU_DEP_1) | instskip(NEXT) | instid1(SALU_CYCLE_1)
	s_and_b32 s37, vcc_lo, s4
	s_and_saveexec_b32 s4, s37
	s_cbranch_execz .LBB33_19
; %bb.18:                               ;   in Loop: Header=BB33_3 Depth=1
	v_add_nc_u32_e32 v3, s24, v27
	v_cvt_f32_u32_e32 v13, v12
	s_mov_b32 s36, exec_lo
	s_delay_alu instid0(VALU_DEP_2) | instskip(NEXT) | instid1(VALU_DEP_1)
	v_cndmask_b32_e64 v3, 0, v3, s3
	v_lshlrev_b64 v[11:12], 2, v[3:4]
	s_delay_alu instid0(VALU_DEP_3) | instskip(NEXT) | instid1(VALU_DEP_2)
	v_fmaak_f32 v3, 0x2f800000, v13, 0x2f800000
	v_add_co_u32 v11, vcc_lo, s6, v11
	s_delay_alu instid0(VALU_DEP_3) | instskip(NEXT) | instid1(VALU_DEP_3)
	v_add_co_ci_u32_e32 v12, vcc_lo, s7, v12, vcc_lo
	v_cmp_le_f32_e32 vcc_lo, v3, v35
	v_cndmask_b32_e64 v3, 0, 1, vcc_lo
	global_store_b32 v[11:12], v3, off
.LBB33_19:                              ;   in Loop: Header=BB33_3 Depth=1
	s_or_b32 exec_lo, exec_lo, s4
	s_mov_b32 s4, -1
	s_or_not1_b32 s36, s36, exec_lo
.LBB33_20:                              ;   in Loop: Header=BB33_3 Depth=1
	s_or_b32 exec_lo, exec_lo, s34
	s_mov_b32 s3, 0
	s_mov_b32 s37, s33
	s_and_saveexec_b32 s34, s36
	s_cbranch_execz .LBB33_24
; %bb.21:                               ;   in Loop: Header=BB33_3 Depth=1
	v_cmp_le_f32_e32 vcc_lo, 0, v34
	v_cmp_ge_f32_e64 s3, 1.0, v34
	s_delay_alu instid0(VALU_DEP_1) | instskip(SKIP_2) | instid1(SALU_CYCLE_1)
	s_and_b32 s36, vcc_lo, s3
	s_mov_b32 s3, 0
	s_and_saveexec_b32 s37, s36
	s_xor_b32 s36, exec_lo, s37
	s_cbranch_execz .LBB33_23
; %bb.22:                               ;   in Loop: Header=BB33_3 Depth=1
	v_add_nc_u32_e32 v3, s24, v26
	v_cvt_f32_u32_e32 v9, v9
	s_mov_b32 s3, exec_lo
	s_delay_alu instid0(VALU_DEP_2) | instskip(NEXT) | instid1(VALU_DEP_1)
	v_cndmask_b32_e64 v3, 0, v3, s2
	v_lshlrev_b64 v[11:12], 2, v[3:4]
	s_delay_alu instid0(VALU_DEP_3) | instskip(NEXT) | instid1(VALU_DEP_2)
	v_fmaak_f32 v3, 0x2f800000, v9, 0x2f800000
	v_add_co_u32 v11, vcc_lo, s6, v11
	s_delay_alu instid0(VALU_DEP_3) | instskip(NEXT) | instid1(VALU_DEP_3)
	v_add_co_ci_u32_e32 v12, vcc_lo, s7, v12, vcc_lo
	v_cmp_le_f32_e32 vcc_lo, v3, v34
	v_cndmask_b32_e64 v3, 0, 1, vcc_lo
	global_store_b32 v[11:12], v3, off
.LBB33_23:                              ;   in Loop: Header=BB33_3 Depth=1
	s_or_b32 exec_lo, exec_lo, s36
	s_delay_alu instid0(SALU_CYCLE_1)
	s_and_not1_b32 s37, s33, exec_lo
	s_or_b32 s33, s33, exec_lo
	s_and_not1_b32 s4, s4, exec_lo
	s_and_b32 s3, s3, exec_lo
.LBB33_24:                              ;   in Loop: Header=BB33_3 Depth=1
	s_or_b32 exec_lo, exec_lo, s34
	s_delay_alu instid0(SALU_CYCLE_1)
	s_and_b32 s34, s37, exec_lo
	s_and_b32 s33, s33, exec_lo
	;; [unrolled: 1-line block ×4, first 2 shown]
.LBB33_25:                              ;   in Loop: Header=BB33_3 Depth=1
	s_and_not1_saveexec_b32 s2, s35
; %bb.26:                               ;   in Loop: Header=BB33_3 Depth=1
	v_cmp_lt_i32_e32 vcc_lo, 1, v10
	s_and_not1_b32 s3, s36, exec_lo
	s_mov_b32 s31, exec_lo
	s_and_not1_b32 s34, s34, exec_lo
	s_and_not1_b32 s33, s33, exec_lo
	s_and_b32 s35, vcc_lo, exec_lo
	s_and_not1_b32 s4, s4, exec_lo
	s_or_b32 s36, s3, s35
; %bb.27:                               ;   in Loop: Header=BB33_3 Depth=1
	s_or_b32 exec_lo, exec_lo, s2
	s_mov_b32 s3, 0
	s_mov_b32 s35, 0
	s_mov_b32 s2, s34
	s_and_saveexec_b32 s37, s36
	s_cbranch_execnz .LBB33_30
; %bb.28:                               ;   in Loop: Header=BB33_3 Depth=1
	s_or_b32 exec_lo, exec_lo, s37
	s_and_saveexec_b32 s1, s31
	s_cbranch_execnz .LBB33_33
.LBB33_29:                              ;   in Loop: Header=BB33_3 Depth=1
	s_or_b32 exec_lo, exec_lo, s1
	s_and_saveexec_b32 s31, s35
	s_cbranch_execnz .LBB33_34
	s_branch .LBB33_37
.LBB33_30:                              ;   in Loop: Header=BB33_3 Depth=1
	v_cmp_le_f32_e32 vcc_lo, 0, v33
	v_cmp_ge_f32_e64 s2, 1.0, v33
	s_delay_alu instid0(VALU_DEP_1) | instskip(NEXT) | instid1(SALU_CYCLE_1)
	s_and_b32 s2, vcc_lo, s2
	s_and_saveexec_b32 s36, s2
	s_delay_alu instid0(SALU_CYCLE_1)
	s_xor_b32 s2, exec_lo, s36
	s_cbranch_execz .LBB33_32
; %bb.31:                               ;   in Loop: Header=BB33_3 Depth=1
	v_add_nc_u32_e32 v3, s24, v5
	v_cvt_f32_u32_e32 v11, v8
	s_mov_b32 s35, exec_lo
	s_delay_alu instid0(VALU_DEP_2) | instskip(NEXT) | instid1(VALU_DEP_1)
	v_cndmask_b32_e64 v3, 0, v3, s1
	v_lshlrev_b64 v[8:9], 2, v[3:4]
	s_delay_alu instid0(VALU_DEP_3) | instskip(NEXT) | instid1(VALU_DEP_2)
	v_fmaak_f32 v3, 0x2f800000, v11, 0x2f800000
	v_add_co_u32 v8, vcc_lo, s6, v8
	s_delay_alu instid0(VALU_DEP_3) | instskip(NEXT) | instid1(VALU_DEP_3)
	v_add_co_ci_u32_e32 v9, vcc_lo, s7, v9, vcc_lo
	v_cmp_le_f32_e32 vcc_lo, v3, v33
	v_cndmask_b32_e64 v3, 0, 1, vcc_lo
	global_store_b32 v[8:9], v3, off
.LBB33_32:                              ;   in Loop: Header=BB33_3 Depth=1
	s_or_b32 exec_lo, exec_lo, s2
	s_delay_alu instid0(SALU_CYCLE_1)
	s_and_not1_b32 s2, s34, exec_lo
	s_or_b32 s34, s34, exec_lo
	s_and_not1_b32 s33, s33, exec_lo
	s_and_not1_b32 s4, s4, exec_lo
	s_and_b32 s35, s35, exec_lo
	s_and_not1_b32 s31, s31, exec_lo
	s_or_b32 exec_lo, exec_lo, s37
	s_and_saveexec_b32 s1, s31
	s_cbranch_execz .LBB33_29
.LBB33_33:                              ;   in Loop: Header=BB33_3 Depth=1
	v_cmp_eq_u32_e32 vcc_lo, 1, v10
	s_and_not1_b32 s31, s35, exec_lo
	s_mov_b32 s3, exec_lo
	s_and_not1_b32 s2, s2, exec_lo
	s_and_not1_b32 s34, s34, exec_lo
	s_and_b32 s35, vcc_lo, exec_lo
	s_and_not1_b32 s33, s33, exec_lo
	s_and_not1_b32 s4, s4, exec_lo
	s_or_b32 s35, s31, s35
	s_or_b32 exec_lo, exec_lo, s1
	s_and_saveexec_b32 s31, s35
	s_cbranch_execz .LBB33_37
.LBB33_34:                              ;   in Loop: Header=BB33_3 Depth=1
	v_cmp_le_f32_e32 vcc_lo, 0, v32
	v_cmp_ge_f32_e64 s1, 1.0, v32
	s_delay_alu instid0(VALU_DEP_1)
	s_and_b32 s36, vcc_lo, s1
	s_mov_b32 s1, 0
	s_and_saveexec_b32 s35, s36
	s_cbranch_execz .LBB33_36
; %bb.35:                               ;   in Loop: Header=BB33_3 Depth=1
	v_add_nc_u32_e32 v3, s24, v28
	v_cvt_f32_u32_e32 v9, v7
	s_mov_b32 s1, exec_lo
	s_delay_alu instid0(VALU_DEP_2) | instskip(NEXT) | instid1(VALU_DEP_1)
	v_cndmask_b32_e64 v3, 0, v3, s0
	v_lshlrev_b64 v[7:8], 2, v[3:4]
	s_delay_alu instid0(VALU_DEP_3) | instskip(NEXT) | instid1(VALU_DEP_2)
	v_fmaak_f32 v3, 0x2f800000, v9, 0x2f800000
	v_add_co_u32 v7, vcc_lo, s6, v7
	s_delay_alu instid0(VALU_DEP_3) | instskip(NEXT) | instid1(VALU_DEP_3)
	v_add_co_ci_u32_e32 v8, vcc_lo, s7, v8, vcc_lo
	v_cmp_le_f32_e32 vcc_lo, v3, v32
	v_cndmask_b32_e64 v3, 0, 1, vcc_lo
	global_store_b32 v[7:8], v3, off
.LBB33_36:                              ;   in Loop: Header=BB33_3 Depth=1
	s_or_b32 exec_lo, exec_lo, s35
	s_delay_alu instid0(SALU_CYCLE_1)
	s_and_not1_b32 s0, s3, exec_lo
	s_and_b32 s1, s1, exec_lo
	s_or_b32 s2, s2, exec_lo
	s_and_not1_b32 s34, s34, exec_lo
	s_and_not1_b32 s33, s33, exec_lo
	;; [unrolled: 1-line block ×3, first 2 shown]
	s_or_b32 s3, s0, s1
.LBB33_37:                              ;   in Loop: Header=BB33_3 Depth=1
	s_or_b32 exec_lo, exec_lo, s31
	s_delay_alu instid0(SALU_CYCLE_1)
	s_and_not1_b32 s1, s30, exec_lo
	s_and_b32 s2, s2, exec_lo
	s_and_not1_b32 s28, s28, exec_lo
	s_and_b32 s31, s34, exec_lo
	s_or_b32 s30, s1, s2
	s_and_not1_b32 s1, s29, exec_lo
	s_and_b32 s2, s33, exec_lo
	s_and_not1_b32 s27, s27, exec_lo
	s_and_b32 s4, s4, exec_lo
	s_mov_b32 s0, -1
	s_or_b32 s28, s28, s31
	s_or_b32 s29, s1, s2
	;; [unrolled: 1-line block ×3, first 2 shown]
	s_and_saveexec_b32 s1, s3
	s_cbranch_execz .LBB33_2
; %bb.38:                               ;   in Loop: Header=BB33_3 Depth=1
	v_add_nc_u32_e32 v0, s19, v0
	v_subrev_nc_u32_e32 v24, s19, v24
	s_add_i32 s24, s24, s20
	s_add_i32 s22, s22, s21
	s_and_not1_b32 s30, s30, exec_lo
	v_cmp_le_u32_e32 vcc_lo, s5, v0
	s_and_not1_b32 s28, s28, exec_lo
	s_and_not1_b32 s29, s29, exec_lo
	;; [unrolled: 1-line block ×3, first 2 shown]
	s_or_not1_b32 s0, vcc_lo, exec_lo
	s_branch .LBB33_2
.LBB33_39:
	s_or_b32 exec_lo, exec_lo, s16
	s_xor_b32 s3, s25, -1
	s_xor_b32 s4, s26, -1
	;; [unrolled: 1-line block ×3, first 2 shown]
	s_mov_b32 s1, 0
	s_and_saveexec_b32 s2, s0
	s_delay_alu instid0(SALU_CYCLE_1)
	s_xor_b32 s0, exec_lo, s2
	s_cbranch_execz .LBB33_48
; %bb.40:
	s_mov_b32 s2, 0
	s_and_saveexec_b32 s1, s4
	s_delay_alu instid0(SALU_CYCLE_1)
	s_xor_b32 s1, exec_lo, s1
	s_cbranch_execz .LBB33_46
; %bb.41:
	s_and_saveexec_b32 s4, s3
	s_delay_alu instid0(SALU_CYCLE_1)
	s_xor_b32 s3, exec_lo, s4
	s_cbranch_execz .LBB33_44
; %bb.42:
	s_and_saveexec_b32 s4, s17
	s_delay_alu instid0(SALU_CYCLE_1)
	s_xor_b32 s4, exec_lo, s4
	s_cbranch_execnz .LBB33_62
.LBB33_43:
	s_or_b32 exec_lo, exec_lo, s4
	s_delay_alu instid0(SALU_CYCLE_1)
	s_and_b32 s2, s2, exec_lo
.LBB33_44:
	s_and_not1_saveexec_b32 s3, s3
	s_cbranch_execnz .LBB33_58
.LBB33_45:
	s_or_b32 exec_lo, exec_lo, s3
	s_delay_alu instid0(SALU_CYCLE_1)
	s_and_b32 s2, s2, exec_lo
.LBB33_46:
	s_and_not1_saveexec_b32 s1, s1
	s_cbranch_execnz .LBB33_54
.LBB33_47:
	s_or_b32 exec_lo, exec_lo, s1
	s_delay_alu instid0(SALU_CYCLE_1)
	s_and_b32 s1, s2, exec_lo
.LBB33_48:
	s_and_not1_saveexec_b32 s0, s0
	s_cbranch_execnz .LBB33_52
; %bb.49:
	s_or_b32 exec_lo, exec_lo, s0
	s_delay_alu instid0(SALU_CYCLE_1)
	s_and_b32 exec_lo, exec_lo, s1
.LBB33_50:
	; divergent unreachable
.LBB33_51:
	s_nop 0
	s_sendmsg sendmsg(MSG_DEALLOC_VGPRS)
	s_endpgm
.LBB33_52:
	s_cbranch_execnz .LBB33_56
; %bb.53:
	s_or_b32 s1, s1, exec_lo
	s_or_b32 exec_lo, exec_lo, s0
	s_delay_alu instid0(SALU_CYCLE_1)
	s_and_b32 exec_lo, exec_lo, s1
	s_cbranch_execnz .LBB33_50
	s_branch .LBB33_51
.LBB33_54:
	s_cbranch_execnz .LBB33_60
; %bb.55:
	s_or_b32 s2, s2, exec_lo
	s_branch .LBB33_47
.LBB33_56:
	s_trap 2
	s_sendmsg_rtn_b32 s0, sendmsg(MSG_RTN_GET_DOORBELL)
	s_mov_b32 ttmp2, m0
	s_waitcnt lgkmcnt(0)
	s_and_b32 s0, s0, 0x3ff
	s_delay_alu instid0(SALU_CYCLE_1) | instskip(NEXT) | instid1(SALU_CYCLE_1)
	s_bitset1_b32 s0, 10
	s_mov_b32 m0, s0
	s_sendmsg sendmsg(MSG_INTERRUPT)
	s_mov_b32 m0, ttmp2
.LBB33_57:                              ; =>This Inner Loop Header: Depth=1
	s_sethalt 5
	s_branch .LBB33_57
.LBB33_58:
	s_cbranch_execnz .LBB33_64
; %bb.59:
	s_or_b32 s2, s2, exec_lo
	s_branch .LBB33_45
.LBB33_60:
	s_trap 2
	s_sendmsg_rtn_b32 s0, sendmsg(MSG_RTN_GET_DOORBELL)
	s_mov_b32 ttmp2, m0
	s_waitcnt lgkmcnt(0)
	s_and_b32 s0, s0, 0x3ff
	s_delay_alu instid0(SALU_CYCLE_1) | instskip(NEXT) | instid1(SALU_CYCLE_1)
	s_bitset1_b32 s0, 10
	s_mov_b32 m0, s0
	s_sendmsg sendmsg(MSG_INTERRUPT)
	s_mov_b32 m0, ttmp2
.LBB33_61:                              ; =>This Inner Loop Header: Depth=1
	s_sethalt 5
	s_branch .LBB33_61
.LBB33_62:
	s_cbranch_execnz .LBB33_66
; %bb.63:
	s_mov_b32 s2, exec_lo
	s_branch .LBB33_43
.LBB33_64:
	s_trap 2
	s_sendmsg_rtn_b32 s0, sendmsg(MSG_RTN_GET_DOORBELL)
	s_mov_b32 ttmp2, m0
	s_waitcnt lgkmcnt(0)
	s_and_b32 s0, s0, 0x3ff
	s_delay_alu instid0(SALU_CYCLE_1) | instskip(NEXT) | instid1(SALU_CYCLE_1)
	s_bitset1_b32 s0, 10
	s_mov_b32 m0, s0
	s_sendmsg sendmsg(MSG_INTERRUPT)
	s_mov_b32 m0, ttmp2
.LBB33_65:                              ; =>This Inner Loop Header: Depth=1
	s_sethalt 5
	s_branch .LBB33_65
.LBB33_66:
	s_trap 2
	s_sendmsg_rtn_b32 s0, sendmsg(MSG_RTN_GET_DOORBELL)
	s_mov_b32 ttmp2, m0
	s_waitcnt lgkmcnt(0)
	s_and_b32 s0, s0, 0x3ff
	s_delay_alu instid0(SALU_CYCLE_1) | instskip(NEXT) | instid1(SALU_CYCLE_1)
	s_bitset1_b32 s0, 10
	s_mov_b32 m0, s0
	s_sendmsg sendmsg(MSG_INTERRUPT)
	s_mov_b32 m0, ttmp2
.LBB33_67:                              ; =>This Inner Loop Header: Depth=1
	s_sethalt 5
	s_branch .LBB33_67
	.section	.rodata,"a",@progbits
	.p2align	6, 0x0
	.amdhsa_kernel _ZN2at4cuda12_GLOBAL__N_121kernelPointwiseApply2IZNS_6native9templates4cuda28bernoulli_tensor_cuda_kernelIifEEvRKNS_10TensorBaseES9_NS_15PhiloxCudaStateEEUliRiSB_SB_SB_RKfSD_SD_SD_E_iSC_jLi1ELi1ELi4ELi512ELi2EEEvNS0_6detail10TensorInfoIT0_T2_EENSG_IT1_SI_EESI_T_
		.amdhsa_group_segment_fixed_size 0
		.amdhsa_private_segment_fixed_size 0
		.amdhsa_kernarg_size 728
		.amdhsa_user_sgpr_count 15
		.amdhsa_user_sgpr_dispatch_ptr 0
		.amdhsa_user_sgpr_queue_ptr 0
		.amdhsa_user_sgpr_kernarg_segment_ptr 1
		.amdhsa_user_sgpr_dispatch_id 0
		.amdhsa_user_sgpr_private_segment_size 0
		.amdhsa_wavefront_size32 1
		.amdhsa_uses_dynamic_stack 0
		.amdhsa_enable_private_segment 0
		.amdhsa_system_sgpr_workgroup_id_x 1
		.amdhsa_system_sgpr_workgroup_id_y 0
		.amdhsa_system_sgpr_workgroup_id_z 0
		.amdhsa_system_sgpr_workgroup_info 0
		.amdhsa_system_vgpr_workitem_id 0
		.amdhsa_next_free_vgpr 44
		.amdhsa_next_free_sgpr 38
		.amdhsa_reserve_vcc 1
		.amdhsa_float_round_mode_32 0
		.amdhsa_float_round_mode_16_64 0
		.amdhsa_float_denorm_mode_32 3
		.amdhsa_float_denorm_mode_16_64 3
		.amdhsa_dx10_clamp 1
		.amdhsa_ieee_mode 1
		.amdhsa_fp16_overflow 0
		.amdhsa_workgroup_processor_mode 1
		.amdhsa_memory_ordered 1
		.amdhsa_forward_progress 0
		.amdhsa_shared_vgpr_count 0
		.amdhsa_exception_fp_ieee_invalid_op 0
		.amdhsa_exception_fp_denorm_src 0
		.amdhsa_exception_fp_ieee_div_zero 0
		.amdhsa_exception_fp_ieee_overflow 0
		.amdhsa_exception_fp_ieee_underflow 0
		.amdhsa_exception_fp_ieee_inexact 0
		.amdhsa_exception_int_div_zero 0
	.end_amdhsa_kernel
	.section	.text._ZN2at4cuda12_GLOBAL__N_121kernelPointwiseApply2IZNS_6native9templates4cuda28bernoulli_tensor_cuda_kernelIifEEvRKNS_10TensorBaseES9_NS_15PhiloxCudaStateEEUliRiSB_SB_SB_RKfSD_SD_SD_E_iSC_jLi1ELi1ELi4ELi512ELi2EEEvNS0_6detail10TensorInfoIT0_T2_EENSG_IT1_SI_EESI_T_,"axG",@progbits,_ZN2at4cuda12_GLOBAL__N_121kernelPointwiseApply2IZNS_6native9templates4cuda28bernoulli_tensor_cuda_kernelIifEEvRKNS_10TensorBaseES9_NS_15PhiloxCudaStateEEUliRiSB_SB_SB_RKfSD_SD_SD_E_iSC_jLi1ELi1ELi4ELi512ELi2EEEvNS0_6detail10TensorInfoIT0_T2_EENSG_IT1_SI_EESI_T_,comdat
.Lfunc_end33:
	.size	_ZN2at4cuda12_GLOBAL__N_121kernelPointwiseApply2IZNS_6native9templates4cuda28bernoulli_tensor_cuda_kernelIifEEvRKNS_10TensorBaseES9_NS_15PhiloxCudaStateEEUliRiSB_SB_SB_RKfSD_SD_SD_E_iSC_jLi1ELi1ELi4ELi512ELi2EEEvNS0_6detail10TensorInfoIT0_T2_EENSG_IT1_SI_EESI_T_, .Lfunc_end33-_ZN2at4cuda12_GLOBAL__N_121kernelPointwiseApply2IZNS_6native9templates4cuda28bernoulli_tensor_cuda_kernelIifEEvRKNS_10TensorBaseES9_NS_15PhiloxCudaStateEEUliRiSB_SB_SB_RKfSD_SD_SD_E_iSC_jLi1ELi1ELi4ELi512ELi2EEEvNS0_6detail10TensorInfoIT0_T2_EENSG_IT1_SI_EESI_T_
                                        ; -- End function
	.section	.AMDGPU.csdata,"",@progbits
; Kernel info:
; codeLenInByte = 3232
; NumSgprs: 40
; NumVgprs: 44
; ScratchSize: 0
; MemoryBound: 0
; FloatMode: 240
; IeeeMode: 1
; LDSByteSize: 0 bytes/workgroup (compile time only)
; SGPRBlocks: 4
; VGPRBlocks: 5
; NumSGPRsForWavesPerEU: 40
; NumVGPRsForWavesPerEU: 44
; Occupancy: 16
; WaveLimiterHint : 1
; COMPUTE_PGM_RSRC2:SCRATCH_EN: 0
; COMPUTE_PGM_RSRC2:USER_SGPR: 15
; COMPUTE_PGM_RSRC2:TRAP_HANDLER: 0
; COMPUTE_PGM_RSRC2:TGID_X_EN: 1
; COMPUTE_PGM_RSRC2:TGID_Y_EN: 0
; COMPUTE_PGM_RSRC2:TGID_Z_EN: 0
; COMPUTE_PGM_RSRC2:TIDIG_COMP_CNT: 0
	.section	.text._ZN2at4cuda12_GLOBAL__N_121kernelPointwiseApply2IZNS_6native9templates4cuda28bernoulli_tensor_cuda_kernelIifEEvRKNS_10TensorBaseES9_NS_15PhiloxCudaStateEEUliRiSB_SB_SB_RKfSD_SD_SD_E_iSC_jLi1ELi2ELi4ELi512ELi2EEEvNS0_6detail10TensorInfoIT0_T2_EENSG_IT1_SI_EESI_T_,"axG",@progbits,_ZN2at4cuda12_GLOBAL__N_121kernelPointwiseApply2IZNS_6native9templates4cuda28bernoulli_tensor_cuda_kernelIifEEvRKNS_10TensorBaseES9_NS_15PhiloxCudaStateEEUliRiSB_SB_SB_RKfSD_SD_SD_E_iSC_jLi1ELi2ELi4ELi512ELi2EEEvNS0_6detail10TensorInfoIT0_T2_EENSG_IT1_SI_EESI_T_,comdat
	.globl	_ZN2at4cuda12_GLOBAL__N_121kernelPointwiseApply2IZNS_6native9templates4cuda28bernoulli_tensor_cuda_kernelIifEEvRKNS_10TensorBaseES9_NS_15PhiloxCudaStateEEUliRiSB_SB_SB_RKfSD_SD_SD_E_iSC_jLi1ELi2ELi4ELi512ELi2EEEvNS0_6detail10TensorInfoIT0_T2_EENSG_IT1_SI_EESI_T_ ; -- Begin function _ZN2at4cuda12_GLOBAL__N_121kernelPointwiseApply2IZNS_6native9templates4cuda28bernoulli_tensor_cuda_kernelIifEEvRKNS_10TensorBaseES9_NS_15PhiloxCudaStateEEUliRiSB_SB_SB_RKfSD_SD_SD_E_iSC_jLi1ELi2ELi4ELi512ELi2EEEvNS0_6detail10TensorInfoIT0_T2_EENSG_IT1_SI_EESI_T_
	.p2align	8
	.type	_ZN2at4cuda12_GLOBAL__N_121kernelPointwiseApply2IZNS_6native9templates4cuda28bernoulli_tensor_cuda_kernelIifEEvRKNS_10TensorBaseES9_NS_15PhiloxCudaStateEEUliRiSB_SB_SB_RKfSD_SD_SD_E_iSC_jLi1ELi2ELi4ELi512ELi2EEEvNS0_6detail10TensorInfoIT0_T2_EENSG_IT1_SI_EESI_T_,@function
_ZN2at4cuda12_GLOBAL__N_121kernelPointwiseApply2IZNS_6native9templates4cuda28bernoulli_tensor_cuda_kernelIifEEvRKNS_10TensorBaseES9_NS_15PhiloxCudaStateEEUliRiSB_SB_SB_RKfSD_SD_SD_E_iSC_jLi1ELi2ELi4ELi512ELi2EEEvNS0_6detail10TensorInfoIT0_T2_EENSG_IT1_SI_EESI_T_: ; @_ZN2at4cuda12_GLOBAL__N_121kernelPointwiseApply2IZNS_6native9templates4cuda28bernoulli_tensor_cuda_kernelIifEEvRKNS_10TensorBaseES9_NS_15PhiloxCudaStateEEUliRiSB_SB_SB_RKfSD_SD_SD_E_iSC_jLi1ELi2ELi4ELi512ELi2EEEvNS0_6detail10TensorInfoIT0_T2_EENSG_IT1_SI_EESI_T_
; %bb.0:
	s_clause 0x1
	s_load_b32 s4, s[0:1], 0x1e4
	s_load_b32 s16, s[0:1], 0x1b0
	s_add_u32 s2, s0, 0x1d8
	s_addc_u32 s3, s1, 0
	s_waitcnt lgkmcnt(0)
	s_and_b32 s20, s4, 0xffff
	s_mov_b32 s4, exec_lo
	v_mad_u64_u32 v[1:2], null, s15, s20, v[0:1]
	s_delay_alu instid0(VALU_DEP_1) | instskip(NEXT) | instid1(VALU_DEP_1)
	v_lshlrev_b32_e32 v0, 2, v1
	v_cmpx_gt_u32_e64 s16, v0
	s_cbranch_execz .LBB34_59
; %bb.1:
	s_clause 0x3
	s_load_b32 s17, s[0:1], 0xe4
	s_load_b32 s4, s[0:1], 0x1d0
	;; [unrolled: 1-line block ×3, first 2 shown]
	s_load_b64 s[8:9], s[0:1], 0x0
	s_load_b32 s2, s[2:3], 0x0
	s_clause 0x1
	s_load_b64 s[10:11], s[0:1], 0xd8
	s_load_b64 s[12:13], s[0:1], 0x1c8
	v_add_nc_u32_e32 v8, 3, v0
	v_sub_nc_u32_e32 v25, s16, v0
	s_mov_b32 s22, 0
	s_mov_b32 s25, 0
                                        ; implicit-def: $sgpr24
                                        ; implicit-def: $sgpr27
                                        ; implicit-def: $sgpr26
                                        ; implicit-def: $sgpr28
                                        ; implicit-def: $sgpr30
                                        ; implicit-def: $sgpr29
                                        ; implicit-def: $sgpr31
	v_add_nc_u32_e32 v7, 2, v0
	s_waitcnt lgkmcnt(0)
	v_cvt_f32_u32_e32 v2, s17
	s_bitcmp1_b32 s4, 0
	s_clause 0x1
	s_load_b64 s[14:15], s[0:1], 0x144
	s_load_b128 s[4:7], s[0:1], 0x1b8
	s_cselect_b32 s18, -1, 0
	s_sub_i32 s19, 0, s17
	v_rcp_iflag_f32_e32 v2, v2
	v_mul_lo_u32 v24, v0, s23
	v_mul_lo_u32 v28, s23, v8
	s_mul_i32 s2, s2, s20
	v_mov_b32_e32 v4, 0
	s_lshl_b32 s21, s2, 2
                                        ; implicit-def: $sgpr20
	v_mul_lo_u32 v27, s23, v7
	s_waitcnt_depctr 0xfff
	v_dual_mul_f32 v2, 0x4f7ffffe, v2 :: v_dual_add_nc_u32 v29, s23, v24
	s_mul_i32 s23, s21, s23
	s_delay_alu instid0(VALU_DEP_1) | instskip(SKIP_1) | instid1(VALU_DEP_2)
	v_cvt_u32_f32_e32 v5, v2
	v_mad_u64_u32 v[2:3], null, 0xcd9e8d57, v1, 0
	v_mul_lo_u32 v6, s19, v5
	s_delay_alu instid0(VALU_DEP_2) | instskip(NEXT) | instid1(VALU_DEP_2)
	v_mov_b32_e32 v26, v3
	v_mul_hi_u32 v6, v5, v6
	s_delay_alu instid0(VALU_DEP_1)
	v_add_nc_u32_e32 v30, v5, v6
	s_branch .LBB34_3
.LBB34_2:                               ;   in Loop: Header=BB34_3 Depth=1
	s_or_b32 exec_lo, exec_lo, s1
	s_delay_alu instid0(SALU_CYCLE_1) | instskip(NEXT) | instid1(SALU_CYCLE_1)
	s_and_b32 s0, exec_lo, s0
	s_or_b32 s22, s0, s22
	s_and_not1_b32 s0, s20, exec_lo
	s_and_b32 s1, s31, exec_lo
	s_and_not1_b32 s2, s26, exec_lo
	s_and_b32 s3, s29, exec_lo
	s_or_b32 s20, s0, s1
	s_or_b32 s26, s2, s3
	s_and_not1_b32 s0, s27, exec_lo
	s_and_b32 s1, s30, exec_lo
	s_and_not1_b32 s2, s24, exec_lo
	s_and_b32 s3, s28, exec_lo
	s_or_b32 s27, s0, s1
	s_or_b32 s24, s2, s3
	s_and_not1_b32 exec_lo, exec_lo, s22
	s_cbranch_execz .LBB34_47
.LBB34_3:                               ; =>This Inner Loop Header: Depth=1
	v_mov_b32_e32 v7, 0
	v_mov_b32_e32 v8, 0
	v_cmp_lt_i32_e64 s0, 0, v25
	s_delay_alu instid0(VALU_DEP_2) | instskip(NEXT) | instid1(VALU_DEP_2)
	v_dual_mov_b32 v10, v8 :: v_dual_mov_b32 v9, v7
	s_and_saveexec_b32 s1, s0
	s_cbranch_execz .LBB34_5
; %bb.4:                                ;   in Loop: Header=BB34_3 Depth=1
	v_mul_hi_u32 v3, v30, v0
	s_delay_alu instid0(VALU_DEP_1) | instskip(SKIP_1) | instid1(VALU_DEP_2)
	v_not_b32_e32 v11, v3
	v_mad_u64_u32 v[5:6], null, s19, v3, v[0:1]
	v_mad_u64_u32 v[9:10], null, s17, v11, v[0:1]
	s_delay_alu instid0(VALU_DEP_2) | instskip(NEXT) | instid1(VALU_DEP_2)
	v_cmp_le_u32_e32 vcc_lo, s17, v5
	v_dual_cndmask_b32 v5, v5, v9 :: v_dual_add_nc_u32 v6, 1, v3
	s_delay_alu instid0(VALU_DEP_1) | instskip(NEXT) | instid1(VALU_DEP_2)
	v_cndmask_b32_e32 v3, v3, v6, vcc_lo
	v_cmp_le_u32_e32 vcc_lo, s17, v5
	s_delay_alu instid0(VALU_DEP_2) | instskip(NEXT) | instid1(VALU_DEP_1)
	v_add_nc_u32_e32 v6, 1, v3
	v_cndmask_b32_e32 v11, v3, v6, vcc_lo
	s_delay_alu instid0(VALU_DEP_1) | instskip(SKIP_1) | instid1(VALU_DEP_1)
	v_mad_u64_u32 v[5:6], null, s19, v11, v[0:1]
	s_waitcnt lgkmcnt(0)
	v_mul_lo_u32 v3, v5, s15
	s_delay_alu instid0(VALU_DEP_1)
	v_mad_u64_u32 v[9:10], null, v11, s14, v[3:4]
	v_mov_b32_e32 v10, v4
.LBB34_5:                               ;   in Loop: Header=BB34_3 Depth=1
	s_or_b32 exec_lo, exec_lo, s1
	v_cmp_lt_i32_e64 s1, 1, v25
	s_delay_alu instid0(VALU_DEP_1)
	s_and_saveexec_b32 s2, s1
	s_cbranch_execz .LBB34_7
; %bb.6:                                ;   in Loop: Header=BB34_3 Depth=1
	v_add_nc_u32_e32 v3, 1, v0
	s_delay_alu instid0(VALU_DEP_1) | instskip(NEXT) | instid1(VALU_DEP_1)
	v_mul_hi_u32 v5, v3, v30
	v_mul_lo_u32 v6, v5, s17
	s_delay_alu instid0(VALU_DEP_1) | instskip(NEXT) | instid1(VALU_DEP_1)
	v_sub_nc_u32_e32 v6, v3, v6
	v_subrev_nc_u32_e32 v8, s17, v6
	v_cmp_le_u32_e32 vcc_lo, s17, v6
	s_delay_alu instid0(VALU_DEP_2) | instskip(NEXT) | instid1(VALU_DEP_1)
	v_dual_cndmask_b32 v6, v6, v8 :: v_dual_add_nc_u32 v7, 1, v5
	v_cndmask_b32_e32 v5, v5, v7, vcc_lo
	s_delay_alu instid0(VALU_DEP_2) | instskip(NEXT) | instid1(VALU_DEP_2)
	v_cmp_le_u32_e32 vcc_lo, s17, v6
	v_add_nc_u32_e32 v7, 1, v5
	s_delay_alu instid0(VALU_DEP_1) | instskip(NEXT) | instid1(VALU_DEP_1)
	v_cndmask_b32_e32 v5, v5, v7, vcc_lo
	v_mul_lo_u32 v6, v5, s17
	s_delay_alu instid0(VALU_DEP_1) | instskip(SKIP_1) | instid1(VALU_DEP_1)
	v_sub_nc_u32_e32 v3, v3, v6
	s_waitcnt lgkmcnt(0)
	v_mul_lo_u32 v3, v3, s15
	s_delay_alu instid0(VALU_DEP_1)
	v_mad_u64_u32 v[7:8], null, v5, s14, v[3:4]
	v_mov_b32_e32 v8, v4
.LBB34_7:                               ;   in Loop: Header=BB34_3 Depth=1
	s_or_b32 exec_lo, exec_lo, s2
	v_mov_b32_e32 v5, 0
	v_mov_b32_e32 v6, 0
	v_cmp_lt_i32_e64 s2, 2, v25
	s_delay_alu instid0(VALU_DEP_2) | instskip(NEXT) | instid1(VALU_DEP_2)
	v_dual_mov_b32 v12, v6 :: v_dual_mov_b32 v11, v5
	s_and_saveexec_b32 s3, s2
	s_cbranch_execz .LBB34_9
; %bb.8:                                ;   in Loop: Header=BB34_3 Depth=1
	v_add_nc_u32_e32 v3, 2, v0
	s_delay_alu instid0(VALU_DEP_1) | instskip(NEXT) | instid1(VALU_DEP_1)
	v_mul_hi_u32 v11, v3, v30
	v_mul_lo_u32 v12, v11, s17
	v_add_nc_u32_e32 v13, 1, v11
	s_delay_alu instid0(VALU_DEP_2) | instskip(NEXT) | instid1(VALU_DEP_1)
	v_sub_nc_u32_e32 v12, v3, v12
	v_subrev_nc_u32_e32 v14, s17, v12
	v_cmp_le_u32_e32 vcc_lo, s17, v12
	s_delay_alu instid0(VALU_DEP_2) | instskip(NEXT) | instid1(VALU_DEP_1)
	v_dual_cndmask_b32 v11, v11, v13 :: v_dual_cndmask_b32 v12, v12, v14
	v_add_nc_u32_e32 v13, 1, v11
	s_delay_alu instid0(VALU_DEP_2) | instskip(NEXT) | instid1(VALU_DEP_2)
	v_cmp_le_u32_e32 vcc_lo, s17, v12
	v_cndmask_b32_e32 v13, v11, v13, vcc_lo
	s_delay_alu instid0(VALU_DEP_1) | instskip(NEXT) | instid1(VALU_DEP_1)
	v_mul_lo_u32 v11, v13, s17
	v_sub_nc_u32_e32 v3, v3, v11
	s_waitcnt lgkmcnt(0)
	s_delay_alu instid0(VALU_DEP_1) | instskip(NEXT) | instid1(VALU_DEP_1)
	v_mul_lo_u32 v3, v3, s15
	v_mad_u64_u32 v[11:12], null, v13, s14, v[3:4]
	v_mov_b32_e32 v12, v4
.LBB34_9:                               ;   in Loop: Header=BB34_3 Depth=1
	s_or_b32 exec_lo, exec_lo, s3
	v_dual_mov_b32 v14, v6 :: v_dual_mov_b32 v13, v5
	s_mov_b32 s3, exec_lo
	v_cmpx_lt_i32_e32 3, v25
	s_cbranch_execz .LBB34_11
; %bb.10:                               ;   in Loop: Header=BB34_3 Depth=1
	v_add_nc_u32_e32 v3, 3, v0
	s_delay_alu instid0(VALU_DEP_1) | instskip(NEXT) | instid1(VALU_DEP_1)
	v_mul_hi_u32 v5, v3, v30
	v_mul_lo_u32 v6, v5, s17
	v_add_nc_u32_e32 v13, 1, v5
	s_delay_alu instid0(VALU_DEP_2) | instskip(NEXT) | instid1(VALU_DEP_1)
	v_sub_nc_u32_e32 v6, v3, v6
	v_subrev_nc_u32_e32 v14, s17, v6
	v_cmp_le_u32_e32 vcc_lo, s17, v6
	s_delay_alu instid0(VALU_DEP_2) | instskip(NEXT) | instid1(VALU_DEP_1)
	v_dual_cndmask_b32 v5, v5, v13 :: v_dual_cndmask_b32 v6, v6, v14
	v_add_nc_u32_e32 v13, 1, v5
	s_delay_alu instid0(VALU_DEP_2) | instskip(NEXT) | instid1(VALU_DEP_2)
	v_cmp_le_u32_e32 vcc_lo, s17, v6
	v_cndmask_b32_e32 v6, v5, v13, vcc_lo
	s_delay_alu instid0(VALU_DEP_1) | instskip(NEXT) | instid1(VALU_DEP_1)
	v_mul_lo_u32 v5, v6, s17
	v_sub_nc_u32_e32 v3, v3, v5
	s_waitcnt lgkmcnt(0)
	s_delay_alu instid0(VALU_DEP_1) | instskip(SKIP_1) | instid1(VALU_DEP_2)
	v_mul_lo_u32 v5, v3, s15
	v_add_nc_u32_e32 v3, s25, v28
	v_mad_u64_u32 v[13:14], null, v6, s14, v[5:6]
	v_mov_b32_e32 v6, v4
	s_delay_alu instid0(VALU_DEP_3)
	v_dual_mov_b32 v14, v4 :: v_dual_mov_b32 v5, v3
.LBB34_11:                              ;   in Loop: Header=BB34_3 Depth=1
	s_or_b32 exec_lo, exec_lo, s3
	v_lshlrev_b64 v[9:10], 2, v[9:10]
	v_lshlrev_b64 v[7:8], 2, v[7:8]
	;; [unrolled: 1-line block ×4, first 2 shown]
	s_delay_alu instid0(VALU_DEP_4)
	v_add_co_u32 v9, vcc_lo, s10, v9
	v_add_co_ci_u32_e32 v10, vcc_lo, s11, v10, vcc_lo
	v_add_co_u32 v7, vcc_lo, s10, v7
	v_add_co_ci_u32_e32 v8, vcc_lo, s11, v8, vcc_lo
	v_add_co_u32 v11, vcc_lo, s10, v11
	v_add_co_ci_u32_e32 v12, vcc_lo, s11, v12, vcc_lo
	v_add_co_u32 v13, vcc_lo, s10, v13
	v_add_co_ci_u32_e32 v14, vcc_lo, s11, v14, vcc_lo
	s_clause 0x3
	global_load_b32 v31, v[9:10], off
	global_load_b32 v32, v[7:8], off
	;; [unrolled: 1-line block ×4, first 2 shown]
	s_waitcnt lgkmcnt(0)
	v_dual_mov_b32 v12, s7 :: v_dual_mov_b32 v11, s6
	v_dual_mov_b32 v14, s5 :: v_dual_mov_b32 v13, s4
	s_and_not1_b32 vcc_lo, exec_lo, s18
	s_cbranch_vccnz .LBB34_13
; %bb.12:                               ;   in Loop: Header=BB34_3 Depth=1
	v_dual_mov_b32 v8, s7 :: v_dual_mov_b32 v7, s6
	v_dual_mov_b32 v10, s5 :: v_dual_mov_b32 v9, s4
	flat_load_b64 v[7:8], v[7:8]
	flat_load_b64 v[13:14], v[9:10]
	s_waitcnt vmcnt(1) lgkmcnt(1)
	v_add_co_u32 v11, vcc_lo, v7, s12
	v_add_co_ci_u32_e32 v12, vcc_lo, s13, v8, vcc_lo
.LBB34_13:                              ;   in Loop: Header=BB34_3 Depth=1
	s_delay_alu instid0(VALU_DEP_1)
	v_alignbit_b32 v10, v12, v11, 2
	v_lshrrev_b32_e32 v9, 2, v12
	s_waitcnt vmcnt(0) lgkmcnt(0)
	v_add_nc_u32_e32 v35, 0xbb67ae85, v14
	v_add_nc_u32_e32 v36, 0x76cf5d0a, v14
	v_add_nc_u32_e32 v37, 0xdaa66d2b, v13
	v_add_co_u32 v12, vcc_lo, v10, 1
	s_delay_alu instid0(VALU_DEP_1) | instskip(SKIP_4) | instid1(VALU_DEP_4)
	v_cndmask_b32_e64 v7, 0, 1, vcc_lo
	v_add_co_ci_u32_e32 v21, vcc_lo, 0, v9, vcc_lo
	v_xor3_b32 v17, v26, v13, v9
	v_add_nc_u32_e32 v38, 0x32370b8f, v14
	v_add_nc_u32_e32 v39, 0xed9eba14, v14
	v_cmp_eq_u32_e32 vcc_lo, 0, v21
	v_add_nc_u32_e32 v40, 0x1715609d, v13
	v_add_nc_u32_e32 v41, 0xa9066899, v14
	s_mov_b32 s3, exec_lo
	v_dual_cndmask_b32 v15, 0, v7 :: v_dual_add_nc_u32 v34, 0x9e3779b9, v13
	v_mad_u64_u32 v[7:8], null, 0xd2511f53, v12, 0
	s_delay_alu instid0(VALU_DEP_2) | instskip(NEXT) | instid1(VALU_DEP_2)
	v_add_nc_u32_e32 v12, v15, v1
	v_xor_b32_e32 v16, v8, v14
	s_delay_alu instid0(VALU_DEP_2) | instskip(SKIP_2) | instid1(VALU_DEP_1)
	v_cmp_eq_u32_e32 vcc_lo, 0, v12
	v_mad_u64_u32 v[8:9], null, 0xd2511f53, v10, 0
	v_cndmask_b32_e32 v15, 0, v15, vcc_lo
	v_xor_b32_e32 v10, v15, v16
	v_mad_u64_u32 v[15:16], null, 0xd2511f53, v17, 0
	v_mad_u64_u32 v[17:18], null, 0xcd9e8d57, v12, 0
	s_delay_alu instid0(VALU_DEP_3) | instskip(SKIP_3) | instid1(VALU_DEP_3)
	v_mad_u64_u32 v[19:20], null, 0xcd9e8d57, v10, 0
	v_xor_b32_e32 v10, v9, v14
	v_add_nc_u32_e32 v12, 0x3c6ef372, v13
	v_xor3_b32 v22, v35, v16, v8
	v_mad_u64_u32 v[8:9], null, 0xcd9e8d57, v10, 0
	v_xor3_b32 v10, v18, v13, v21
	v_xor3_b32 v18, v34, v20, v17
	s_delay_alu instid0(VALU_DEP_4) | instskip(NEXT) | instid1(VALU_DEP_3)
	v_mad_u64_u32 v[16:17], null, 0xcd9e8d57, v22, 0
	v_mad_u64_u32 v[20:21], null, 0xd2511f53, v10, 0
	s_delay_alu instid0(VALU_DEP_3) | instskip(SKIP_1) | instid1(VALU_DEP_4)
	v_mad_u64_u32 v[22:23], null, 0xd2511f53, v18, 0
	v_xor3_b32 v10, v2, v9, v34
	v_xor3_b32 v34, v12, v17, v8
	s_delay_alu instid0(VALU_DEP_4) | instskip(NEXT) | instid1(VALU_DEP_3)
	v_xor3_b32 v7, v35, v21, v7
	v_mad_u64_u32 v[8:9], null, 0xd2511f53, v10, 0
	v_xor3_b32 v10, v36, v23, v20
	s_delay_alu instid0(VALU_DEP_4) | instskip(NEXT) | instid1(VALU_DEP_4)
	v_mad_u64_u32 v[17:18], null, 0xd2511f53, v34, 0
	v_mad_u64_u32 v[20:21], null, 0xcd9e8d57, v7, 0
	s_delay_alu instid0(VALU_DEP_3) | instskip(SKIP_4) | instid1(VALU_DEP_4)
	v_mad_u64_u32 v[34:35], null, 0xcd9e8d57, v10, 0
	v_xor3_b32 v9, v36, v9, v15
	v_add_nc_u32_e32 v23, 0x78dde6e4, v13
	v_xor3_b32 v15, v38, v18, v8
	v_xor3_b32 v12, v12, v21, v19
	v_mad_u64_u32 v[7:8], null, 0xcd9e8d57, v9, 0
	v_xor3_b32 v35, v37, v35, v20
	s_delay_alu instid0(VALU_DEP_4) | instskip(NEXT) | instid1(VALU_DEP_4)
	v_mad_u64_u32 v[9:10], null, 0xcd9e8d57, v15, 0
	v_mad_u64_u32 v[18:19], null, 0xd2511f53, v12, 0
	s_delay_alu instid0(VALU_DEP_3) | instskip(SKIP_1) | instid1(VALU_DEP_4)
	v_mad_u64_u32 v[20:21], null, 0xd2511f53, v35, 0
	v_xor3_b32 v12, v37, v8, v16
	v_xor3_b32 v10, v23, v10, v7
	s_delay_alu instid0(VALU_DEP_2) | instskip(SKIP_2) | instid1(VALU_DEP_4)
	v_mad_u64_u32 v[7:8], null, 0xd2511f53, v12, 0
	v_xor3_b32 v12, v38, v19, v22
	v_xor3_b32 v18, v39, v21, v18
	v_mad_u64_u32 v[21:22], null, 0xd2511f53, v10, 0
	s_delay_alu instid0(VALU_DEP_3) | instskip(NEXT) | instid1(VALU_DEP_3)
	v_mad_u64_u32 v[15:16], null, 0xcd9e8d57, v12, 0
	v_mad_u64_u32 v[35:36], null, 0xcd9e8d57, v18, 0
	v_xor3_b32 v10, v39, v8, v17
	s_delay_alu instid0(VALU_DEP_4) | instskip(SKIP_2) | instid1(VALU_DEP_4)
	v_xor3_b32 v18, v41, v22, v7
	v_add_nc_u32_e32 v12, 0xb54cda56, v13
	v_add_nc_u32_e32 v17, 0x646e171e, v14
	v_mad_u64_u32 v[7:8], null, 0xcd9e8d57, v10, 0
	v_xor3_b32 v10, v23, v16, v34
	v_xor3_b32 v19, v40, v36, v15
	v_mad_u64_u32 v[36:37], null, 0xcd9e8d57, v18, 0
	v_add_nc_u32_e32 v23, 0x5384540f, v13
	s_delay_alu instid0(VALU_DEP_4) | instskip(NEXT) | instid1(VALU_DEP_4)
	v_mad_u64_u32 v[15:16], null, 0xd2511f53, v10, 0
	v_mad_u64_u32 v[38:39], null, 0xd2511f53, v19, 0
	v_xor3_b32 v9, v40, v8, v9
	v_xor3_b32 v10, v12, v37, v7
	v_add_nc_u32_e32 v40, 0x1fd5c5a3, v14
	v_add_co_u32 v34, null, 0xf1bbcdc8, v13
	v_xor3_b32 v18, v41, v16, v20
	v_xor3_b32 v20, v17, v39, v15
	v_mad_u64_u32 v[7:8], null, 0xd2511f53, v9, 0
	v_mad_u64_u32 v[15:16], null, 0xd2511f53, v10, 0
	s_delay_alu instid0(VALU_DEP_4) | instskip(NEXT) | instid1(VALU_DEP_4)
	v_mad_u64_u32 v[9:10], null, 0xcd9e8d57, v18, 0
	v_mad_u64_u32 v[18:19], null, 0xcd9e8d57, v20, 0
	s_delay_alu instid0(VALU_DEP_4) | instskip(NEXT) | instid1(VALU_DEP_4)
	v_xor3_b32 v17, v17, v8, v21
	v_xor3_b32 v20, v40, v16, v7
	s_delay_alu instid0(VALU_DEP_4) | instskip(NEXT) | instid1(VALU_DEP_3)
	v_xor3_b32 v12, v12, v10, v35
	v_mad_u64_u32 v[7:8], null, 0xcd9e8d57, v17, 0
	v_xor3_b32 v19, v23, v19, v9
	s_delay_alu instid0(VALU_DEP_4) | instskip(NEXT) | instid1(VALU_DEP_4)
	v_mad_u64_u32 v[16:17], null, 0xcd9e8d57, v20, 0
	v_mad_u64_u32 v[9:10], null, 0xd2511f53, v12, 0
	s_delay_alu instid0(VALU_DEP_3)
	v_mad_u64_u32 v[21:22], null, 0xd2511f53, v19, 0
	v_add_nc_u32_e32 v35, 0xdb3d7428, v14
	v_xor3_b32 v8, v23, v8, v36
	v_xor3_b32 v12, v34, v17, v7
	v_add_nc_u32_e32 v36, 0x96a522ad, v14
	v_xor3_b32 v10, v40, v10, v38
	v_and_b32_e32 v14, 3, v11
	v_xor3_b32 v17, v35, v22, v9
	v_mad_u64_u32 v[19:20], null, 0xd2511f53, v8, 0
	v_mad_u64_u32 v[7:8], null, 0xd2511f53, v12, 0
	;; [unrolled: 1-line block ×3, first 2 shown]
	s_delay_alu instid0(VALU_DEP_4) | instskip(SKIP_1) | instid1(VALU_DEP_4)
	v_mad_u64_u32 v[9:10], null, 0xcd9e8d57, v17, 0
	v_add_nc_u32_e32 v17, 0x8ff34781, v13
                                        ; implicit-def: $vgpr12
	v_xor3_b32 v13, v8, v19, v36
	s_delay_alu instid0(VALU_DEP_2)
	v_xor3_b32 v8, v10, v22, v17
	v_cmpx_lt_i32_e32 1, v14
	s_xor_b32 s3, exec_lo, s3
	s_cbranch_execz .LBB34_19
; %bb.14:                               ;   in Loop: Header=BB34_3 Depth=1
	s_mov_b32 s33, exec_lo
                                        ; implicit-def: $vgpr12
	v_cmpx_lt_i32_e32 2, v14
	s_xor_b32 s33, exec_lo, s33
; %bb.15:                               ;   in Loop: Header=BB34_3 Depth=1
	v_xor3_b32 v10, v34, v23, v18
                                        ; implicit-def: $vgpr13
	s_delay_alu instid0(VALU_DEP_1) | instskip(NEXT) | instid1(VALU_DEP_1)
	v_mul_hi_u32 v10, 0xd2511f53, v10
	v_xor3_b32 v12, v10, v21, v36
; %bb.16:                               ;   in Loop: Header=BB34_3 Depth=1
	s_and_not1_saveexec_b32 s33, s33
; %bb.17:                               ;   in Loop: Header=BB34_3 Depth=1
	v_dual_mov_b32 v12, v9 :: v_dual_mov_b32 v9, v8
	v_dual_mov_b32 v8, v7 :: v_dual_mov_b32 v7, v13
; %bb.18:                               ;   in Loop: Header=BB34_3 Depth=1
	s_or_b32 exec_lo, exec_lo, s33
                                        ; implicit-def: $vgpr15_vgpr16
                                        ; implicit-def: $vgpr14
                                        ; implicit-def: $vgpr13
                                        ; implicit-def: $vgpr35
                                        ; implicit-def: $vgpr19_vgpr20
                                        ; implicit-def: $vgpr16_vgpr17
                                        ; implicit-def: $vgpr17
.LBB34_19:                              ;   in Loop: Header=BB34_3 Depth=1
	s_and_not1_saveexec_b32 s3, s3
	s_cbranch_execz .LBB34_23
; %bb.20:                               ;   in Loop: Header=BB34_3 Depth=1
	v_xor3_b32 v9, v35, v20, v15
	v_cmp_eq_u32_e32 vcc_lo, 1, v14
	v_mov_b32_e32 v12, v7
	s_delay_alu instid0(VALU_DEP_3) | instskip(SKIP_1) | instid1(VALU_DEP_2)
	v_mad_u64_u32 v[10:11], null, 0xcd9e8d57, v9, 0
	v_mov_b32_e32 v9, v13
	v_xor3_b32 v14, v11, v16, v17
	s_delay_alu instid0(VALU_DEP_3)
	v_mov_b32_e32 v11, v10
	s_and_saveexec_b32 s33, vcc_lo
; %bb.21:                               ;   in Loop: Header=BB34_3 Depth=1
	v_dual_mov_b32 v12, v8 :: v_dual_mov_b32 v9, v7
	v_dual_mov_b32 v11, v13 :: v_dual_mov_b32 v14, v10
; %bb.22:                               ;   in Loop: Header=BB34_3 Depth=1
	s_or_b32 exec_lo, exec_lo, s33
	s_delay_alu instid0(VALU_DEP_1)
	v_dual_mov_b32 v7, v14 :: v_dual_mov_b32 v8, v11
.LBB34_23:                              ;   in Loop: Header=BB34_3 Depth=1
	s_or_b32 exec_lo, exec_lo, s3
	v_min_i32_e32 v10, 4, v25
	s_mov_b32 s33, 0
	s_mov_b32 s38, 0
	s_mov_b32 s36, exec_lo
                                        ; implicit-def: $sgpr3
                                        ; implicit-def: $sgpr34
                                        ; implicit-def: $sgpr35
	s_delay_alu instid0(VALU_DEP_1)
	v_cmpx_lt_i32_e32 2, v10
	s_xor_b32 s36, exec_lo, s36
	s_cbranch_execz .LBB34_33
; %bb.24:                               ;   in Loop: Header=BB34_3 Depth=1
	s_mov_b32 s3, -1
	s_mov_b32 s35, exec_lo
                                        ; implicit-def: $sgpr34
                                        ; implicit-def: $sgpr37
	v_cmpx_lt_i32_e32 3, v10
	s_cbranch_execz .LBB34_28
; %bb.25:                               ;   in Loop: Header=BB34_3 Depth=1
	v_cmp_le_f32_e32 vcc_lo, 0, v3
	v_cmp_ge_f32_e64 s3, 1.0, v3
	s_mov_b32 s34, 0
	s_delay_alu instid0(VALU_DEP_1)
	s_and_b32 s38, vcc_lo, s3
	s_mov_b32 s3, 0
	s_and_saveexec_b32 s37, s38
	s_cbranch_execz .LBB34_27
; %bb.26:                               ;   in Loop: Header=BB34_3 Depth=1
	v_cvt_f32_u32_e32 v11, v12
	v_lshlrev_b64 v[5:6], 2, v[5:6]
	s_mov_b32 s3, exec_lo
	s_delay_alu instid0(VALU_DEP_2) | instskip(NEXT) | instid1(VALU_DEP_2)
	v_fmaak_f32 v11, 0x2f800000, v11, 0x2f800000
	v_add_co_u32 v5, vcc_lo, s8, v5
	s_delay_alu instid0(VALU_DEP_3) | instskip(NEXT) | instid1(VALU_DEP_3)
	v_add_co_ci_u32_e32 v6, vcc_lo, s9, v6, vcc_lo
	v_cmp_le_f32_e32 vcc_lo, v11, v3
	v_cndmask_b32_e64 v3, 0, 1, vcc_lo
	global_store_b32 v[5:6], v3, off
.LBB34_27:                              ;   in Loop: Header=BB34_3 Depth=1
	s_or_b32 exec_lo, exec_lo, s37
	s_mov_b32 s37, -1
	s_or_not1_b32 s3, s3, exec_lo
.LBB34_28:                              ;   in Loop: Header=BB34_3 Depth=1
	s_or_b32 exec_lo, exec_lo, s35
	s_mov_b32 s38, 0
	s_mov_b32 s39, s34
	s_and_saveexec_b32 s35, s3
	s_cbranch_execz .LBB34_32
; %bb.29:                               ;   in Loop: Header=BB34_3 Depth=1
	v_cmp_le_f32_e32 vcc_lo, 0, v33
	v_cmp_ge_f32_e64 s3, 1.0, v33
	s_delay_alu instid0(VALU_DEP_1) | instskip(SKIP_2) | instid1(SALU_CYCLE_1)
	s_and_b32 s38, vcc_lo, s3
	s_mov_b32 s3, 0
	s_and_saveexec_b32 s39, s38
	s_xor_b32 s38, exec_lo, s39
	s_cbranch_execz .LBB34_31
; %bb.30:                               ;   in Loop: Header=BB34_3 Depth=1
	v_add_nc_u32_e32 v3, s25, v27
	v_cvt_f32_u32_e32 v9, v9
	s_mov_b32 s3, exec_lo
	s_delay_alu instid0(VALU_DEP_2) | instskip(NEXT) | instid1(VALU_DEP_1)
	v_cndmask_b32_e64 v3, 0, v3, s2
	v_lshlrev_b64 v[5:6], 2, v[3:4]
	s_delay_alu instid0(VALU_DEP_3) | instskip(NEXT) | instid1(VALU_DEP_2)
	v_fmaak_f32 v3, 0x2f800000, v9, 0x2f800000
	v_add_co_u32 v5, vcc_lo, s8, v5
	s_delay_alu instid0(VALU_DEP_3) | instskip(NEXT) | instid1(VALU_DEP_3)
	v_add_co_ci_u32_e32 v6, vcc_lo, s9, v6, vcc_lo
	v_cmp_le_f32_e32 vcc_lo, v3, v33
	v_cndmask_b32_e64 v3, 0, 1, vcc_lo
	global_store_b32 v[5:6], v3, off
.LBB34_31:                              ;   in Loop: Header=BB34_3 Depth=1
	s_or_b32 exec_lo, exec_lo, s38
	s_delay_alu instid0(SALU_CYCLE_1)
	s_and_not1_b32 s39, s34, exec_lo
	s_or_b32 s34, s34, exec_lo
	s_and_not1_b32 s37, s37, exec_lo
	s_and_b32 s38, s3, exec_lo
.LBB34_32:                              ;   in Loop: Header=BB34_3 Depth=1
	s_or_b32 exec_lo, exec_lo, s35
	s_delay_alu instid0(SALU_CYCLE_1)
	s_and_b32 s35, s39, exec_lo
	s_and_b32 s34, s34, exec_lo
	;; [unrolled: 1-line block ×4, first 2 shown]
.LBB34_33:                              ;   in Loop: Header=BB34_3 Depth=1
	s_and_not1_saveexec_b32 s2, s36
; %bb.34:                               ;   in Loop: Header=BB34_3 Depth=1
	v_cmp_lt_i32_e32 vcc_lo, 1, v10
	s_and_not1_b32 s36, s38, exec_lo
	s_mov_b32 s33, exec_lo
	s_and_not1_b32 s35, s35, exec_lo
	s_and_not1_b32 s34, s34, exec_lo
	s_and_b32 s37, vcc_lo, exec_lo
	s_and_not1_b32 s3, s3, exec_lo
	s_or_b32 s38, s36, s37
; %bb.35:                               ;   in Loop: Header=BB34_3 Depth=1
	s_or_b32 exec_lo, exec_lo, s2
	s_mov_b32 s36, 0
	s_mov_b32 s37, 0
	;; [unrolled: 1-line block ×3, first 2 shown]
	s_and_saveexec_b32 s39, s38
	s_cbranch_execnz .LBB34_38
; %bb.36:                               ;   in Loop: Header=BB34_3 Depth=1
	s_or_b32 exec_lo, exec_lo, s39
	s_and_saveexec_b32 s1, s33
	s_cbranch_execnz .LBB34_41
.LBB34_37:                              ;   in Loop: Header=BB34_3 Depth=1
	s_or_b32 exec_lo, exec_lo, s1
	s_and_saveexec_b32 s33, s37
	s_cbranch_execnz .LBB34_42
	s_branch .LBB34_45
.LBB34_38:                              ;   in Loop: Header=BB34_3 Depth=1
	v_cmp_le_f32_e32 vcc_lo, 0, v32
	v_cmp_ge_f32_e64 s2, 1.0, v32
	s_delay_alu instid0(VALU_DEP_1) | instskip(NEXT) | instid1(SALU_CYCLE_1)
	s_and_b32 s2, vcc_lo, s2
	s_and_saveexec_b32 s38, s2
	s_delay_alu instid0(SALU_CYCLE_1)
	s_xor_b32 s2, exec_lo, s38
	s_cbranch_execz .LBB34_40
; %bb.39:                               ;   in Loop: Header=BB34_3 Depth=1
	v_add_nc_u32_e32 v3, s25, v29
	v_cvt_f32_u32_e32 v8, v8
	s_mov_b32 s37, exec_lo
	s_delay_alu instid0(VALU_DEP_2) | instskip(NEXT) | instid1(VALU_DEP_1)
	v_cndmask_b32_e64 v3, 0, v3, s1
	v_lshlrev_b64 v[5:6], 2, v[3:4]
	s_delay_alu instid0(VALU_DEP_3) | instskip(NEXT) | instid1(VALU_DEP_2)
	v_fmaak_f32 v3, 0x2f800000, v8, 0x2f800000
	v_add_co_u32 v5, vcc_lo, s8, v5
	s_delay_alu instid0(VALU_DEP_3) | instskip(NEXT) | instid1(VALU_DEP_3)
	v_add_co_ci_u32_e32 v6, vcc_lo, s9, v6, vcc_lo
	v_cmp_le_f32_e32 vcc_lo, v3, v32
	v_cndmask_b32_e64 v3, 0, 1, vcc_lo
	global_store_b32 v[5:6], v3, off
.LBB34_40:                              ;   in Loop: Header=BB34_3 Depth=1
	s_or_b32 exec_lo, exec_lo, s2
	s_delay_alu instid0(SALU_CYCLE_1)
	s_and_not1_b32 s2, s35, exec_lo
	s_or_b32 s35, s35, exec_lo
	s_and_not1_b32 s34, s34, exec_lo
	s_and_not1_b32 s3, s3, exec_lo
	s_and_b32 s37, s37, exec_lo
	s_and_not1_b32 s33, s33, exec_lo
	s_or_b32 exec_lo, exec_lo, s39
	s_and_saveexec_b32 s1, s33
	s_cbranch_execz .LBB34_37
.LBB34_41:                              ;   in Loop: Header=BB34_3 Depth=1
	v_cmp_eq_u32_e32 vcc_lo, 1, v10
	s_and_not1_b32 s33, s37, exec_lo
	s_mov_b32 s36, exec_lo
	s_and_not1_b32 s2, s2, exec_lo
	s_and_not1_b32 s35, s35, exec_lo
	s_and_b32 s37, vcc_lo, exec_lo
	s_and_not1_b32 s34, s34, exec_lo
	s_and_not1_b32 s3, s3, exec_lo
	s_or_b32 s37, s33, s37
	s_or_b32 exec_lo, exec_lo, s1
	s_and_saveexec_b32 s33, s37
	s_cbranch_execz .LBB34_45
.LBB34_42:                              ;   in Loop: Header=BB34_3 Depth=1
	v_cmp_le_f32_e32 vcc_lo, 0, v31
	v_cmp_ge_f32_e64 s1, 1.0, v31
	s_delay_alu instid0(VALU_DEP_1)
	s_and_b32 s38, vcc_lo, s1
	s_mov_b32 s1, 0
	s_and_saveexec_b32 s37, s38
	s_cbranch_execz .LBB34_44
; %bb.43:                               ;   in Loop: Header=BB34_3 Depth=1
	v_add_nc_u32_e32 v3, s25, v24
	v_cvt_f32_u32_e32 v7, v7
	s_mov_b32 s1, exec_lo
	s_delay_alu instid0(VALU_DEP_2) | instskip(NEXT) | instid1(VALU_DEP_1)
	v_cndmask_b32_e64 v3, 0, v3, s0
	v_lshlrev_b64 v[5:6], 2, v[3:4]
	s_delay_alu instid0(VALU_DEP_3) | instskip(NEXT) | instid1(VALU_DEP_2)
	v_fmaak_f32 v3, 0x2f800000, v7, 0x2f800000
	v_add_co_u32 v5, vcc_lo, s8, v5
	s_delay_alu instid0(VALU_DEP_3) | instskip(NEXT) | instid1(VALU_DEP_3)
	v_add_co_ci_u32_e32 v6, vcc_lo, s9, v6, vcc_lo
	v_cmp_le_f32_e32 vcc_lo, v3, v31
	v_cndmask_b32_e64 v3, 0, 1, vcc_lo
	global_store_b32 v[5:6], v3, off
.LBB34_44:                              ;   in Loop: Header=BB34_3 Depth=1
	s_or_b32 exec_lo, exec_lo, s37
	s_delay_alu instid0(SALU_CYCLE_1)
	s_and_not1_b32 s0, s36, exec_lo
	s_and_b32 s1, s1, exec_lo
	s_or_b32 s2, s2, exec_lo
	s_and_not1_b32 s35, s35, exec_lo
	s_and_not1_b32 s34, s34, exec_lo
	;; [unrolled: 1-line block ×3, first 2 shown]
	s_or_b32 s36, s0, s1
.LBB34_45:                              ;   in Loop: Header=BB34_3 Depth=1
	s_or_b32 exec_lo, exec_lo, s33
	s_delay_alu instid0(SALU_CYCLE_1)
	s_and_not1_b32 s1, s31, exec_lo
	s_and_b32 s2, s2, exec_lo
	s_and_not1_b32 s29, s29, exec_lo
	s_and_b32 s33, s35, exec_lo
	s_or_b32 s31, s1, s2
	s_and_not1_b32 s1, s30, exec_lo
	s_and_b32 s2, s34, exec_lo
	s_and_not1_b32 s28, s28, exec_lo
	s_and_b32 s3, s3, exec_lo
	s_mov_b32 s0, -1
	s_or_b32 s29, s29, s33
	s_or_b32 s30, s1, s2
	;; [unrolled: 1-line block ×3, first 2 shown]
	s_and_saveexec_b32 s1, s36
	s_cbranch_execz .LBB34_2
; %bb.46:                               ;   in Loop: Header=BB34_3 Depth=1
	v_add_nc_u32_e32 v0, s21, v0
	v_subrev_nc_u32_e32 v25, s21, v25
	s_add_i32 s25, s25, s23
	s_and_not1_b32 s31, s31, exec_lo
	s_and_not1_b32 s29, s29, exec_lo
	v_cmp_le_u32_e32 vcc_lo, s16, v0
	s_and_not1_b32 s30, s30, exec_lo
	s_and_not1_b32 s28, s28, exec_lo
	s_or_not1_b32 s0, vcc_lo, exec_lo
	s_branch .LBB34_2
.LBB34_47:
	s_or_b32 exec_lo, exec_lo, s22
	s_xor_b32 s3, s26, -1
	s_xor_b32 s4, s27, -1
	;; [unrolled: 1-line block ×3, first 2 shown]
	s_mov_b32 s1, 0
	s_and_saveexec_b32 s2, s0
	s_delay_alu instid0(SALU_CYCLE_1)
	s_xor_b32 s0, exec_lo, s2
	s_cbranch_execz .LBB34_56
; %bb.48:
	s_mov_b32 s2, 0
	s_and_saveexec_b32 s1, s4
	s_delay_alu instid0(SALU_CYCLE_1)
	s_xor_b32 s1, exec_lo, s1
	s_cbranch_execz .LBB34_54
; %bb.49:
	s_and_saveexec_b32 s4, s3
	s_delay_alu instid0(SALU_CYCLE_1)
	s_xor_b32 s3, exec_lo, s4
	s_cbranch_execz .LBB34_52
; %bb.50:
	s_and_saveexec_b32 s4, s20
	s_delay_alu instid0(SALU_CYCLE_1)
	s_xor_b32 s4, exec_lo, s4
	s_cbranch_execnz .LBB34_70
.LBB34_51:
	s_or_b32 exec_lo, exec_lo, s4
	s_delay_alu instid0(SALU_CYCLE_1)
	s_and_b32 s2, s2, exec_lo
.LBB34_52:
	s_and_not1_saveexec_b32 s3, s3
	s_cbranch_execnz .LBB34_66
.LBB34_53:
	s_or_b32 exec_lo, exec_lo, s3
	s_delay_alu instid0(SALU_CYCLE_1)
	s_and_b32 s2, s2, exec_lo
.LBB34_54:
	s_and_not1_saveexec_b32 s1, s1
	s_cbranch_execnz .LBB34_62
.LBB34_55:
	s_or_b32 exec_lo, exec_lo, s1
	s_delay_alu instid0(SALU_CYCLE_1)
	s_and_b32 s1, s2, exec_lo
.LBB34_56:
	s_and_not1_saveexec_b32 s0, s0
	s_cbranch_execnz .LBB34_60
; %bb.57:
	s_or_b32 exec_lo, exec_lo, s0
	s_delay_alu instid0(SALU_CYCLE_1)
	s_and_b32 exec_lo, exec_lo, s1
.LBB34_58:
	; divergent unreachable
.LBB34_59:
	s_nop 0
	s_sendmsg sendmsg(MSG_DEALLOC_VGPRS)
	s_endpgm
.LBB34_60:
	s_cbranch_execnz .LBB34_64
; %bb.61:
	s_or_b32 s1, s1, exec_lo
	s_or_b32 exec_lo, exec_lo, s0
	s_delay_alu instid0(SALU_CYCLE_1)
	s_and_b32 exec_lo, exec_lo, s1
	s_cbranch_execnz .LBB34_58
	s_branch .LBB34_59
.LBB34_62:
	s_cbranch_execnz .LBB34_68
; %bb.63:
	s_or_b32 s2, s2, exec_lo
	s_branch .LBB34_55
.LBB34_64:
	s_trap 2
	s_sendmsg_rtn_b32 s0, sendmsg(MSG_RTN_GET_DOORBELL)
	s_mov_b32 ttmp2, m0
	s_waitcnt lgkmcnt(0)
	s_and_b32 s0, s0, 0x3ff
	s_delay_alu instid0(SALU_CYCLE_1) | instskip(NEXT) | instid1(SALU_CYCLE_1)
	s_bitset1_b32 s0, 10
	s_mov_b32 m0, s0
	s_sendmsg sendmsg(MSG_INTERRUPT)
	s_mov_b32 m0, ttmp2
.LBB34_65:                              ; =>This Inner Loop Header: Depth=1
	s_sethalt 5
	s_branch .LBB34_65
.LBB34_66:
	s_cbranch_execnz .LBB34_72
; %bb.67:
	s_or_b32 s2, s2, exec_lo
	s_branch .LBB34_53
.LBB34_68:
	s_trap 2
	s_sendmsg_rtn_b32 s0, sendmsg(MSG_RTN_GET_DOORBELL)
	s_mov_b32 ttmp2, m0
	s_waitcnt lgkmcnt(0)
	s_and_b32 s0, s0, 0x3ff
	s_delay_alu instid0(SALU_CYCLE_1) | instskip(NEXT) | instid1(SALU_CYCLE_1)
	s_bitset1_b32 s0, 10
	s_mov_b32 m0, s0
	s_sendmsg sendmsg(MSG_INTERRUPT)
	s_mov_b32 m0, ttmp2
.LBB34_69:                              ; =>This Inner Loop Header: Depth=1
	s_sethalt 5
	s_branch .LBB34_69
.LBB34_70:
	s_cbranch_execnz .LBB34_74
; %bb.71:
	s_mov_b32 s2, exec_lo
	s_branch .LBB34_51
.LBB34_72:
	s_trap 2
	s_sendmsg_rtn_b32 s0, sendmsg(MSG_RTN_GET_DOORBELL)
	s_mov_b32 ttmp2, m0
	s_waitcnt lgkmcnt(0)
	s_and_b32 s0, s0, 0x3ff
	s_delay_alu instid0(SALU_CYCLE_1) | instskip(NEXT) | instid1(SALU_CYCLE_1)
	s_bitset1_b32 s0, 10
	s_mov_b32 m0, s0
	s_sendmsg sendmsg(MSG_INTERRUPT)
	s_mov_b32 m0, ttmp2
.LBB34_73:                              ; =>This Inner Loop Header: Depth=1
	s_sethalt 5
	s_branch .LBB34_73
.LBB34_74:
	s_trap 2
	s_sendmsg_rtn_b32 s0, sendmsg(MSG_RTN_GET_DOORBELL)
	s_mov_b32 ttmp2, m0
	s_waitcnt lgkmcnt(0)
	s_and_b32 s0, s0, 0x3ff
	s_delay_alu instid0(SALU_CYCLE_1) | instskip(NEXT) | instid1(SALU_CYCLE_1)
	s_bitset1_b32 s0, 10
	s_mov_b32 m0, s0
	s_sendmsg sendmsg(MSG_INTERRUPT)
	s_mov_b32 m0, ttmp2
.LBB34_75:                              ; =>This Inner Loop Header: Depth=1
	s_sethalt 5
	s_branch .LBB34_75
	.section	.rodata,"a",@progbits
	.p2align	6, 0x0
	.amdhsa_kernel _ZN2at4cuda12_GLOBAL__N_121kernelPointwiseApply2IZNS_6native9templates4cuda28bernoulli_tensor_cuda_kernelIifEEvRKNS_10TensorBaseES9_NS_15PhiloxCudaStateEEUliRiSB_SB_SB_RKfSD_SD_SD_E_iSC_jLi1ELi2ELi4ELi512ELi2EEEvNS0_6detail10TensorInfoIT0_T2_EENSG_IT1_SI_EESI_T_
		.amdhsa_group_segment_fixed_size 0
		.amdhsa_private_segment_fixed_size 0
		.amdhsa_kernarg_size 728
		.amdhsa_user_sgpr_count 15
		.amdhsa_user_sgpr_dispatch_ptr 0
		.amdhsa_user_sgpr_queue_ptr 0
		.amdhsa_user_sgpr_kernarg_segment_ptr 1
		.amdhsa_user_sgpr_dispatch_id 0
		.amdhsa_user_sgpr_private_segment_size 0
		.amdhsa_wavefront_size32 1
		.amdhsa_uses_dynamic_stack 0
		.amdhsa_enable_private_segment 0
		.amdhsa_system_sgpr_workgroup_id_x 1
		.amdhsa_system_sgpr_workgroup_id_y 0
		.amdhsa_system_sgpr_workgroup_id_z 0
		.amdhsa_system_sgpr_workgroup_info 0
		.amdhsa_system_vgpr_workitem_id 0
		.amdhsa_next_free_vgpr 42
		.amdhsa_next_free_sgpr 40
		.amdhsa_reserve_vcc 1
		.amdhsa_float_round_mode_32 0
		.amdhsa_float_round_mode_16_64 0
		.amdhsa_float_denorm_mode_32 3
		.amdhsa_float_denorm_mode_16_64 3
		.amdhsa_dx10_clamp 1
		.amdhsa_ieee_mode 1
		.amdhsa_fp16_overflow 0
		.amdhsa_workgroup_processor_mode 1
		.amdhsa_memory_ordered 1
		.amdhsa_forward_progress 0
		.amdhsa_shared_vgpr_count 0
		.amdhsa_exception_fp_ieee_invalid_op 0
		.amdhsa_exception_fp_denorm_src 0
		.amdhsa_exception_fp_ieee_div_zero 0
		.amdhsa_exception_fp_ieee_overflow 0
		.amdhsa_exception_fp_ieee_underflow 0
		.amdhsa_exception_fp_ieee_inexact 0
		.amdhsa_exception_int_div_zero 0
	.end_amdhsa_kernel
	.section	.text._ZN2at4cuda12_GLOBAL__N_121kernelPointwiseApply2IZNS_6native9templates4cuda28bernoulli_tensor_cuda_kernelIifEEvRKNS_10TensorBaseES9_NS_15PhiloxCudaStateEEUliRiSB_SB_SB_RKfSD_SD_SD_E_iSC_jLi1ELi2ELi4ELi512ELi2EEEvNS0_6detail10TensorInfoIT0_T2_EENSG_IT1_SI_EESI_T_,"axG",@progbits,_ZN2at4cuda12_GLOBAL__N_121kernelPointwiseApply2IZNS_6native9templates4cuda28bernoulli_tensor_cuda_kernelIifEEvRKNS_10TensorBaseES9_NS_15PhiloxCudaStateEEUliRiSB_SB_SB_RKfSD_SD_SD_E_iSC_jLi1ELi2ELi4ELi512ELi2EEEvNS0_6detail10TensorInfoIT0_T2_EENSG_IT1_SI_EESI_T_,comdat
.Lfunc_end34:
	.size	_ZN2at4cuda12_GLOBAL__N_121kernelPointwiseApply2IZNS_6native9templates4cuda28bernoulli_tensor_cuda_kernelIifEEvRKNS_10TensorBaseES9_NS_15PhiloxCudaStateEEUliRiSB_SB_SB_RKfSD_SD_SD_E_iSC_jLi1ELi2ELi4ELi512ELi2EEEvNS0_6detail10TensorInfoIT0_T2_EENSG_IT1_SI_EESI_T_, .Lfunc_end34-_ZN2at4cuda12_GLOBAL__N_121kernelPointwiseApply2IZNS_6native9templates4cuda28bernoulli_tensor_cuda_kernelIifEEvRKNS_10TensorBaseES9_NS_15PhiloxCudaStateEEUliRiSB_SB_SB_RKfSD_SD_SD_E_iSC_jLi1ELi2ELi4ELi512ELi2EEEvNS0_6detail10TensorInfoIT0_T2_EENSG_IT1_SI_EESI_T_
                                        ; -- End function
	.section	.AMDGPU.csdata,"",@progbits
; Kernel info:
; codeLenInByte = 3744
; NumSgprs: 42
; NumVgprs: 42
; ScratchSize: 0
; MemoryBound: 0
; FloatMode: 240
; IeeeMode: 1
; LDSByteSize: 0 bytes/workgroup (compile time only)
; SGPRBlocks: 5
; VGPRBlocks: 5
; NumSGPRsForWavesPerEU: 42
; NumVGPRsForWavesPerEU: 42
; Occupancy: 16
; WaveLimiterHint : 1
; COMPUTE_PGM_RSRC2:SCRATCH_EN: 0
; COMPUTE_PGM_RSRC2:USER_SGPR: 15
; COMPUTE_PGM_RSRC2:TRAP_HANDLER: 0
; COMPUTE_PGM_RSRC2:TGID_X_EN: 1
; COMPUTE_PGM_RSRC2:TGID_Y_EN: 0
; COMPUTE_PGM_RSRC2:TGID_Z_EN: 0
; COMPUTE_PGM_RSRC2:TIDIG_COMP_CNT: 0
	.section	.text._ZN2at4cuda12_GLOBAL__N_121kernelPointwiseApply2IZNS_6native9templates4cuda28bernoulli_tensor_cuda_kernelIifEEvRKNS_10TensorBaseES9_NS_15PhiloxCudaStateEEUliRiSB_SB_SB_RKfSD_SD_SD_E_iSC_jLi1ELin1ELi4ELi512ELi2EEEvNS0_6detail10TensorInfoIT0_T2_EENSG_IT1_SI_EESI_T_,"axG",@progbits,_ZN2at4cuda12_GLOBAL__N_121kernelPointwiseApply2IZNS_6native9templates4cuda28bernoulli_tensor_cuda_kernelIifEEvRKNS_10TensorBaseES9_NS_15PhiloxCudaStateEEUliRiSB_SB_SB_RKfSD_SD_SD_E_iSC_jLi1ELin1ELi4ELi512ELi2EEEvNS0_6detail10TensorInfoIT0_T2_EENSG_IT1_SI_EESI_T_,comdat
	.globl	_ZN2at4cuda12_GLOBAL__N_121kernelPointwiseApply2IZNS_6native9templates4cuda28bernoulli_tensor_cuda_kernelIifEEvRKNS_10TensorBaseES9_NS_15PhiloxCudaStateEEUliRiSB_SB_SB_RKfSD_SD_SD_E_iSC_jLi1ELin1ELi4ELi512ELi2EEEvNS0_6detail10TensorInfoIT0_T2_EENSG_IT1_SI_EESI_T_ ; -- Begin function _ZN2at4cuda12_GLOBAL__N_121kernelPointwiseApply2IZNS_6native9templates4cuda28bernoulli_tensor_cuda_kernelIifEEvRKNS_10TensorBaseES9_NS_15PhiloxCudaStateEEUliRiSB_SB_SB_RKfSD_SD_SD_E_iSC_jLi1ELin1ELi4ELi512ELi2EEEvNS0_6detail10TensorInfoIT0_T2_EENSG_IT1_SI_EESI_T_
	.p2align	8
	.type	_ZN2at4cuda12_GLOBAL__N_121kernelPointwiseApply2IZNS_6native9templates4cuda28bernoulli_tensor_cuda_kernelIifEEvRKNS_10TensorBaseES9_NS_15PhiloxCudaStateEEUliRiSB_SB_SB_RKfSD_SD_SD_E_iSC_jLi1ELin1ELi4ELi512ELi2EEEvNS0_6detail10TensorInfoIT0_T2_EENSG_IT1_SI_EESI_T_,@function
_ZN2at4cuda12_GLOBAL__N_121kernelPointwiseApply2IZNS_6native9templates4cuda28bernoulli_tensor_cuda_kernelIifEEvRKNS_10TensorBaseES9_NS_15PhiloxCudaStateEEUliRiSB_SB_SB_RKfSD_SD_SD_E_iSC_jLi1ELin1ELi4ELi512ELi2EEEvNS0_6detail10TensorInfoIT0_T2_EENSG_IT1_SI_EESI_T_: ; @_ZN2at4cuda12_GLOBAL__N_121kernelPointwiseApply2IZNS_6native9templates4cuda28bernoulli_tensor_cuda_kernelIifEEvRKNS_10TensorBaseES9_NS_15PhiloxCudaStateEEUliRiSB_SB_SB_RKfSD_SD_SD_E_iSC_jLi1ELin1ELi4ELi512ELi2EEEvNS0_6detail10TensorInfoIT0_T2_EENSG_IT1_SI_EESI_T_
; %bb.0:
	s_clause 0x1
	s_load_b32 s4, s[0:1], 0x1e4
	s_load_b32 s20, s[0:1], 0x1b0
	s_add_u32 s2, s0, 0x1d8
	s_addc_u32 s3, s1, 0
	s_waitcnt lgkmcnt(0)
	s_and_b32 s14, s4, 0xffff
	s_mov_b32 s4, exec_lo
	v_mad_u64_u32 v[1:2], null, s15, s14, v[0:1]
	s_delay_alu instid0(VALU_DEP_1) | instskip(NEXT) | instid1(VALU_DEP_1)
	v_lshlrev_b32_e32 v24, 2, v1
	v_cmpx_gt_u32_e64 s20, v24
	s_cbranch_execz .LBB35_73
; %bb.1:
	s_load_b32 s16, s[0:1], 0x1a8
	s_load_b32 s2, s[2:3], 0x0
	s_clause 0x6
	s_load_b32 s3, s[0:1], 0x1d0
	s_load_b128 s[4:7], s[0:1], 0x1b8
	s_load_b64 s[8:9], s[0:1], 0x1c8
	s_load_b64 s[10:11], s[0:1], 0x0
	s_load_b32 s21, s[0:1], 0x6c
	s_load_b32 s22, s[0:1], 0x144
	s_load_b64 s[12:13], s[0:1], 0xd8
	s_add_u32 s17, s0, 0xd8
	s_addc_u32 s18, s1, 0
	v_mad_u64_u32 v[2:3], null, 0xcd9e8d57, v1, 0
	s_mov_b32 s15, 0
	v_mov_b32_e32 v4, 0
                                        ; implicit-def: $sgpr27
                                        ; implicit-def: $sgpr29
                                        ; implicit-def: $sgpr28
                                        ; implicit-def: $sgpr30
                                        ; implicit-def: $sgpr33
                                        ; implicit-def: $sgpr31
                                        ; implicit-def: $sgpr34
	s_delay_alu instid0(VALU_DEP_2)
	v_mov_b32_e32 v25, v3
	s_waitcnt lgkmcnt(0)
	s_cmp_gt_i32 s16, 1
	s_mul_i32 s2, s2, s14
	s_cselect_b32 s23, -1, 0
	s_bitcmp1_b32 s3, 0
	s_cselect_b32 s24, -1, 0
	s_add_i32 s14, s16, -1
	s_lshl_b32 s25, s2, 2
	s_lshl_b64 s[0:1], s[14:15], 2
	s_add_i32 s26, s16, 1
	s_add_u32 s0, s0, s17
	s_addc_u32 s1, s1, s18
	s_add_u32 s16, s0, 8
	s_addc_u32 s17, s1, 0
                                        ; implicit-def: $sgpr14
	s_branch .LBB35_3
.LBB35_2:                               ;   in Loop: Header=BB35_3 Depth=1
	s_or_b32 exec_lo, exec_lo, s1
	s_delay_alu instid0(SALU_CYCLE_1) | instskip(NEXT) | instid1(SALU_CYCLE_1)
	s_and_b32 s0, exec_lo, s0
	s_or_b32 s15, s0, s15
	s_and_not1_b32 s0, s14, exec_lo
	s_and_b32 s1, s34, exec_lo
	s_and_not1_b32 s2, s28, exec_lo
	s_and_b32 s3, s31, exec_lo
	s_or_b32 s14, s0, s1
	s_or_b32 s28, s2, s3
	s_and_not1_b32 s0, s29, exec_lo
	s_and_b32 s1, s33, exec_lo
	s_and_not1_b32 s2, s27, exec_lo
	s_and_b32 s3, s30, exec_lo
	s_or_b32 s29, s0, s1
	s_or_b32 s27, s2, s3
	s_and_not1_b32 exec_lo, exec_lo, s15
	s_cbranch_execz .LBB35_61
.LBB35_3:                               ; =>This Loop Header: Depth=1
                                        ;     Child Loop BB35_6 Depth 2
                                        ;     Child Loop BB35_11 Depth 2
	;; [unrolled: 1-line block ×4, first 2 shown]
	v_sub_nc_u32_e32 v27, s20, v24
	v_mov_b32_e32 v3, 0
	s_delay_alu instid0(VALU_DEP_2) | instskip(NEXT) | instid1(VALU_DEP_1)
	v_cmp_lt_i32_e64 s0, 0, v27
	s_and_saveexec_b32 s1, s0
	s_cbranch_execz .LBB35_8
; %bb.4:                                ;   in Loop: Header=BB35_3 Depth=1
	v_dual_mov_b32 v0, 0 :: v_dual_mov_b32 v3, v24
	s_and_not1_b32 vcc_lo, exec_lo, s23
	s_cbranch_vccnz .LBB35_7
; %bb.5:                                ;   in Loop: Header=BB35_3 Depth=1
	v_dual_mov_b32 v0, 0 :: v_dual_mov_b32 v3, v24
	s_mov_b64 s[2:3], s[16:17]
	s_mov_b32 s18, s26
	s_set_inst_prefetch_distance 0x1
	.p2align	6
.LBB35_6:                               ;   Parent Loop BB35_3 Depth=1
                                        ; =>  This Inner Loop Header: Depth=2
	s_clause 0x1
	s_load_b32 s19, s[2:3], 0x0
	s_load_b32 s35, s[2:3], 0x64
	v_mov_b32_e32 v7, v3
	s_add_i32 s18, s18, -1
	s_waitcnt lgkmcnt(0)
	v_cvt_f32_u32_e32 v5, s19
	s_sub_i32 s36, 0, s19
	s_add_u32 s2, s2, -4
	s_addc_u32 s3, s3, -1
	s_cmp_gt_u32 s18, 2
	v_rcp_iflag_f32_e32 v5, v5
	s_waitcnt_depctr 0xfff
	v_mul_f32_e32 v5, 0x4f7ffffe, v5
	s_delay_alu instid0(VALU_DEP_1) | instskip(NEXT) | instid1(VALU_DEP_1)
	v_cvt_u32_f32_e32 v5, v5
	v_mul_lo_u32 v6, s36, v5
	s_delay_alu instid0(VALU_DEP_1) | instskip(NEXT) | instid1(VALU_DEP_1)
	v_mul_hi_u32 v6, v5, v6
	v_add_nc_u32_e32 v3, v5, v6
	s_delay_alu instid0(VALU_DEP_1) | instskip(NEXT) | instid1(VALU_DEP_1)
	v_mul_hi_u32 v3, v7, v3
	v_add_nc_u32_e32 v6, 1, v3
	v_mul_lo_u32 v5, v3, s19
	s_delay_alu instid0(VALU_DEP_1) | instskip(NEXT) | instid1(VALU_DEP_1)
	v_sub_nc_u32_e32 v5, v7, v5
	v_subrev_nc_u32_e32 v8, s19, v5
	v_cmp_le_u32_e32 vcc_lo, s19, v5
	v_cndmask_b32_e32 v3, v3, v6, vcc_lo
	s_delay_alu instid0(VALU_DEP_1) | instskip(NEXT) | instid1(VALU_DEP_1)
	v_dual_cndmask_b32 v5, v5, v8 :: v_dual_add_nc_u32 v6, 1, v3
	v_cmp_le_u32_e32 vcc_lo, s19, v5
	s_delay_alu instid0(VALU_DEP_2) | instskip(NEXT) | instid1(VALU_DEP_1)
	v_cndmask_b32_e32 v3, v3, v6, vcc_lo
	v_mul_lo_u32 v5, v3, s19
	s_delay_alu instid0(VALU_DEP_1) | instskip(NEXT) | instid1(VALU_DEP_1)
	v_sub_nc_u32_e32 v7, v7, v5
	v_mad_u64_u32 v[5:6], null, s35, v7, v[0:1]
	s_delay_alu instid0(VALU_DEP_1)
	v_mov_b32_e32 v0, v5
	s_cbranch_scc1 .LBB35_6
.LBB35_7:                               ;   in Loop: Header=BB35_3 Depth=1
	s_set_inst_prefetch_distance 0x2
	s_delay_alu instid0(VALU_DEP_1) | instskip(NEXT) | instid1(VALU_DEP_1)
	v_mad_u64_u32 v[5:6], null, s22, v3, v[0:1]
	v_mov_b32_e32 v3, v5
.LBB35_8:                               ;   in Loop: Header=BB35_3 Depth=1
	s_or_b32 exec_lo, exec_lo, s1
	v_mov_b32_e32 v5, 0
	v_mov_b32_e32 v6, 0
	v_cmp_lt_i32_e64 s1, 1, v27
	s_delay_alu instid0(VALU_DEP_1)
	s_and_saveexec_b32 s18, s1
	s_cbranch_execz .LBB35_13
; %bb.9:                                ;   in Loop: Header=BB35_3 Depth=1
	v_or_b32_e32 v7, 1, v24
	v_mov_b32_e32 v0, 0
	s_and_not1_b32 vcc_lo, exec_lo, s23
	s_cbranch_vccnz .LBB35_12
; %bb.10:                               ;   in Loop: Header=BB35_3 Depth=1
	v_mov_b32_e32 v0, 0
	s_mov_b64 s[2:3], s[16:17]
	s_mov_b32 s19, s26
	s_set_inst_prefetch_distance 0x1
	.p2align	6
.LBB35_11:                              ;   Parent Loop BB35_3 Depth=1
                                        ; =>  This Inner Loop Header: Depth=2
	s_clause 0x1
	s_load_b32 s35, s[2:3], 0x0
	s_load_b32 s36, s[2:3], 0x64
	s_add_i32 s19, s19, -1
	v_mov_b32_e32 v8, v7
	s_waitcnt lgkmcnt(0)
	v_cvt_f32_u32_e32 v5, s35
	s_sub_i32 s37, 0, s35
	s_add_u32 s2, s2, -4
	s_addc_u32 s3, s3, -1
	s_cmp_gt_u32 s19, 2
	v_rcp_iflag_f32_e32 v5, v5
	s_waitcnt_depctr 0xfff
	v_mul_f32_e32 v5, 0x4f7ffffe, v5
	s_delay_alu instid0(VALU_DEP_1) | instskip(NEXT) | instid1(VALU_DEP_1)
	v_cvt_u32_f32_e32 v5, v5
	v_mul_lo_u32 v6, s37, v5
	s_delay_alu instid0(VALU_DEP_1) | instskip(NEXT) | instid1(VALU_DEP_1)
	v_mul_hi_u32 v6, v5, v6
	v_add_nc_u32_e32 v5, v5, v6
	s_delay_alu instid0(VALU_DEP_1) | instskip(NEXT) | instid1(VALU_DEP_1)
	v_mul_hi_u32 v5, v8, v5
	v_mul_lo_u32 v6, v5, s35
	v_add_nc_u32_e32 v7, 1, v5
	s_delay_alu instid0(VALU_DEP_2) | instskip(NEXT) | instid1(VALU_DEP_1)
	v_sub_nc_u32_e32 v6, v8, v6
	v_subrev_nc_u32_e32 v9, s35, v6
	v_cmp_le_u32_e32 vcc_lo, s35, v6
	s_delay_alu instid0(VALU_DEP_2) | instskip(NEXT) | instid1(VALU_DEP_1)
	v_dual_cndmask_b32 v5, v5, v7 :: v_dual_cndmask_b32 v6, v6, v9
	v_add_nc_u32_e32 v7, 1, v5
	s_delay_alu instid0(VALU_DEP_2) | instskip(NEXT) | instid1(VALU_DEP_2)
	v_cmp_le_u32_e32 vcc_lo, s35, v6
	v_cndmask_b32_e32 v7, v5, v7, vcc_lo
	s_delay_alu instid0(VALU_DEP_1) | instskip(NEXT) | instid1(VALU_DEP_1)
	v_mul_lo_u32 v5, v7, s35
	v_sub_nc_u32_e32 v8, v8, v5
	s_delay_alu instid0(VALU_DEP_1) | instskip(NEXT) | instid1(VALU_DEP_1)
	v_mad_u64_u32 v[5:6], null, s36, v8, v[0:1]
	v_mov_b32_e32 v0, v5
	s_cbranch_scc1 .LBB35_11
.LBB35_12:                              ;   in Loop: Header=BB35_3 Depth=1
	s_set_inst_prefetch_distance 0x2
	s_delay_alu instid0(VALU_DEP_1)
	v_mad_u64_u32 v[5:6], null, s22, v7, v[0:1]
	v_mov_b32_e32 v6, v4
.LBB35_13:                              ;   in Loop: Header=BB35_3 Depth=1
	s_or_b32 exec_lo, exec_lo, s18
	v_mov_b32_e32 v9, 0
	v_mov_b32_e32 v10, 0
	v_cmp_lt_i32_e64 s2, 2, v27
	s_delay_alu instid0(VALU_DEP_1)
	s_and_saveexec_b32 s3, s2
	s_cbranch_execz .LBB35_18
; %bb.14:                               ;   in Loop: Header=BB35_3 Depth=1
	v_or_b32_e32 v7, 2, v24
	v_mov_b32_e32 v0, 0
	s_and_not1_b32 vcc_lo, exec_lo, s23
	s_cbranch_vccnz .LBB35_17
; %bb.15:                               ;   in Loop: Header=BB35_3 Depth=1
	v_mov_b32_e32 v0, 0
	s_mov_b64 s[18:19], s[16:17]
	s_mov_b32 s35, s26
	s_set_inst_prefetch_distance 0x1
	.p2align	6
.LBB35_16:                              ;   Parent Loop BB35_3 Depth=1
                                        ; =>  This Inner Loop Header: Depth=2
	s_clause 0x1
	s_load_b32 s36, s[18:19], 0x0
	s_load_b32 s37, s[18:19], 0x64
	s_add_i32 s35, s35, -1
	s_waitcnt lgkmcnt(0)
	v_cvt_f32_u32_e32 v8, s36
	s_sub_i32 s38, 0, s36
	s_add_u32 s18, s18, -4
	s_addc_u32 s19, s19, -1
	s_cmp_gt_u32 s35, 2
	v_rcp_iflag_f32_e32 v8, v8
	s_waitcnt_depctr 0xfff
	v_mul_f32_e32 v8, 0x4f7ffffe, v8
	s_delay_alu instid0(VALU_DEP_1) | instskip(NEXT) | instid1(VALU_DEP_1)
	v_cvt_u32_f32_e32 v8, v8
	v_mul_lo_u32 v9, s38, v8
	s_delay_alu instid0(VALU_DEP_1) | instskip(NEXT) | instid1(VALU_DEP_1)
	v_mul_hi_u32 v9, v8, v9
	v_dual_mov_b32 v10, v7 :: v_dual_add_nc_u32 v7, v8, v9
	s_delay_alu instid0(VALU_DEP_1) | instskip(NEXT) | instid1(VALU_DEP_1)
	v_mul_hi_u32 v7, v10, v7
	v_mul_lo_u32 v8, v7, s36
	v_add_nc_u32_e32 v9, 1, v7
	s_delay_alu instid0(VALU_DEP_2) | instskip(NEXT) | instid1(VALU_DEP_1)
	v_sub_nc_u32_e32 v8, v10, v8
	v_subrev_nc_u32_e32 v11, s36, v8
	v_cmp_le_u32_e32 vcc_lo, s36, v8
	s_delay_alu instid0(VALU_DEP_2) | instskip(NEXT) | instid1(VALU_DEP_1)
	v_dual_cndmask_b32 v7, v7, v9 :: v_dual_cndmask_b32 v8, v8, v11
	v_add_nc_u32_e32 v9, 1, v7
	s_delay_alu instid0(VALU_DEP_2) | instskip(NEXT) | instid1(VALU_DEP_2)
	v_cmp_le_u32_e32 vcc_lo, s36, v8
	v_cndmask_b32_e32 v7, v7, v9, vcc_lo
	s_delay_alu instid0(VALU_DEP_1) | instskip(NEXT) | instid1(VALU_DEP_1)
	v_mul_lo_u32 v8, v7, s36
	v_sub_nc_u32_e32 v10, v10, v8
	s_delay_alu instid0(VALU_DEP_1) | instskip(NEXT) | instid1(VALU_DEP_1)
	v_mad_u64_u32 v[8:9], null, s37, v10, v[0:1]
	v_mov_b32_e32 v0, v8
	s_cbranch_scc1 .LBB35_16
.LBB35_17:                              ;   in Loop: Header=BB35_3 Depth=1
	s_set_inst_prefetch_distance 0x2
	s_delay_alu instid0(VALU_DEP_1)
	v_mad_u64_u32 v[9:10], null, s22, v7, v[0:1]
	v_mov_b32_e32 v10, v4
.LBB35_18:                              ;   in Loop: Header=BB35_3 Depth=1
	s_or_b32 exec_lo, exec_lo, s3
	v_mul_lo_u32 v26, v24, s21
	v_mov_b32_e32 v11, 0
	s_mov_b32 s3, exec_lo
	s_delay_alu instid0(VALU_DEP_2) | instskip(NEXT) | instid1(VALU_DEP_1)
	v_add_nc_u32_e32 v28, s21, v26
	v_dual_mov_b32 v12, 0 :: v_dual_add_nc_u32 v29, s21, v28
	s_delay_alu instid0(VALU_DEP_1)
	v_dual_mov_b32 v7, v11 :: v_dual_mov_b32 v8, v12
	v_cmpx_lt_i32_e32 3, v27
	s_cbranch_execz .LBB35_23
; %bb.19:                               ;   in Loop: Header=BB35_3 Depth=1
	v_or_b32_e32 v7, 3, v24
	v_mov_b32_e32 v0, 0
	s_and_not1_b32 vcc_lo, exec_lo, s23
	s_cbranch_vccnz .LBB35_22
; %bb.20:                               ;   in Loop: Header=BB35_3 Depth=1
	v_mov_b32_e32 v0, 0
	s_mov_b64 s[18:19], s[16:17]
	s_mov_b32 s35, s26
	s_set_inst_prefetch_distance 0x1
	.p2align	6
.LBB35_21:                              ;   Parent Loop BB35_3 Depth=1
                                        ; =>  This Inner Loop Header: Depth=2
	s_clause 0x1
	s_load_b32 s36, s[18:19], 0x0
	s_load_b32 s37, s[18:19], 0x64
	s_add_i32 s35, s35, -1
	s_waitcnt lgkmcnt(0)
	v_cvt_f32_u32_e32 v8, s36
	s_sub_i32 s38, 0, s36
	s_add_u32 s18, s18, -4
	s_addc_u32 s19, s19, -1
	s_cmp_gt_u32 s35, 2
	v_rcp_iflag_f32_e32 v8, v8
	s_waitcnt_depctr 0xfff
	v_mul_f32_e32 v8, 0x4f7ffffe, v8
	s_delay_alu instid0(VALU_DEP_1) | instskip(NEXT) | instid1(VALU_DEP_1)
	v_cvt_u32_f32_e32 v8, v8
	v_mul_lo_u32 v11, s38, v8
	s_delay_alu instid0(VALU_DEP_1) | instskip(NEXT) | instid1(VALU_DEP_1)
	v_mul_hi_u32 v11, v8, v11
	v_dual_mov_b32 v12, v7 :: v_dual_add_nc_u32 v7, v8, v11
	s_delay_alu instid0(VALU_DEP_1) | instskip(NEXT) | instid1(VALU_DEP_1)
	v_mul_hi_u32 v7, v12, v7
	v_mul_lo_u32 v8, v7, s36
	v_add_nc_u32_e32 v11, 1, v7
	s_delay_alu instid0(VALU_DEP_2) | instskip(NEXT) | instid1(VALU_DEP_1)
	v_sub_nc_u32_e32 v8, v12, v8
	v_subrev_nc_u32_e32 v13, s36, v8
	v_cmp_le_u32_e32 vcc_lo, s36, v8
	s_delay_alu instid0(VALU_DEP_2) | instskip(NEXT) | instid1(VALU_DEP_1)
	v_dual_cndmask_b32 v7, v7, v11 :: v_dual_cndmask_b32 v8, v8, v13
	v_add_nc_u32_e32 v11, 1, v7
	s_delay_alu instid0(VALU_DEP_2) | instskip(NEXT) | instid1(VALU_DEP_2)
	v_cmp_le_u32_e32 vcc_lo, s36, v8
	v_cndmask_b32_e32 v7, v7, v11, vcc_lo
	s_delay_alu instid0(VALU_DEP_1) | instskip(NEXT) | instid1(VALU_DEP_1)
	v_mul_lo_u32 v8, v7, s36
	v_sub_nc_u32_e32 v8, v12, v8
	s_delay_alu instid0(VALU_DEP_1) | instskip(NEXT) | instid1(VALU_DEP_1)
	v_mad_u64_u32 v[11:12], null, s37, v8, v[0:1]
	v_mov_b32_e32 v0, v11
	s_cbranch_scc1 .LBB35_21
.LBB35_22:                              ;   in Loop: Header=BB35_3 Depth=1
	s_set_inst_prefetch_distance 0x2
	s_delay_alu instid0(VALU_DEP_1)
	v_mad_u64_u32 v[11:12], null, s22, v7, v[0:1]
	v_dual_mov_b32 v8, v4 :: v_dual_add_nc_u32 v7, s21, v29
	v_mov_b32_e32 v12, v4
.LBB35_23:                              ;   in Loop: Header=BB35_3 Depth=1
	s_or_b32 exec_lo, exec_lo, s3
	v_lshlrev_b64 v[13:14], 2, v[3:4]
	v_lshlrev_b64 v[5:6], 2, v[5:6]
	;; [unrolled: 1-line block ×4, first 2 shown]
	s_delay_alu instid0(VALU_DEP_4)
	v_add_co_u32 v13, vcc_lo, s12, v13
	v_add_co_ci_u32_e32 v14, vcc_lo, s13, v14, vcc_lo
	v_add_co_u32 v5, vcc_lo, s12, v5
	v_add_co_ci_u32_e32 v6, vcc_lo, s13, v6, vcc_lo
	;; [unrolled: 2-line block ×4, first 2 shown]
	s_clause 0x3
	global_load_b32 v0, v[13:14], off
	global_load_b32 v30, v[5:6], off
	;; [unrolled: 1-line block ×4, first 2 shown]
	v_dual_mov_b32 v12, s7 :: v_dual_mov_b32 v11, s6
	v_dual_mov_b32 v14, s5 :: v_dual_mov_b32 v13, s4
	s_and_not1_b32 vcc_lo, exec_lo, s24
	s_cbranch_vccnz .LBB35_25
; %bb.24:                               ;   in Loop: Header=BB35_3 Depth=1
	v_dual_mov_b32 v5, s6 :: v_dual_mov_b32 v6, s7
	v_dual_mov_b32 v10, s5 :: v_dual_mov_b32 v9, s4
	flat_load_b64 v[5:6], v[5:6]
	flat_load_b64 v[13:14], v[9:10]
	s_waitcnt vmcnt(1) lgkmcnt(1)
	v_add_co_u32 v11, vcc_lo, v5, s8
	v_add_co_ci_u32_e32 v12, vcc_lo, s9, v6, vcc_lo
.LBB35_25:                              ;   in Loop: Header=BB35_3 Depth=1
	s_delay_alu instid0(VALU_DEP_1)
	v_alignbit_b32 v15, v12, v11, 2
	v_lshrrev_b32_e32 v9, 2, v12
	s_waitcnt vmcnt(0) lgkmcnt(0)
	v_add_nc_u32_e32 v32, 0x9e3779b9, v13
	v_add_nc_u32_e32 v34, 0x3c6ef372, v13
	;; [unrolled: 1-line block ×3, first 2 shown]
	v_add_co_u32 v10, vcc_lo, v15, 1
	s_delay_alu instid0(VALU_DEP_1) | instskip(SKIP_4) | instid1(VALU_DEP_4)
	v_cndmask_b32_e64 v5, 0, 1, vcc_lo
	v_add_co_ci_u32_e32 v12, vcc_lo, 0, v9, vcc_lo
	v_xor3_b32 v17, v25, v13, v9
	v_add_nc_u32_e32 v36, 0x32370b8f, v14
	v_add_nc_u32_e32 v37, 0xed9eba14, v14
	v_cmp_eq_u32_e32 vcc_lo, 0, v12
	v_add_nc_u32_e32 v38, 0x1fd5c5a3, v14
	s_mov_b32 s3, exec_lo
	v_dual_cndmask_b32 v16, 0, v5 :: v_dual_add_nc_u32 v33, 0xbb67ae85, v14
	v_mad_u64_u32 v[5:6], null, 0xd2511f53, v10, 0
	v_mad_u64_u32 v[9:10], null, 0xd2511f53, v15, 0
	s_delay_alu instid0(VALU_DEP_3) | instskip(NEXT) | instid1(VALU_DEP_3)
	v_add_nc_u32_e32 v19, v16, v1
	v_xor_b32_e32 v6, v6, v14
	s_delay_alu instid0(VALU_DEP_2) | instskip(SKIP_1) | instid1(VALU_DEP_1)
	v_cmp_eq_u32_e32 vcc_lo, 0, v19
	v_cndmask_b32_e32 v16, 0, v16, vcc_lo
	v_xor_b32_e32 v6, v16, v6
	v_mad_u64_u32 v[15:16], null, 0xd2511f53, v17, 0
	v_mad_u64_u32 v[17:18], null, 0xcd9e8d57, v19, 0
	s_delay_alu instid0(VALU_DEP_3) | instskip(SKIP_1) | instid1(VALU_DEP_4)
	v_mad_u64_u32 v[19:20], null, 0xcd9e8d57, v6, 0
	v_xor_b32_e32 v6, v10, v14
	v_xor3_b32 v21, v33, v16, v9
	s_delay_alu instid0(VALU_DEP_2) | instskip(SKIP_2) | instid1(VALU_DEP_4)
	v_mad_u64_u32 v[9:10], null, 0xcd9e8d57, v6, 0
	v_xor3_b32 v6, v18, v13, v12
	v_xor3_b32 v12, v32, v20, v17
	v_mad_u64_u32 v[16:17], null, 0xcd9e8d57, v21, 0
	s_delay_alu instid0(VALU_DEP_3) | instskip(NEXT) | instid1(VALU_DEP_3)
	v_mad_u64_u32 v[20:21], null, 0xd2511f53, v6, 0
	v_mad_u64_u32 v[22:23], null, 0xd2511f53, v12, 0
	v_xor3_b32 v6, v2, v10, v32
	s_delay_alu instid0(VALU_DEP_4) | instskip(SKIP_2) | instid1(VALU_DEP_4)
	v_xor3_b32 v17, v34, v17, v9
	v_add_nc_u32_e32 v12, 0xdaa66d2b, v13
	v_xor3_b32 v21, v33, v21, v5
	v_mad_u64_u32 v[9:10], null, 0xd2511f53, v6, 0
	v_xor3_b32 v23, v35, v23, v20
	v_mad_u64_u32 v[5:6], null, 0xd2511f53, v17, 0
	s_delay_alu instid0(VALU_DEP_4) | instskip(NEXT) | instid1(VALU_DEP_3)
	v_mad_u64_u32 v[17:18], null, 0xcd9e8d57, v21, 0
	v_mad_u64_u32 v[20:21], null, 0xcd9e8d57, v23, 0
	v_xor3_b32 v15, v35, v10, v15
	v_add_nc_u32_e32 v23, 0x78dde6e4, v13
	v_xor3_b32 v6, v36, v6, v9
	s_delay_alu instid0(VALU_DEP_3) | instskip(SKIP_2) | instid1(VALU_DEP_4)
	v_mad_u64_u32 v[9:10], null, 0xcd9e8d57, v15, 0
	v_xor3_b32 v15, v34, v18, v19
	v_xor3_b32 v19, v12, v21, v17
	v_mad_u64_u32 v[17:18], null, 0xcd9e8d57, v6, 0
	s_delay_alu instid0(VALU_DEP_3) | instskip(NEXT) | instid1(VALU_DEP_3)
	v_mad_u64_u32 v[32:33], null, 0xd2511f53, v15, 0
	v_mad_u64_u32 v[34:35], null, 0xd2511f53, v19, 0
	v_xor3_b32 v6, v12, v10, v16
	s_delay_alu instid0(VALU_DEP_4) | instskip(SKIP_2) | instid1(VALU_DEP_4)
	v_xor3_b32 v15, v23, v18, v9
	v_add_nc_u32_e32 v12, 0x1715609d, v13
	v_add_nc_u32_e32 v19, 0xa9066899, v14
	v_mad_u64_u32 v[9:10], null, 0xd2511f53, v6, 0
	v_xor3_b32 v6, v36, v33, v22
	v_xor3_b32 v18, v37, v35, v32
	v_mad_u64_u32 v[21:22], null, 0xd2511f53, v15, 0
	v_add_nc_u32_e32 v33, 0xb54cda56, v13
	s_delay_alu instid0(VALU_DEP_4) | instskip(NEXT) | instid1(VALU_DEP_4)
	v_mad_u64_u32 v[15:16], null, 0xcd9e8d57, v6, 0
	v_mad_u64_u32 v[35:36], null, 0xcd9e8d57, v18, 0
	v_xor3_b32 v10, v37, v10, v5
	v_xor3_b32 v18, v19, v22, v9
	v_add_nc_u32_e32 v32, 0x646e171e, v14
	v_xor3_b32 v20, v23, v16, v20
	s_delay_alu instid0(VALU_DEP_4) | instskip(SKIP_2) | instid1(VALU_DEP_4)
	v_mad_u64_u32 v[5:6], null, 0xcd9e8d57, v10, 0
	v_xor3_b32 v22, v12, v36, v15
	v_mad_u64_u32 v[9:10], null, 0xcd9e8d57, v18, 0
	v_mad_u64_u32 v[15:16], null, 0xd2511f53, v20, 0
	s_delay_alu instid0(VALU_DEP_3) | instskip(SKIP_3) | instid1(VALU_DEP_3)
	v_mad_u64_u32 v[36:37], null, 0xd2511f53, v22, 0
	v_xor3_b32 v12, v12, v6, v17
	v_add_nc_u32_e32 v20, 0x5384540f, v13
	v_xor3_b32 v10, v33, v10, v5
	v_mad_u64_u32 v[5:6], null, 0xd2511f53, v12, 0
	v_xor3_b32 v12, v19, v16, v34
	v_xor3_b32 v17, v32, v37, v15
	s_delay_alu instid0(VALU_DEP_4) | instskip(NEXT) | instid1(VALU_DEP_3)
	v_mad_u64_u32 v[15:16], null, 0xd2511f53, v10, 0
	v_mad_u64_u32 v[22:23], null, 0xcd9e8d57, v12, 0
	s_delay_alu instid0(VALU_DEP_3) | instskip(SKIP_1) | instid1(VALU_DEP_4)
	v_mad_u64_u32 v[18:19], null, 0xcd9e8d57, v17, 0
	v_xor3_b32 v10, v32, v6, v21
	v_xor3_b32 v12, v38, v16, v5
	v_add_co_u32 v32, null, 0xf1bbcdc8, v13
	s_delay_alu instid0(VALU_DEP_3) | instskip(SKIP_4) | instid1(VALU_DEP_4)
	v_mad_u64_u32 v[5:6], null, 0xcd9e8d57, v10, 0
	v_xor3_b32 v10, v33, v23, v35
	v_xor3_b32 v19, v20, v19, v22
	v_mad_u64_u32 v[16:17], null, 0xcd9e8d57, v12, 0
	v_add_nc_u32_e32 v33, 0xdb3d7428, v14
	v_mad_u64_u32 v[34:35], null, 0xd2511f53, v10, 0
	s_delay_alu instid0(VALU_DEP_4) | instskip(SKIP_4) | instid1(VALU_DEP_4)
	v_mad_u64_u32 v[21:22], null, 0xd2511f53, v19, 0
	v_xor3_b32 v6, v20, v6, v9
	v_xor3_b32 v9, v32, v17, v5
	v_add_nc_u32_e32 v17, 0x8ff34781, v13
	v_xor3_b32 v10, v38, v35, v36
	v_mad_u64_u32 v[19:20], null, 0xd2511f53, v6, 0
	v_xor3_b32 v12, v33, v22, v34
	v_mad_u64_u32 v[5:6], null, 0xd2511f53, v9, 0
	s_delay_alu instid0(VALU_DEP_4) | instskip(NEXT) | instid1(VALU_DEP_3)
	v_mad_u64_u32 v[22:23], null, 0xcd9e8d57, v10, 0
	v_mad_u64_u32 v[9:10], null, 0xcd9e8d57, v12, 0
	v_add_nc_u32_e32 v34, 0x96a522ad, v14
	v_and_b32_e32 v14, 3, v11
                                        ; implicit-def: $vgpr12
	s_delay_alu instid0(VALU_DEP_2) | instskip(NEXT) | instid1(VALU_DEP_4)
	v_xor3_b32 v13, v6, v19, v34
	v_xor3_b32 v6, v10, v22, v17
	s_delay_alu instid0(VALU_DEP_3)
	v_cmpx_lt_i32_e32 1, v14
	s_xor_b32 s3, exec_lo, s3
	s_cbranch_execz .LBB35_31
; %bb.26:                               ;   in Loop: Header=BB35_3 Depth=1
	s_mov_b32 s18, exec_lo
                                        ; implicit-def: $vgpr12
	v_cmpx_lt_i32_e32 2, v14
	s_xor_b32 s18, exec_lo, s18
; %bb.27:                               ;   in Loop: Header=BB35_3 Depth=1
	v_xor3_b32 v10, v32, v23, v18
                                        ; implicit-def: $vgpr13
	s_delay_alu instid0(VALU_DEP_1) | instskip(NEXT) | instid1(VALU_DEP_1)
	v_mul_hi_u32 v10, 0xd2511f53, v10
	v_xor3_b32 v12, v10, v21, v34
; %bb.28:                               ;   in Loop: Header=BB35_3 Depth=1
	s_and_not1_saveexec_b32 s18, s18
; %bb.29:                               ;   in Loop: Header=BB35_3 Depth=1
	v_dual_mov_b32 v12, v9 :: v_dual_mov_b32 v9, v6
	v_mov_b32_e32 v6, v5
	v_mov_b32_e32 v5, v13
; %bb.30:                               ;   in Loop: Header=BB35_3 Depth=1
	s_or_b32 exec_lo, exec_lo, s18
                                        ; implicit-def: $vgpr15_vgpr16
                                        ; implicit-def: $vgpr14
                                        ; implicit-def: $vgpr13
                                        ; implicit-def: $vgpr33
                                        ; implicit-def: $vgpr19_vgpr20
                                        ; implicit-def: $vgpr16_vgpr17
                                        ; implicit-def: $vgpr17
.LBB35_31:                              ;   in Loop: Header=BB35_3 Depth=1
	s_and_not1_saveexec_b32 s3, s3
	s_cbranch_execz .LBB35_35
; %bb.32:                               ;   in Loop: Header=BB35_3 Depth=1
	v_xor3_b32 v9, v33, v20, v15
	v_cmp_eq_u32_e32 vcc_lo, 1, v14
	s_delay_alu instid0(VALU_DEP_2) | instskip(SKIP_2) | instid1(VALU_DEP_3)
	v_mad_u64_u32 v[10:11], null, 0xcd9e8d57, v9, 0
	v_mov_b32_e32 v12, v5
	v_mov_b32_e32 v9, v13
	v_xor3_b32 v14, v11, v16, v17
	s_delay_alu instid0(VALU_DEP_4)
	v_mov_b32_e32 v11, v10
	s_and_saveexec_b32 s18, vcc_lo
; %bb.33:                               ;   in Loop: Header=BB35_3 Depth=1
	v_dual_mov_b32 v12, v6 :: v_dual_mov_b32 v9, v5
	v_dual_mov_b32 v11, v13 :: v_dual_mov_b32 v14, v10
; %bb.34:                               ;   in Loop: Header=BB35_3 Depth=1
	s_or_b32 exec_lo, exec_lo, s18
	s_delay_alu instid0(VALU_DEP_1)
	v_dual_mov_b32 v5, v14 :: v_dual_mov_b32 v6, v11
.LBB35_35:                              ;   in Loop: Header=BB35_3 Depth=1
	s_or_b32 exec_lo, exec_lo, s3
	v_min_i32_e32 v10, 4, v27
	s_mov_b32 s18, 0
	s_mov_b32 s38, 0
	s_mov_b32 s3, 0
	s_mov_b32 s37, exec_lo
                                        ; implicit-def: $sgpr19
                                        ; implicit-def: $sgpr35
                                        ; implicit-def: $sgpr36
	v_cmpx_lt_i32_e32 2, v10
	s_xor_b32 s37, exec_lo, s37
	s_cbranch_execz .LBB35_47
; %bb.36:                               ;   in Loop: Header=BB35_3 Depth=1
	s_mov_b32 s3, -1
	s_mov_b32 s40, 0
	s_mov_b32 s35, exec_lo
                                        ; implicit-def: $sgpr19
                                        ; implicit-def: $sgpr39
	v_cmpx_lt_i32_e32 3, v10
	s_cbranch_execz .LBB35_42
; %bb.37:                               ;   in Loop: Header=BB35_3 Depth=1
	s_mov_b32 s3, 0
	s_mov_b32 s40, -1
	s_mov_b32 s36, exec_lo
                                        ; implicit-def: $sgpr19
                                        ; implicit-def: $sgpr39
	v_cmpx_eq_u32_e32 4, v10
	s_cbranch_execz .LBB35_41
; %bb.38:                               ;   in Loop: Header=BB35_3 Depth=1
	v_cmp_le_f32_e32 vcc_lo, 0, v3
	v_cmp_ge_f32_e64 s3, 1.0, v3
	s_mov_b32 s19, 0
	s_delay_alu instid0(VALU_DEP_1)
	s_and_b32 s40, vcc_lo, s3
	s_mov_b32 s3, 0
	s_and_saveexec_b32 s39, s40
	s_cbranch_execz .LBB35_40
; %bb.39:                               ;   in Loop: Header=BB35_3 Depth=1
	v_cvt_f32_u32_e32 v11, v12
	v_lshlrev_b64 v[7:8], 2, v[7:8]
	s_mov_b32 s3, exec_lo
	s_delay_alu instid0(VALU_DEP_2) | instskip(NEXT) | instid1(VALU_DEP_2)
	v_fmaak_f32 v11, 0x2f800000, v11, 0x2f800000
	v_add_co_u32 v7, vcc_lo, s10, v7
	s_delay_alu instid0(VALU_DEP_3) | instskip(NEXT) | instid1(VALU_DEP_3)
	v_add_co_ci_u32_e32 v8, vcc_lo, s11, v8, vcc_lo
	v_cmp_le_f32_e32 vcc_lo, v11, v3
	v_cndmask_b32_e64 v3, 0, 1, vcc_lo
	global_store_b32 v[7:8], v3, off
.LBB35_40:                              ;   in Loop: Header=BB35_3 Depth=1
	s_or_b32 exec_lo, exec_lo, s39
	s_mov_b32 s39, -1
	s_xor_b32 s40, exec_lo, -1
	s_and_b32 s3, s3, exec_lo
.LBB35_41:                              ;   in Loop: Header=BB35_3 Depth=1
	s_or_b32 exec_lo, exec_lo, s36
	s_delay_alu instid0(SALU_CYCLE_1)
	s_and_b32 s40, s40, exec_lo
	s_or_not1_b32 s3, s3, exec_lo
.LBB35_42:                              ;   in Loop: Header=BB35_3 Depth=1
	s_or_b32 exec_lo, exec_lo, s35
	s_mov_b32 s36, s19
	s_and_saveexec_b32 s35, s3
	s_cbranch_execz .LBB35_46
; %bb.43:                               ;   in Loop: Header=BB35_3 Depth=1
	v_cmp_le_f32_e32 vcc_lo, 0, v31
	v_cmp_ge_f32_e64 s3, 1.0, v31
	s_delay_alu instid0(VALU_DEP_1) | instskip(SKIP_2) | instid1(SALU_CYCLE_1)
	s_and_b32 s36, vcc_lo, s3
	s_mov_b32 s3, 0
	s_and_saveexec_b32 s38, s36
	s_xor_b32 s36, exec_lo, s38
	s_cbranch_execz .LBB35_45
; %bb.44:                               ;   in Loop: Header=BB35_3 Depth=1
	v_cndmask_b32_e64 v3, 0, v29, s2
	v_cvt_f32_u32_e32 v9, v9
	s_mov_b32 s3, exec_lo
	s_delay_alu instid0(VALU_DEP_2) | instskip(NEXT) | instid1(VALU_DEP_2)
	v_lshlrev_b64 v[7:8], 2, v[3:4]
	v_fmaak_f32 v3, 0x2f800000, v9, 0x2f800000
	s_delay_alu instid0(VALU_DEP_2) | instskip(NEXT) | instid1(VALU_DEP_3)
	v_add_co_u32 v7, vcc_lo, s10, v7
	v_add_co_ci_u32_e32 v8, vcc_lo, s11, v8, vcc_lo
	s_delay_alu instid0(VALU_DEP_3)
	v_cmp_le_f32_e32 vcc_lo, v3, v31
	v_cndmask_b32_e64 v3, 0, 1, vcc_lo
	global_store_b32 v[7:8], v3, off
.LBB35_45:                              ;   in Loop: Header=BB35_3 Depth=1
	s_or_b32 exec_lo, exec_lo, s36
	s_delay_alu instid0(SALU_CYCLE_1)
	s_and_not1_b32 s36, s19, exec_lo
	s_or_b32 s19, s19, exec_lo
	s_and_not1_b32 s39, s39, exec_lo
	s_and_b32 s38, s3, exec_lo
.LBB35_46:                              ;   in Loop: Header=BB35_3 Depth=1
	s_or_b32 exec_lo, exec_lo, s35
	s_delay_alu instid0(SALU_CYCLE_1)
	s_and_b32 s36, s36, exec_lo
	s_and_b32 s35, s19, exec_lo
	;; [unrolled: 1-line block ×5, first 2 shown]
.LBB35_47:                              ;   in Loop: Header=BB35_3 Depth=1
	s_and_not1_saveexec_b32 s2, s37
; %bb.48:                               ;   in Loop: Header=BB35_3 Depth=1
	v_cmp_lt_i32_e32 vcc_lo, 1, v10
	s_and_not1_b32 s37, s38, exec_lo
	s_mov_b32 s18, exec_lo
	s_and_not1_b32 s36, s36, exec_lo
	s_and_not1_b32 s35, s35, exec_lo
	s_and_b32 s38, vcc_lo, exec_lo
	s_and_not1_b32 s19, s19, exec_lo
	s_or_b32 s38, s37, s38
; %bb.49:                               ;   in Loop: Header=BB35_3 Depth=1
	s_or_b32 exec_lo, exec_lo, s2
	s_mov_b32 s37, 0
	s_mov_b32 s2, s36
	s_and_saveexec_b32 s39, s38
	s_cbranch_execnz .LBB35_52
; %bb.50:                               ;   in Loop: Header=BB35_3 Depth=1
	s_or_b32 exec_lo, exec_lo, s39
	s_and_saveexec_b32 s1, s18
	s_cbranch_execnz .LBB35_55
.LBB35_51:                              ;   in Loop: Header=BB35_3 Depth=1
	s_or_b32 exec_lo, exec_lo, s1
	s_and_saveexec_b32 s18, s37
	s_cbranch_execnz .LBB35_56
	s_branch .LBB35_59
.LBB35_52:                              ;   in Loop: Header=BB35_3 Depth=1
	v_cmp_le_f32_e32 vcc_lo, 0, v30
	v_cmp_ge_f32_e64 s2, 1.0, v30
	s_delay_alu instid0(VALU_DEP_1) | instskip(NEXT) | instid1(SALU_CYCLE_1)
	s_and_b32 s2, vcc_lo, s2
	s_and_saveexec_b32 s38, s2
	s_delay_alu instid0(SALU_CYCLE_1)
	s_xor_b32 s2, exec_lo, s38
	s_cbranch_execz .LBB35_54
; %bb.53:                               ;   in Loop: Header=BB35_3 Depth=1
	v_cndmask_b32_e64 v3, 0, v28, s1
	v_cvt_f32_u32_e32 v8, v6
	s_mov_b32 s37, exec_lo
	s_delay_alu instid0(VALU_DEP_2) | instskip(NEXT) | instid1(VALU_DEP_2)
	v_lshlrev_b64 v[6:7], 2, v[3:4]
	v_fmaak_f32 v3, 0x2f800000, v8, 0x2f800000
	s_delay_alu instid0(VALU_DEP_2) | instskip(NEXT) | instid1(VALU_DEP_3)
	v_add_co_u32 v6, vcc_lo, s10, v6
	v_add_co_ci_u32_e32 v7, vcc_lo, s11, v7, vcc_lo
	s_delay_alu instid0(VALU_DEP_3)
	v_cmp_le_f32_e32 vcc_lo, v3, v30
	v_cndmask_b32_e64 v3, 0, 1, vcc_lo
	global_store_b32 v[6:7], v3, off
.LBB35_54:                              ;   in Loop: Header=BB35_3 Depth=1
	s_or_b32 exec_lo, exec_lo, s2
	s_delay_alu instid0(SALU_CYCLE_1)
	s_and_not1_b32 s2, s36, exec_lo
	s_or_b32 s36, s36, exec_lo
	s_and_not1_b32 s35, s35, exec_lo
	s_and_not1_b32 s19, s19, exec_lo
	s_and_b32 s37, s37, exec_lo
	s_and_not1_b32 s18, s18, exec_lo
	s_or_b32 exec_lo, exec_lo, s39
	s_and_saveexec_b32 s1, s18
	s_cbranch_execz .LBB35_51
.LBB35_55:                              ;   in Loop: Header=BB35_3 Depth=1
	v_cmp_eq_u32_e32 vcc_lo, 1, v10
	s_and_not1_b32 s18, s37, exec_lo
	s_and_not1_b32 s2, s2, exec_lo
	;; [unrolled: 1-line block ×4, first 2 shown]
	s_and_b32 s37, vcc_lo, exec_lo
	s_and_not1_b32 s19, s19, exec_lo
	s_or_b32 s3, s3, exec_lo
	s_or_b32 s37, s18, s37
	s_or_b32 exec_lo, exec_lo, s1
	s_and_saveexec_b32 s18, s37
	s_cbranch_execz .LBB35_59
.LBB35_56:                              ;   in Loop: Header=BB35_3 Depth=1
	v_cmp_le_f32_e32 vcc_lo, 0, v0
	v_cmp_ge_f32_e64 s1, 1.0, v0
	s_delay_alu instid0(VALU_DEP_1)
	s_and_b32 s38, vcc_lo, s1
	s_mov_b32 s1, 0
	s_and_saveexec_b32 s37, s38
	s_cbranch_execz .LBB35_58
; %bb.57:                               ;   in Loop: Header=BB35_3 Depth=1
	v_cndmask_b32_e64 v3, 0, v26, s0
	v_cvt_f32_u32_e32 v7, v5
	s_mov_b32 s1, exec_lo
	s_delay_alu instid0(VALU_DEP_2) | instskip(NEXT) | instid1(VALU_DEP_2)
	v_lshlrev_b64 v[5:6], 2, v[3:4]
	v_fmaak_f32 v3, 0x2f800000, v7, 0x2f800000
	s_delay_alu instid0(VALU_DEP_2) | instskip(NEXT) | instid1(VALU_DEP_3)
	v_add_co_u32 v5, vcc_lo, s10, v5
	v_add_co_ci_u32_e32 v6, vcc_lo, s11, v6, vcc_lo
	s_delay_alu instid0(VALU_DEP_3)
	v_cmp_le_f32_e32 vcc_lo, v3, v0
	v_cndmask_b32_e64 v0, 0, 1, vcc_lo
	global_store_b32 v[5:6], v0, off
.LBB35_58:                              ;   in Loop: Header=BB35_3 Depth=1
	s_or_b32 exec_lo, exec_lo, s37
	s_delay_alu instid0(SALU_CYCLE_1)
	s_and_not1_b32 s0, s3, exec_lo
	s_and_b32 s1, s1, exec_lo
	s_or_b32 s2, s2, exec_lo
	s_and_not1_b32 s36, s36, exec_lo
	s_and_not1_b32 s35, s35, exec_lo
	s_and_not1_b32 s19, s19, exec_lo
	s_or_b32 s3, s0, s1
.LBB35_59:                              ;   in Loop: Header=BB35_3 Depth=1
	s_or_b32 exec_lo, exec_lo, s18
	s_delay_alu instid0(SALU_CYCLE_1)
	s_and_not1_b32 s1, s34, exec_lo
	s_and_b32 s2, s2, exec_lo
	s_and_not1_b32 s18, s31, exec_lo
	s_and_b32 s31, s36, exec_lo
	s_or_b32 s34, s1, s2
	s_or_b32 s31, s18, s31
	s_and_not1_b32 s1, s33, exec_lo
	s_and_b32 s2, s35, exec_lo
	s_and_not1_b32 s18, s30, exec_lo
	s_and_b32 s19, s19, exec_lo
	s_mov_b32 s0, -1
	s_or_b32 s33, s1, s2
	s_or_b32 s30, s18, s19
	s_and_saveexec_b32 s1, s3
	s_cbranch_execz .LBB35_2
; %bb.60:                               ;   in Loop: Header=BB35_3 Depth=1
	v_add_nc_u32_e32 v24, s25, v24
	s_and_not1_b32 s34, s34, exec_lo
	s_and_not1_b32 s31, s31, exec_lo
	;; [unrolled: 1-line block ×4, first 2 shown]
	v_cmp_le_u32_e32 vcc_lo, s20, v24
	s_or_not1_b32 s0, vcc_lo, exec_lo
	s_branch .LBB35_2
.LBB35_61:
	s_or_b32 exec_lo, exec_lo, s15
	s_xor_b32 s3, s28, -1
	s_xor_b32 s4, s29, -1
	;; [unrolled: 1-line block ×3, first 2 shown]
	s_mov_b32 s1, 0
	s_and_saveexec_b32 s2, s0
	s_delay_alu instid0(SALU_CYCLE_1)
	s_xor_b32 s0, exec_lo, s2
	s_cbranch_execz .LBB35_70
; %bb.62:
	s_mov_b32 s2, 0
	s_and_saveexec_b32 s1, s4
	s_delay_alu instid0(SALU_CYCLE_1)
	s_xor_b32 s1, exec_lo, s1
	s_cbranch_execz .LBB35_68
; %bb.63:
	s_and_saveexec_b32 s4, s3
	s_delay_alu instid0(SALU_CYCLE_1)
	s_xor_b32 s3, exec_lo, s4
	s_cbranch_execz .LBB35_66
; %bb.64:
	s_and_saveexec_b32 s4, s14
	s_delay_alu instid0(SALU_CYCLE_1)
	s_xor_b32 s4, exec_lo, s4
	s_cbranch_execnz .LBB35_84
.LBB35_65:
	s_or_b32 exec_lo, exec_lo, s4
	s_delay_alu instid0(SALU_CYCLE_1)
	s_and_b32 s2, s2, exec_lo
.LBB35_66:
	s_and_not1_saveexec_b32 s3, s3
	s_cbranch_execnz .LBB35_80
.LBB35_67:
	s_or_b32 exec_lo, exec_lo, s3
	s_delay_alu instid0(SALU_CYCLE_1)
	s_and_b32 s2, s2, exec_lo
.LBB35_68:
	s_and_not1_saveexec_b32 s1, s1
	s_cbranch_execnz .LBB35_76
.LBB35_69:
	s_or_b32 exec_lo, exec_lo, s1
	s_delay_alu instid0(SALU_CYCLE_1)
	s_and_b32 s1, s2, exec_lo
.LBB35_70:
	s_and_not1_saveexec_b32 s0, s0
	s_cbranch_execnz .LBB35_74
; %bb.71:
	s_or_b32 exec_lo, exec_lo, s0
	s_delay_alu instid0(SALU_CYCLE_1)
	s_and_b32 exec_lo, exec_lo, s1
.LBB35_72:
	; divergent unreachable
.LBB35_73:
	s_nop 0
	s_sendmsg sendmsg(MSG_DEALLOC_VGPRS)
	s_endpgm
.LBB35_74:
	s_cbranch_execnz .LBB35_78
; %bb.75:
	s_or_b32 s1, s1, exec_lo
	s_or_b32 exec_lo, exec_lo, s0
	s_delay_alu instid0(SALU_CYCLE_1)
	s_and_b32 exec_lo, exec_lo, s1
	s_cbranch_execnz .LBB35_72
	s_branch .LBB35_73
.LBB35_76:
	s_cbranch_execnz .LBB35_82
; %bb.77:
	s_or_b32 s2, s2, exec_lo
	s_branch .LBB35_69
.LBB35_78:
	s_trap 2
	s_sendmsg_rtn_b32 s0, sendmsg(MSG_RTN_GET_DOORBELL)
	s_mov_b32 ttmp2, m0
	s_waitcnt lgkmcnt(0)
	s_and_b32 s0, s0, 0x3ff
	s_delay_alu instid0(SALU_CYCLE_1) | instskip(NEXT) | instid1(SALU_CYCLE_1)
	s_bitset1_b32 s0, 10
	s_mov_b32 m0, s0
	s_sendmsg sendmsg(MSG_INTERRUPT)
	s_mov_b32 m0, ttmp2
.LBB35_79:                              ; =>This Inner Loop Header: Depth=1
	s_sethalt 5
	s_branch .LBB35_79
.LBB35_80:
	s_cbranch_execnz .LBB35_86
; %bb.81:
	s_or_b32 s2, s2, exec_lo
	s_branch .LBB35_67
.LBB35_82:
	s_trap 2
	s_sendmsg_rtn_b32 s0, sendmsg(MSG_RTN_GET_DOORBELL)
	s_mov_b32 ttmp2, m0
	s_waitcnt lgkmcnt(0)
	s_and_b32 s0, s0, 0x3ff
	s_delay_alu instid0(SALU_CYCLE_1) | instskip(NEXT) | instid1(SALU_CYCLE_1)
	s_bitset1_b32 s0, 10
	s_mov_b32 m0, s0
	s_sendmsg sendmsg(MSG_INTERRUPT)
	s_mov_b32 m0, ttmp2
.LBB35_83:                              ; =>This Inner Loop Header: Depth=1
	s_sethalt 5
	s_branch .LBB35_83
.LBB35_84:
	s_cbranch_execnz .LBB35_88
; %bb.85:
	s_mov_b32 s2, exec_lo
	s_branch .LBB35_65
.LBB35_86:
	s_trap 2
	s_sendmsg_rtn_b32 s0, sendmsg(MSG_RTN_GET_DOORBELL)
	s_mov_b32 ttmp2, m0
	s_waitcnt lgkmcnt(0)
	s_and_b32 s0, s0, 0x3ff
	s_delay_alu instid0(SALU_CYCLE_1) | instskip(NEXT) | instid1(SALU_CYCLE_1)
	s_bitset1_b32 s0, 10
	s_mov_b32 m0, s0
	s_sendmsg sendmsg(MSG_INTERRUPT)
	s_mov_b32 m0, ttmp2
.LBB35_87:                              ; =>This Inner Loop Header: Depth=1
	s_sethalt 5
	s_branch .LBB35_87
.LBB35_88:
	s_trap 2
	s_sendmsg_rtn_b32 s0, sendmsg(MSG_RTN_GET_DOORBELL)
	s_mov_b32 ttmp2, m0
	s_waitcnt lgkmcnt(0)
	s_and_b32 s0, s0, 0x3ff
	s_delay_alu instid0(SALU_CYCLE_1) | instskip(NEXT) | instid1(SALU_CYCLE_1)
	s_bitset1_b32 s0, 10
	s_mov_b32 m0, s0
	s_sendmsg sendmsg(MSG_INTERRUPT)
	s_mov_b32 m0, ttmp2
.LBB35_89:                              ; =>This Inner Loop Header: Depth=1
	s_sethalt 5
	s_branch .LBB35_89
	.section	.rodata,"a",@progbits
	.p2align	6, 0x0
	.amdhsa_kernel _ZN2at4cuda12_GLOBAL__N_121kernelPointwiseApply2IZNS_6native9templates4cuda28bernoulli_tensor_cuda_kernelIifEEvRKNS_10TensorBaseES9_NS_15PhiloxCudaStateEEUliRiSB_SB_SB_RKfSD_SD_SD_E_iSC_jLi1ELin1ELi4ELi512ELi2EEEvNS0_6detail10TensorInfoIT0_T2_EENSG_IT1_SI_EESI_T_
		.amdhsa_group_segment_fixed_size 0
		.amdhsa_private_segment_fixed_size 0
		.amdhsa_kernarg_size 728
		.amdhsa_user_sgpr_count 15
		.amdhsa_user_sgpr_dispatch_ptr 0
		.amdhsa_user_sgpr_queue_ptr 0
		.amdhsa_user_sgpr_kernarg_segment_ptr 1
		.amdhsa_user_sgpr_dispatch_id 0
		.amdhsa_user_sgpr_private_segment_size 0
		.amdhsa_wavefront_size32 1
		.amdhsa_uses_dynamic_stack 0
		.amdhsa_enable_private_segment 0
		.amdhsa_system_sgpr_workgroup_id_x 1
		.amdhsa_system_sgpr_workgroup_id_y 0
		.amdhsa_system_sgpr_workgroup_id_z 0
		.amdhsa_system_sgpr_workgroup_info 0
		.amdhsa_system_vgpr_workitem_id 0
		.amdhsa_next_free_vgpr 39
		.amdhsa_next_free_sgpr 41
		.amdhsa_reserve_vcc 1
		.amdhsa_float_round_mode_32 0
		.amdhsa_float_round_mode_16_64 0
		.amdhsa_float_denorm_mode_32 3
		.amdhsa_float_denorm_mode_16_64 3
		.amdhsa_dx10_clamp 1
		.amdhsa_ieee_mode 1
		.amdhsa_fp16_overflow 0
		.amdhsa_workgroup_processor_mode 1
		.amdhsa_memory_ordered 1
		.amdhsa_forward_progress 0
		.amdhsa_shared_vgpr_count 0
		.amdhsa_exception_fp_ieee_invalid_op 0
		.amdhsa_exception_fp_denorm_src 0
		.amdhsa_exception_fp_ieee_div_zero 0
		.amdhsa_exception_fp_ieee_overflow 0
		.amdhsa_exception_fp_ieee_underflow 0
		.amdhsa_exception_fp_ieee_inexact 0
		.amdhsa_exception_int_div_zero 0
	.end_amdhsa_kernel
	.section	.text._ZN2at4cuda12_GLOBAL__N_121kernelPointwiseApply2IZNS_6native9templates4cuda28bernoulli_tensor_cuda_kernelIifEEvRKNS_10TensorBaseES9_NS_15PhiloxCudaStateEEUliRiSB_SB_SB_RKfSD_SD_SD_E_iSC_jLi1ELin1ELi4ELi512ELi2EEEvNS0_6detail10TensorInfoIT0_T2_EENSG_IT1_SI_EESI_T_,"axG",@progbits,_ZN2at4cuda12_GLOBAL__N_121kernelPointwiseApply2IZNS_6native9templates4cuda28bernoulli_tensor_cuda_kernelIifEEvRKNS_10TensorBaseES9_NS_15PhiloxCudaStateEEUliRiSB_SB_SB_RKfSD_SD_SD_E_iSC_jLi1ELin1ELi4ELi512ELi2EEEvNS0_6detail10TensorInfoIT0_T2_EENSG_IT1_SI_EESI_T_,comdat
.Lfunc_end35:
	.size	_ZN2at4cuda12_GLOBAL__N_121kernelPointwiseApply2IZNS_6native9templates4cuda28bernoulli_tensor_cuda_kernelIifEEvRKNS_10TensorBaseES9_NS_15PhiloxCudaStateEEUliRiSB_SB_SB_RKfSD_SD_SD_E_iSC_jLi1ELin1ELi4ELi512ELi2EEEvNS0_6detail10TensorInfoIT0_T2_EENSG_IT1_SI_EESI_T_, .Lfunc_end35-_ZN2at4cuda12_GLOBAL__N_121kernelPointwiseApply2IZNS_6native9templates4cuda28bernoulli_tensor_cuda_kernelIifEEvRKNS_10TensorBaseES9_NS_15PhiloxCudaStateEEUliRiSB_SB_SB_RKfSD_SD_SD_E_iSC_jLi1ELin1ELi4ELi512ELi2EEEvNS0_6detail10TensorInfoIT0_T2_EENSG_IT1_SI_EESI_T_
                                        ; -- End function
	.section	.AMDGPU.csdata,"",@progbits
; Kernel info:
; codeLenInByte = 4272
; NumSgprs: 43
; NumVgprs: 39
; ScratchSize: 0
; MemoryBound: 0
; FloatMode: 240
; IeeeMode: 1
; LDSByteSize: 0 bytes/workgroup (compile time only)
; SGPRBlocks: 5
; VGPRBlocks: 4
; NumSGPRsForWavesPerEU: 43
; NumVGPRsForWavesPerEU: 39
; Occupancy: 16
; WaveLimiterHint : 1
; COMPUTE_PGM_RSRC2:SCRATCH_EN: 0
; COMPUTE_PGM_RSRC2:USER_SGPR: 15
; COMPUTE_PGM_RSRC2:TRAP_HANDLER: 0
; COMPUTE_PGM_RSRC2:TGID_X_EN: 1
; COMPUTE_PGM_RSRC2:TGID_Y_EN: 0
; COMPUTE_PGM_RSRC2:TGID_Z_EN: 0
; COMPUTE_PGM_RSRC2:TIDIG_COMP_CNT: 0
	.section	.text._ZN2at4cuda12_GLOBAL__N_121kernelPointwiseApply2IZNS_6native9templates4cuda28bernoulli_tensor_cuda_kernelIifEEvRKNS_10TensorBaseES9_NS_15PhiloxCudaStateEEUliRiSB_SB_SB_RKfSD_SD_SD_E_iSC_jLi2ELi1ELi4ELi512ELi2EEEvNS0_6detail10TensorInfoIT0_T2_EENSG_IT1_SI_EESI_T_,"axG",@progbits,_ZN2at4cuda12_GLOBAL__N_121kernelPointwiseApply2IZNS_6native9templates4cuda28bernoulli_tensor_cuda_kernelIifEEvRKNS_10TensorBaseES9_NS_15PhiloxCudaStateEEUliRiSB_SB_SB_RKfSD_SD_SD_E_iSC_jLi2ELi1ELi4ELi512ELi2EEEvNS0_6detail10TensorInfoIT0_T2_EENSG_IT1_SI_EESI_T_,comdat
	.globl	_ZN2at4cuda12_GLOBAL__N_121kernelPointwiseApply2IZNS_6native9templates4cuda28bernoulli_tensor_cuda_kernelIifEEvRKNS_10TensorBaseES9_NS_15PhiloxCudaStateEEUliRiSB_SB_SB_RKfSD_SD_SD_E_iSC_jLi2ELi1ELi4ELi512ELi2EEEvNS0_6detail10TensorInfoIT0_T2_EENSG_IT1_SI_EESI_T_ ; -- Begin function _ZN2at4cuda12_GLOBAL__N_121kernelPointwiseApply2IZNS_6native9templates4cuda28bernoulli_tensor_cuda_kernelIifEEvRKNS_10TensorBaseES9_NS_15PhiloxCudaStateEEUliRiSB_SB_SB_RKfSD_SD_SD_E_iSC_jLi2ELi1ELi4ELi512ELi2EEEvNS0_6detail10TensorInfoIT0_T2_EENSG_IT1_SI_EESI_T_
	.p2align	8
	.type	_ZN2at4cuda12_GLOBAL__N_121kernelPointwiseApply2IZNS_6native9templates4cuda28bernoulli_tensor_cuda_kernelIifEEvRKNS_10TensorBaseES9_NS_15PhiloxCudaStateEEUliRiSB_SB_SB_RKfSD_SD_SD_E_iSC_jLi2ELi1ELi4ELi512ELi2EEEvNS0_6detail10TensorInfoIT0_T2_EENSG_IT1_SI_EESI_T_,@function
_ZN2at4cuda12_GLOBAL__N_121kernelPointwiseApply2IZNS_6native9templates4cuda28bernoulli_tensor_cuda_kernelIifEEvRKNS_10TensorBaseES9_NS_15PhiloxCudaStateEEUliRiSB_SB_SB_RKfSD_SD_SD_E_iSC_jLi2ELi1ELi4ELi512ELi2EEEvNS0_6detail10TensorInfoIT0_T2_EENSG_IT1_SI_EESI_T_: ; @_ZN2at4cuda12_GLOBAL__N_121kernelPointwiseApply2IZNS_6native9templates4cuda28bernoulli_tensor_cuda_kernelIifEEvRKNS_10TensorBaseES9_NS_15PhiloxCudaStateEEUliRiSB_SB_SB_RKfSD_SD_SD_E_iSC_jLi2ELi1ELi4ELi512ELi2EEEvNS0_6detail10TensorInfoIT0_T2_EENSG_IT1_SI_EESI_T_
; %bb.0:
	s_clause 0x1
	s_load_b32 s4, s[0:1], 0x1e4
	s_load_b32 s16, s[0:1], 0x1b0
	s_add_u32 s2, s0, 0x1d8
	s_addc_u32 s3, s1, 0
	s_waitcnt lgkmcnt(0)
	s_and_b32 s20, s4, 0xffff
	s_mov_b32 s4, exec_lo
	v_mad_u64_u32 v[1:2], null, s15, s20, v[0:1]
	s_delay_alu instid0(VALU_DEP_1) | instskip(NEXT) | instid1(VALU_DEP_1)
	v_lshlrev_b32_e32 v0, 2, v1
	v_cmpx_gt_u32_e64 s16, v0
	s_cbranch_execz .LBB36_59
; %bb.1:
	s_clause 0x4
	s_load_b32 s17, s[0:1], 0xc
	s_load_b64 s[8:9], s[0:1], 0x6c
	s_load_b64 s[10:11], s[0:1], 0xd8
	s_load_b32 s4, s[0:1], 0x1d0
	s_load_b32 s23, s[0:1], 0x144
	;; [unrolled: 1-line block ×3, first 2 shown]
	s_clause 0x1
	s_load_b64 s[12:13], s[0:1], 0x0
	s_load_b64 s[14:15], s[0:1], 0x1c8
	v_add_nc_u32_e32 v8, 3, v0
	v_sub_nc_u32_e32 v31, s16, v0
	s_mov_b32 s22, 0
	s_mov_b32 s25, 0
                                        ; implicit-def: $sgpr24
                                        ; implicit-def: $sgpr27
                                        ; implicit-def: $sgpr26
                                        ; implicit-def: $sgpr28
                                        ; implicit-def: $sgpr30
                                        ; implicit-def: $sgpr29
                                        ; implicit-def: $sgpr31
	v_add_nc_u32_e32 v7, 2, v0
	s_waitcnt lgkmcnt(0)
	v_cvt_f32_u32_e32 v2, s17
	s_bitcmp1_b32 s4, 0
	s_load_b128 s[4:7], s[0:1], 0x1b8
	s_delay_alu instid0(VALU_DEP_1)
	v_rcp_iflag_f32_e32 v2, v2
	s_cselect_b32 s18, -1, 0
	s_sub_i32 s19, 0, s17
	v_mul_lo_u32 v30, v0, s23
	v_mul_lo_u32 v34, s23, v8
	s_mul_i32 s2, s2, s20
	v_mov_b32_e32 v4, 0
	s_lshl_b32 s21, s2, 2
                                        ; implicit-def: $sgpr20
	v_mul_lo_u32 v33, s23, v7
	s_waitcnt_depctr 0xfff
	v_mul_f32_e32 v2, 0x4f7ffffe, v2
	v_add_nc_u32_e32 v35, s23, v30
	s_mul_i32 s23, s21, s23
	s_delay_alu instid0(VALU_DEP_2) | instskip(SKIP_1) | instid1(VALU_DEP_2)
	v_cvt_u32_f32_e32 v5, v2
	v_mad_u64_u32 v[2:3], null, 0xcd9e8d57, v1, 0
	v_mul_lo_u32 v6, s19, v5
	s_delay_alu instid0(VALU_DEP_2) | instskip(NEXT) | instid1(VALU_DEP_2)
	v_mov_b32_e32 v32, v3
	v_mul_hi_u32 v6, v5, v6
	s_delay_alu instid0(VALU_DEP_1)
	v_add_nc_u32_e32 v36, v5, v6
	s_branch .LBB36_3
.LBB36_2:                               ;   in Loop: Header=BB36_3 Depth=1
	s_or_b32 exec_lo, exec_lo, s1
	s_delay_alu instid0(SALU_CYCLE_1) | instskip(NEXT) | instid1(SALU_CYCLE_1)
	s_and_b32 s0, exec_lo, s0
	s_or_b32 s22, s0, s22
	s_and_not1_b32 s0, s20, exec_lo
	s_and_b32 s1, s31, exec_lo
	s_and_not1_b32 s2, s26, exec_lo
	s_and_b32 s3, s29, exec_lo
	s_or_b32 s20, s0, s1
	s_or_b32 s26, s2, s3
	s_and_not1_b32 s0, s27, exec_lo
	s_and_b32 s1, s30, exec_lo
	s_and_not1_b32 s2, s24, exec_lo
	s_and_b32 s3, s28, exec_lo
	s_or_b32 s27, s0, s1
	s_or_b32 s24, s2, s3
	s_and_not1_b32 exec_lo, exec_lo, s22
	s_cbranch_execz .LBB36_47
.LBB36_3:                               ; =>This Inner Loop Header: Depth=1
	v_mov_b32_e32 v7, 0
	v_mov_b32_e32 v8, 0
	v_cmp_lt_i32_e32 vcc_lo, 0, v31
	s_delay_alu instid0(VALU_DEP_2)
	v_dual_mov_b32 v5, v7 :: v_dual_mov_b32 v6, v8
	s_and_saveexec_b32 s1, vcc_lo
	s_cbranch_execz .LBB36_5
; %bb.4:                                ;   in Loop: Header=BB36_3 Depth=1
	v_mul_hi_u32 v3, v36, v0
	s_delay_alu instid0(VALU_DEP_1) | instskip(SKIP_2) | instid1(VALU_DEP_3)
	v_not_b32_e32 v11, v3
	v_mad_u64_u32 v[5:6], null, s19, v3, v[0:1]
	v_add_nc_u32_e32 v6, 1, v3
	v_mad_u64_u32 v[9:10], null, s17, v11, v[0:1]
	s_delay_alu instid0(VALU_DEP_3) | instskip(NEXT) | instid1(VALU_DEP_1)
	v_cmp_le_u32_e64 s0, s17, v5
	v_cndmask_b32_e64 v3, v3, v6, s0
	s_delay_alu instid0(VALU_DEP_3) | instskip(NEXT) | instid1(VALU_DEP_2)
	v_cndmask_b32_e64 v5, v5, v9, s0
	v_add_nc_u32_e32 v6, 1, v3
	s_delay_alu instid0(VALU_DEP_2) | instskip(NEXT) | instid1(VALU_DEP_1)
	v_cmp_le_u32_e64 s0, s17, v5
	v_cndmask_b32_e64 v9, v3, v6, s0
	s_delay_alu instid0(VALU_DEP_1) | instskip(NEXT) | instid1(VALU_DEP_1)
	v_mad_u64_u32 v[5:6], null, s19, v9, v[0:1]
	v_mul_lo_u32 v3, v5, s9
	s_delay_alu instid0(VALU_DEP_1)
	v_mad_u64_u32 v[5:6], null, v9, s8, v[3:4]
	v_mov_b32_e32 v6, v4
.LBB36_5:                               ;   in Loop: Header=BB36_3 Depth=1
	s_or_b32 exec_lo, exec_lo, s1
	v_cmp_lt_i32_e64 s0, 1, v31
	s_delay_alu instid0(VALU_DEP_1)
	s_and_saveexec_b32 s2, s0
	s_cbranch_execz .LBB36_7
; %bb.6:                                ;   in Loop: Header=BB36_3 Depth=1
	v_add_nc_u32_e32 v3, 1, v0
	s_delay_alu instid0(VALU_DEP_1) | instskip(NEXT) | instid1(VALU_DEP_1)
	v_mul_hi_u32 v7, v3, v36
	v_mul_lo_u32 v8, v7, s17
	v_add_nc_u32_e32 v9, 1, v7
	s_delay_alu instid0(VALU_DEP_2) | instskip(NEXT) | instid1(VALU_DEP_1)
	v_sub_nc_u32_e32 v8, v3, v8
	v_subrev_nc_u32_e32 v10, s17, v8
	v_cmp_le_u32_e64 s1, s17, v8
	s_delay_alu instid0(VALU_DEP_1) | instskip(NEXT) | instid1(VALU_DEP_3)
	v_cndmask_b32_e64 v7, v7, v9, s1
	v_cndmask_b32_e64 v8, v8, v10, s1
	s_delay_alu instid0(VALU_DEP_2) | instskip(NEXT) | instid1(VALU_DEP_2)
	v_add_nc_u32_e32 v9, 1, v7
	v_cmp_le_u32_e64 s1, s17, v8
	s_delay_alu instid0(VALU_DEP_1) | instskip(NEXT) | instid1(VALU_DEP_1)
	v_cndmask_b32_e64 v9, v7, v9, s1
	v_mul_lo_u32 v7, v9, s17
	s_delay_alu instid0(VALU_DEP_1) | instskip(NEXT) | instid1(VALU_DEP_1)
	v_sub_nc_u32_e32 v3, v3, v7
	v_mul_lo_u32 v3, v3, s9
	s_delay_alu instid0(VALU_DEP_1)
	v_mad_u64_u32 v[7:8], null, v9, s8, v[3:4]
	v_mov_b32_e32 v8, v4
.LBB36_7:                               ;   in Loop: Header=BB36_3 Depth=1
	s_or_b32 exec_lo, exec_lo, s2
	v_mov_b32_e32 v11, 0
	v_mov_b32_e32 v12, 0
	v_cmp_lt_i32_e64 s1, 2, v31
	s_delay_alu instid0(VALU_DEP_2) | instskip(NEXT) | instid1(VALU_DEP_2)
	v_dual_mov_b32 v9, v11 :: v_dual_mov_b32 v10, v12
	s_and_saveexec_b32 s3, s1
	s_cbranch_execz .LBB36_9
; %bb.8:                                ;   in Loop: Header=BB36_3 Depth=1
	v_add_nc_u32_e32 v3, 2, v0
	s_delay_alu instid0(VALU_DEP_1) | instskip(NEXT) | instid1(VALU_DEP_1)
	v_mul_hi_u32 v9, v3, v36
	v_mul_lo_u32 v10, v9, s17
	v_add_nc_u32_e32 v13, 1, v9
	s_delay_alu instid0(VALU_DEP_2) | instskip(NEXT) | instid1(VALU_DEP_1)
	v_sub_nc_u32_e32 v10, v3, v10
	v_subrev_nc_u32_e32 v14, s17, v10
	v_cmp_le_u32_e64 s2, s17, v10
	s_delay_alu instid0(VALU_DEP_1) | instskip(NEXT) | instid1(VALU_DEP_3)
	v_cndmask_b32_e64 v9, v9, v13, s2
	v_cndmask_b32_e64 v10, v10, v14, s2
	s_delay_alu instid0(VALU_DEP_2) | instskip(NEXT) | instid1(VALU_DEP_2)
	v_add_nc_u32_e32 v13, 1, v9
	v_cmp_le_u32_e64 s2, s17, v10
	s_delay_alu instid0(VALU_DEP_1) | instskip(NEXT) | instid1(VALU_DEP_1)
	v_cndmask_b32_e64 v13, v9, v13, s2
	v_mul_lo_u32 v9, v13, s17
	s_delay_alu instid0(VALU_DEP_1) | instskip(NEXT) | instid1(VALU_DEP_1)
	v_sub_nc_u32_e32 v3, v3, v9
	v_mul_lo_u32 v3, v3, s9
	s_delay_alu instid0(VALU_DEP_1)
	v_mad_u64_u32 v[9:10], null, v13, s8, v[3:4]
	v_mov_b32_e32 v10, v4
.LBB36_9:                               ;   in Loop: Header=BB36_3 Depth=1
	s_or_b32 exec_lo, exec_lo, s3
	v_cmp_lt_i32_e64 s2, 3, v31
	s_delay_alu instid0(VALU_DEP_1)
	s_and_saveexec_b32 s33, s2
	s_cbranch_execz .LBB36_11
; %bb.10:                               ;   in Loop: Header=BB36_3 Depth=1
	v_add_nc_u32_e32 v3, 3, v0
	s_delay_alu instid0(VALU_DEP_1) | instskip(NEXT) | instid1(VALU_DEP_1)
	v_mul_hi_u32 v11, v3, v36
	v_mul_lo_u32 v12, v11, s17
	v_add_nc_u32_e32 v13, 1, v11
	s_delay_alu instid0(VALU_DEP_2) | instskip(NEXT) | instid1(VALU_DEP_1)
	v_sub_nc_u32_e32 v12, v3, v12
	v_subrev_nc_u32_e32 v14, s17, v12
	v_cmp_le_u32_e64 s3, s17, v12
	s_delay_alu instid0(VALU_DEP_1) | instskip(NEXT) | instid1(VALU_DEP_3)
	v_cndmask_b32_e64 v11, v11, v13, s3
	v_cndmask_b32_e64 v12, v12, v14, s3
	s_delay_alu instid0(VALU_DEP_2) | instskip(NEXT) | instid1(VALU_DEP_2)
	v_add_nc_u32_e32 v13, 1, v11
	v_cmp_le_u32_e64 s3, s17, v12
	s_delay_alu instid0(VALU_DEP_1) | instskip(NEXT) | instid1(VALU_DEP_1)
	v_cndmask_b32_e64 v13, v11, v13, s3
	v_mul_lo_u32 v11, v13, s17
	s_delay_alu instid0(VALU_DEP_1) | instskip(NEXT) | instid1(VALU_DEP_1)
	v_sub_nc_u32_e32 v3, v3, v11
	v_mul_lo_u32 v3, v3, s9
	s_delay_alu instid0(VALU_DEP_1)
	v_mad_u64_u32 v[11:12], null, v13, s8, v[3:4]
	v_mov_b32_e32 v12, v4
.LBB36_11:                              ;   in Loop: Header=BB36_3 Depth=1
	s_or_b32 exec_lo, exec_lo, s33
	v_add_nc_u32_e32 v3, s25, v30
	v_add_nc_u32_e32 v15, s25, v35
	;; [unrolled: 1-line block ×4, first 2 shown]
	s_delay_alu instid0(VALU_DEP_4) | instskip(NEXT) | instid1(VALU_DEP_1)
	v_cndmask_b32_e32 v3, 0, v3, vcc_lo
	v_lshlrev_b64 v[13:14], 2, v[3:4]
	v_cndmask_b32_e64 v3, 0, v15, s0
	s_delay_alu instid0(VALU_DEP_1) | instskip(SKIP_1) | instid1(VALU_DEP_4)
	v_lshlrev_b64 v[15:16], 2, v[3:4]
	v_cndmask_b32_e64 v3, 0, v17, s1
	v_add_co_u32 v13, vcc_lo, s10, v13
	v_add_co_ci_u32_e32 v14, vcc_lo, s11, v14, vcc_lo
	s_delay_alu instid0(VALU_DEP_3) | instskip(SKIP_3) | instid1(VALU_DEP_3)
	v_lshlrev_b64 v[17:18], 2, v[3:4]
	v_cndmask_b32_e64 v3, 0, v19, s2
	v_add_co_u32 v15, vcc_lo, s10, v15
	v_add_co_ci_u32_e32 v16, vcc_lo, s11, v16, vcc_lo
	v_lshlrev_b64 v[19:20], 2, v[3:4]
	v_add_co_u32 v17, vcc_lo, s10, v17
	v_add_co_ci_u32_e32 v18, vcc_lo, s11, v18, vcc_lo
	s_delay_alu instid0(VALU_DEP_3) | instskip(NEXT) | instid1(VALU_DEP_4)
	v_add_co_u32 v19, vcc_lo, s10, v19
	v_add_co_ci_u32_e32 v20, vcc_lo, s11, v20, vcc_lo
	s_clause 0x3
	global_load_b32 v3, v[13:14], off
	global_load_b32 v37, v[15:16], off
	;; [unrolled: 1-line block ×4, first 2 shown]
	s_waitcnt lgkmcnt(0)
	v_mov_b32_e32 v20, s5
	v_dual_mov_b32 v18, s7 :: v_dual_mov_b32 v17, s6
	v_mov_b32_e32 v19, s4
	s_and_not1_b32 vcc_lo, exec_lo, s18
	s_cbranch_vccnz .LBB36_13
; %bb.12:                               ;   in Loop: Header=BB36_3 Depth=1
	v_dual_mov_b32 v14, s7 :: v_dual_mov_b32 v13, s6
	v_dual_mov_b32 v16, s5 :: v_dual_mov_b32 v15, s4
	flat_load_b64 v[13:14], v[13:14]
	flat_load_b64 v[19:20], v[15:16]
	s_waitcnt vmcnt(1) lgkmcnt(1)
	v_add_co_u32 v17, vcc_lo, v13, s14
	v_add_co_ci_u32_e32 v18, vcc_lo, s15, v14, vcc_lo
.LBB36_13:                              ;   in Loop: Header=BB36_3 Depth=1
	s_delay_alu instid0(VALU_DEP_1)
	v_alignbit_b32 v16, v18, v17, 2
	v_lshrrev_b32_e32 v15, 2, v18
	s_waitcnt vmcnt(0) lgkmcnt(0)
	v_add_nc_u32_e32 v41, 0xbb67ae85, v20
	v_add_nc_u32_e32 v42, 0x76cf5d0a, v20
	;; [unrolled: 1-line block ×3, first 2 shown]
	v_add_co_u32 v18, vcc_lo, v16, 1
	s_delay_alu instid0(VALU_DEP_1) | instskip(SKIP_4) | instid1(VALU_DEP_4)
	v_cndmask_b32_e64 v13, 0, 1, vcc_lo
	v_add_co_ci_u32_e32 v27, vcc_lo, 0, v15, vcc_lo
	v_xor3_b32 v23, v32, v19, v15
	v_add_nc_u32_e32 v44, 0x32370b8f, v20
	v_add_nc_u32_e32 v45, 0xed9eba14, v20
	v_cmp_eq_u32_e32 vcc_lo, 0, v27
	v_add_nc_u32_e32 v46, 0x1715609d, v19
	v_add_nc_u32_e32 v47, 0xa9066899, v20
	s_mov_b32 s0, exec_lo
	v_dual_cndmask_b32 v21, 0, v13 :: v_dual_add_nc_u32 v40, 0x9e3779b9, v19
	v_mad_u64_u32 v[13:14], null, 0xd2511f53, v18, 0
	s_delay_alu instid0(VALU_DEP_2) | instskip(NEXT) | instid1(VALU_DEP_2)
	v_add_nc_u32_e32 v18, v21, v1
	v_xor_b32_e32 v22, v14, v20
	s_delay_alu instid0(VALU_DEP_2) | instskip(SKIP_2) | instid1(VALU_DEP_1)
	v_cmp_eq_u32_e32 vcc_lo, 0, v18
	v_mad_u64_u32 v[14:15], null, 0xd2511f53, v16, 0
	v_cndmask_b32_e32 v21, 0, v21, vcc_lo
	v_xor_b32_e32 v16, v21, v22
	v_mad_u64_u32 v[21:22], null, 0xd2511f53, v23, 0
	v_mad_u64_u32 v[23:24], null, 0xcd9e8d57, v18, 0
	v_add_nc_u32_e32 v18, 0x3c6ef372, v19
	s_delay_alu instid0(VALU_DEP_4) | instskip(SKIP_2) | instid1(VALU_DEP_2)
	v_mad_u64_u32 v[25:26], null, 0xcd9e8d57, v16, 0
	v_xor_b32_e32 v16, v15, v20
	v_xor3_b32 v28, v41, v22, v14
	v_mad_u64_u32 v[14:15], null, 0xcd9e8d57, v16, 0
	v_xor3_b32 v16, v24, v19, v27
	v_xor3_b32 v24, v40, v26, v23
	s_delay_alu instid0(VALU_DEP_4) | instskip(NEXT) | instid1(VALU_DEP_3)
	v_mad_u64_u32 v[22:23], null, 0xcd9e8d57, v28, 0
	v_mad_u64_u32 v[26:27], null, 0xd2511f53, v16, 0
	s_delay_alu instid0(VALU_DEP_3) | instskip(SKIP_1) | instid1(VALU_DEP_4)
	v_mad_u64_u32 v[28:29], null, 0xd2511f53, v24, 0
	v_xor3_b32 v16, v2, v15, v40
	v_xor3_b32 v40, v18, v23, v14
	s_delay_alu instid0(VALU_DEP_4) | instskip(NEXT) | instid1(VALU_DEP_3)
	v_xor3_b32 v13, v41, v27, v13
	v_mad_u64_u32 v[14:15], null, 0xd2511f53, v16, 0
	v_xor3_b32 v16, v42, v29, v26
	s_delay_alu instid0(VALU_DEP_4) | instskip(NEXT) | instid1(VALU_DEP_4)
	v_mad_u64_u32 v[23:24], null, 0xd2511f53, v40, 0
	v_mad_u64_u32 v[26:27], null, 0xcd9e8d57, v13, 0
	s_delay_alu instid0(VALU_DEP_3) | instskip(SKIP_4) | instid1(VALU_DEP_4)
	v_mad_u64_u32 v[40:41], null, 0xcd9e8d57, v16, 0
	v_xor3_b32 v15, v42, v15, v21
	v_add_nc_u32_e32 v29, 0x78dde6e4, v19
	v_xor3_b32 v21, v44, v24, v14
	v_xor3_b32 v18, v18, v27, v25
	v_mad_u64_u32 v[13:14], null, 0xcd9e8d57, v15, 0
	v_xor3_b32 v41, v43, v41, v26
	s_delay_alu instid0(VALU_DEP_4) | instskip(NEXT) | instid1(VALU_DEP_4)
	v_mad_u64_u32 v[15:16], null, 0xcd9e8d57, v21, 0
	v_mad_u64_u32 v[24:25], null, 0xd2511f53, v18, 0
	s_delay_alu instid0(VALU_DEP_3) | instskip(SKIP_1) | instid1(VALU_DEP_4)
	v_mad_u64_u32 v[26:27], null, 0xd2511f53, v41, 0
	v_xor3_b32 v18, v43, v14, v22
	v_xor3_b32 v16, v29, v16, v13
	s_delay_alu instid0(VALU_DEP_2) | instskip(SKIP_2) | instid1(VALU_DEP_4)
	v_mad_u64_u32 v[13:14], null, 0xd2511f53, v18, 0
	v_xor3_b32 v18, v44, v25, v28
	v_xor3_b32 v24, v45, v27, v24
	v_mad_u64_u32 v[27:28], null, 0xd2511f53, v16, 0
	s_delay_alu instid0(VALU_DEP_3) | instskip(NEXT) | instid1(VALU_DEP_3)
	v_mad_u64_u32 v[21:22], null, 0xcd9e8d57, v18, 0
	v_mad_u64_u32 v[41:42], null, 0xcd9e8d57, v24, 0
	v_xor3_b32 v16, v45, v14, v23
	s_delay_alu instid0(VALU_DEP_4) | instskip(SKIP_2) | instid1(VALU_DEP_4)
	v_xor3_b32 v24, v47, v28, v13
	v_add_nc_u32_e32 v18, 0xb54cda56, v19
	v_add_nc_u32_e32 v23, 0x646e171e, v20
	v_mad_u64_u32 v[13:14], null, 0xcd9e8d57, v16, 0
	v_xor3_b32 v16, v29, v22, v40
	v_xor3_b32 v25, v46, v42, v21
	v_mad_u64_u32 v[42:43], null, 0xcd9e8d57, v24, 0
	v_add_nc_u32_e32 v29, 0x5384540f, v19
	s_delay_alu instid0(VALU_DEP_4) | instskip(NEXT) | instid1(VALU_DEP_4)
	v_mad_u64_u32 v[21:22], null, 0xd2511f53, v16, 0
	v_mad_u64_u32 v[44:45], null, 0xd2511f53, v25, 0
	v_xor3_b32 v15, v46, v14, v15
	v_xor3_b32 v16, v18, v43, v13
	v_add_nc_u32_e32 v46, 0x1fd5c5a3, v20
	v_add_co_u32 v40, null, 0xf1bbcdc8, v19
	v_xor3_b32 v24, v47, v22, v26
	v_xor3_b32 v26, v23, v45, v21
	v_mad_u64_u32 v[13:14], null, 0xd2511f53, v15, 0
	v_mad_u64_u32 v[21:22], null, 0xd2511f53, v16, 0
	s_delay_alu instid0(VALU_DEP_4) | instskip(NEXT) | instid1(VALU_DEP_4)
	v_mad_u64_u32 v[15:16], null, 0xcd9e8d57, v24, 0
	v_mad_u64_u32 v[24:25], null, 0xcd9e8d57, v26, 0
	s_delay_alu instid0(VALU_DEP_4) | instskip(NEXT) | instid1(VALU_DEP_4)
	v_xor3_b32 v23, v23, v14, v27
	v_xor3_b32 v26, v46, v22, v13
	s_delay_alu instid0(VALU_DEP_4) | instskip(NEXT) | instid1(VALU_DEP_3)
	v_xor3_b32 v18, v18, v16, v41
	v_mad_u64_u32 v[13:14], null, 0xcd9e8d57, v23, 0
	v_xor3_b32 v25, v29, v25, v15
	s_delay_alu instid0(VALU_DEP_4) | instskip(NEXT) | instid1(VALU_DEP_4)
	v_mad_u64_u32 v[22:23], null, 0xcd9e8d57, v26, 0
	v_mad_u64_u32 v[15:16], null, 0xd2511f53, v18, 0
	s_delay_alu instid0(VALU_DEP_3)
	v_mad_u64_u32 v[27:28], null, 0xd2511f53, v25, 0
	v_add_nc_u32_e32 v41, 0xdb3d7428, v20
	v_xor3_b32 v14, v29, v14, v42
	v_xor3_b32 v18, v40, v23, v13
	v_add_nc_u32_e32 v42, 0x96a522ad, v20
	v_xor3_b32 v16, v46, v16, v44
	v_and_b32_e32 v20, 3, v17
	v_xor3_b32 v23, v41, v28, v15
	v_mad_u64_u32 v[25:26], null, 0xd2511f53, v14, 0
	v_mad_u64_u32 v[13:14], null, 0xd2511f53, v18, 0
	;; [unrolled: 1-line block ×3, first 2 shown]
	s_delay_alu instid0(VALU_DEP_4) | instskip(SKIP_1) | instid1(VALU_DEP_4)
	v_mad_u64_u32 v[15:16], null, 0xcd9e8d57, v23, 0
	v_add_nc_u32_e32 v23, 0x8ff34781, v19
                                        ; implicit-def: $vgpr18
	v_xor3_b32 v19, v14, v25, v42
	s_delay_alu instid0(VALU_DEP_2)
	v_xor3_b32 v14, v16, v28, v23
	v_cmpx_lt_i32_e32 1, v20
	s_xor_b32 s0, exec_lo, s0
	s_cbranch_execz .LBB36_19
; %bb.14:                               ;   in Loop: Header=BB36_3 Depth=1
	s_mov_b32 s1, exec_lo
                                        ; implicit-def: $vgpr18
	v_cmpx_lt_i32_e32 2, v20
	s_xor_b32 s1, exec_lo, s1
; %bb.15:                               ;   in Loop: Header=BB36_3 Depth=1
	v_xor3_b32 v16, v40, v29, v24
                                        ; implicit-def: $vgpr19
	s_delay_alu instid0(VALU_DEP_1) | instskip(NEXT) | instid1(VALU_DEP_1)
	v_mul_hi_u32 v16, 0xd2511f53, v16
	v_xor3_b32 v18, v16, v27, v42
; %bb.16:                               ;   in Loop: Header=BB36_3 Depth=1
	s_and_not1_saveexec_b32 s1, s1
; %bb.17:                               ;   in Loop: Header=BB36_3 Depth=1
	v_dual_mov_b32 v18, v15 :: v_dual_mov_b32 v15, v14
	v_dual_mov_b32 v14, v13 :: v_dual_mov_b32 v13, v19
; %bb.18:                               ;   in Loop: Header=BB36_3 Depth=1
	s_or_b32 exec_lo, exec_lo, s1
                                        ; implicit-def: $vgpr21_vgpr22
                                        ; implicit-def: $vgpr20
                                        ; implicit-def: $vgpr19
                                        ; implicit-def: $vgpr41
                                        ; implicit-def: $vgpr25_vgpr26
                                        ; implicit-def: $vgpr22_vgpr23
                                        ; implicit-def: $vgpr23
.LBB36_19:                              ;   in Loop: Header=BB36_3 Depth=1
	s_and_not1_saveexec_b32 s0, s0
	s_cbranch_execz .LBB36_23
; %bb.20:                               ;   in Loop: Header=BB36_3 Depth=1
	v_xor3_b32 v15, v41, v26, v21
	v_cmp_eq_u32_e32 vcc_lo, 1, v20
	v_mov_b32_e32 v18, v13
	s_delay_alu instid0(VALU_DEP_3) | instskip(SKIP_1) | instid1(VALU_DEP_2)
	v_mad_u64_u32 v[16:17], null, 0xcd9e8d57, v15, 0
	v_mov_b32_e32 v15, v19
	v_xor3_b32 v20, v17, v22, v23
	s_delay_alu instid0(VALU_DEP_3)
	v_mov_b32_e32 v17, v16
	s_and_saveexec_b32 s1, vcc_lo
; %bb.21:                               ;   in Loop: Header=BB36_3 Depth=1
	v_dual_mov_b32 v18, v14 :: v_dual_mov_b32 v15, v13
	v_dual_mov_b32 v17, v19 :: v_dual_mov_b32 v20, v16
; %bb.22:                               ;   in Loop: Header=BB36_3 Depth=1
	s_or_b32 exec_lo, exec_lo, s1
	s_delay_alu instid0(VALU_DEP_1)
	v_dual_mov_b32 v13, v20 :: v_dual_mov_b32 v14, v17
.LBB36_23:                              ;   in Loop: Header=BB36_3 Depth=1
	s_or_b32 exec_lo, exec_lo, s0
	v_min_i32_e32 v16, 4, v31
	s_mov_b32 s1, 0
	s_mov_b32 s36, 0
                                        ; implicit-def: $sgpr2
                                        ; implicit-def: $sgpr3
                                        ; implicit-def: $sgpr33
	s_mov_b32 s0, exec_lo
	s_delay_alu instid0(VALU_DEP_1)
	v_cmpx_lt_i32_e32 2, v16
	s_xor_b32 s34, exec_lo, s0
	s_cbranch_execz .LBB36_33
; %bb.24:                               ;   in Loop: Header=BB36_3 Depth=1
	s_mov_b32 s33, -1
	s_mov_b32 s3, exec_lo
                                        ; implicit-def: $sgpr2
                                        ; implicit-def: $sgpr35
	v_cmpx_lt_i32_e32 3, v16
	s_cbranch_execz .LBB36_28
; %bb.25:                               ;   in Loop: Header=BB36_3 Depth=1
	v_cmp_le_f32_e32 vcc_lo, 0, v39
	v_cmp_ge_f32_e64 s0, 1.0, v39
	s_mov_b32 s2, 0
	s_delay_alu instid0(VALU_DEP_1)
	s_and_b32 s35, vcc_lo, s0
	s_mov_b32 s0, 0
	s_and_saveexec_b32 s33, s35
	s_cbranch_execz .LBB36_27
; %bb.26:                               ;   in Loop: Header=BB36_3 Depth=1
	v_cvt_f32_u32_e32 v17, v18
	v_lshlrev_b64 v[11:12], 2, v[11:12]
	s_mov_b32 s0, exec_lo
	s_delay_alu instid0(VALU_DEP_2) | instskip(NEXT) | instid1(VALU_DEP_2)
	v_fmaak_f32 v17, 0x2f800000, v17, 0x2f800000
	v_add_co_u32 v11, vcc_lo, s12, v11
	s_delay_alu instid0(VALU_DEP_3) | instskip(NEXT) | instid1(VALU_DEP_3)
	v_add_co_ci_u32_e32 v12, vcc_lo, s13, v12, vcc_lo
	v_cmp_le_f32_e32 vcc_lo, v17, v39
	v_cndmask_b32_e64 v17, 0, 1, vcc_lo
	global_store_b32 v[11:12], v17, off
.LBB36_27:                              ;   in Loop: Header=BB36_3 Depth=1
	s_or_b32 exec_lo, exec_lo, s33
	s_mov_b32 s35, -1
	s_or_not1_b32 s33, s0, exec_lo
.LBB36_28:                              ;   in Loop: Header=BB36_3 Depth=1
	s_or_b32 exec_lo, exec_lo, s3
	s_mov_b32 s0, 0
	s_mov_b32 s36, s2
	s_and_saveexec_b32 s3, s33
	s_cbranch_execz .LBB36_32
; %bb.29:                               ;   in Loop: Header=BB36_3 Depth=1
	v_cmp_le_f32_e32 vcc_lo, 0, v38
	v_cmp_ge_f32_e64 s0, 1.0, v38
	s_delay_alu instid0(VALU_DEP_1) | instskip(SKIP_2) | instid1(SALU_CYCLE_1)
	s_and_b32 s33, vcc_lo, s0
	s_mov_b32 s0, 0
	s_and_saveexec_b32 s36, s33
	s_xor_b32 s33, exec_lo, s36
	s_cbranch_execz .LBB36_31
; %bb.30:                               ;   in Loop: Header=BB36_3 Depth=1
	v_cvt_f32_u32_e32 v11, v15
	v_lshlrev_b64 v[9:10], 2, v[9:10]
	s_mov_b32 s0, exec_lo
	s_delay_alu instid0(VALU_DEP_2) | instskip(NEXT) | instid1(VALU_DEP_2)
	v_fmaak_f32 v11, 0x2f800000, v11, 0x2f800000
	v_add_co_u32 v9, vcc_lo, s12, v9
	s_delay_alu instid0(VALU_DEP_3) | instskip(NEXT) | instid1(VALU_DEP_3)
	v_add_co_ci_u32_e32 v10, vcc_lo, s13, v10, vcc_lo
	v_cmp_le_f32_e32 vcc_lo, v11, v38
	v_cndmask_b32_e64 v11, 0, 1, vcc_lo
	global_store_b32 v[9:10], v11, off
.LBB36_31:                              ;   in Loop: Header=BB36_3 Depth=1
	s_or_b32 exec_lo, exec_lo, s33
	s_delay_alu instid0(SALU_CYCLE_1)
	s_and_not1_b32 s36, s2, exec_lo
	s_or_b32 s2, s2, exec_lo
	s_and_not1_b32 s35, s35, exec_lo
	s_and_b32 s0, s0, exec_lo
.LBB36_32:                              ;   in Loop: Header=BB36_3 Depth=1
	s_or_b32 exec_lo, exec_lo, s3
	s_delay_alu instid0(SALU_CYCLE_1)
	s_and_b32 s33, s36, exec_lo
	s_and_b32 s3, s2, exec_lo
	;; [unrolled: 1-line block ×4, first 2 shown]
.LBB36_33:                              ;   in Loop: Header=BB36_3 Depth=1
	s_and_not1_saveexec_b32 s0, s34
; %bb.34:                               ;   in Loop: Header=BB36_3 Depth=1
	v_cmp_lt_i32_e32 vcc_lo, 1, v16
	s_and_not1_b32 s34, s36, exec_lo
	s_mov_b32 s1, exec_lo
	s_and_not1_b32 s33, s33, exec_lo
	s_and_not1_b32 s3, s3, exec_lo
	s_and_b32 s35, vcc_lo, exec_lo
	s_and_not1_b32 s2, s2, exec_lo
	s_or_b32 s36, s34, s35
; %bb.35:                               ;   in Loop: Header=BB36_3 Depth=1
	s_or_b32 exec_lo, exec_lo, s0
	s_mov_b32 s34, 0
	s_mov_b32 s0, 0
	;; [unrolled: 1-line block ×3, first 2 shown]
	s_and_saveexec_b32 s37, s36
	s_cbranch_execnz .LBB36_38
; %bb.36:                               ;   in Loop: Header=BB36_3 Depth=1
	s_or_b32 exec_lo, exec_lo, s37
	s_and_saveexec_b32 s36, s1
	s_cbranch_execnz .LBB36_41
.LBB36_37:                              ;   in Loop: Header=BB36_3 Depth=1
	s_or_b32 exec_lo, exec_lo, s36
	s_and_saveexec_b32 s1, s0
	s_cbranch_execnz .LBB36_42
	s_branch .LBB36_45
.LBB36_38:                              ;   in Loop: Header=BB36_3 Depth=1
	v_cmp_le_f32_e32 vcc_lo, 0, v37
	v_cmp_ge_f32_e64 s0, 1.0, v37
	s_delay_alu instid0(VALU_DEP_1) | instskip(SKIP_2) | instid1(SALU_CYCLE_1)
	s_and_b32 s35, vcc_lo, s0
	s_mov_b32 s0, 0
	s_and_saveexec_b32 s36, s35
	s_xor_b32 s35, exec_lo, s36
	s_cbranch_execz .LBB36_40
; %bb.39:                               ;   in Loop: Header=BB36_3 Depth=1
	v_cvt_f32_u32_e32 v9, v14
	v_lshlrev_b64 v[7:8], 2, v[7:8]
	s_mov_b32 s0, exec_lo
	s_delay_alu instid0(VALU_DEP_2) | instskip(NEXT) | instid1(VALU_DEP_2)
	v_fmaak_f32 v9, 0x2f800000, v9, 0x2f800000
	v_add_co_u32 v7, vcc_lo, s12, v7
	s_delay_alu instid0(VALU_DEP_3) | instskip(NEXT) | instid1(VALU_DEP_3)
	v_add_co_ci_u32_e32 v8, vcc_lo, s13, v8, vcc_lo
	v_cmp_le_f32_e32 vcc_lo, v9, v37
	v_cndmask_b32_e64 v9, 0, 1, vcc_lo
	global_store_b32 v[7:8], v9, off
.LBB36_40:                              ;   in Loop: Header=BB36_3 Depth=1
	s_or_b32 exec_lo, exec_lo, s35
	s_delay_alu instid0(SALU_CYCLE_1)
	s_and_not1_b32 s35, s33, exec_lo
	s_or_b32 s33, s33, exec_lo
	s_and_not1_b32 s3, s3, exec_lo
	s_and_not1_b32 s2, s2, exec_lo
	s_and_b32 s0, s0, exec_lo
	s_and_not1_b32 s1, s1, exec_lo
	s_or_b32 exec_lo, exec_lo, s37
	s_and_saveexec_b32 s36, s1
	s_cbranch_execz .LBB36_37
.LBB36_41:                              ;   in Loop: Header=BB36_3 Depth=1
	v_cmp_eq_u32_e32 vcc_lo, 1, v16
	s_and_not1_b32 s0, s0, exec_lo
	s_mov_b32 s34, exec_lo
	s_and_not1_b32 s35, s35, exec_lo
	s_and_not1_b32 s33, s33, exec_lo
	s_and_b32 s1, vcc_lo, exec_lo
	s_and_not1_b32 s3, s3, exec_lo
	s_and_not1_b32 s2, s2, exec_lo
	s_or_b32 s0, s0, s1
	s_or_b32 exec_lo, exec_lo, s36
	s_and_saveexec_b32 s1, s0
	s_cbranch_execz .LBB36_45
.LBB36_42:                              ;   in Loop: Header=BB36_3 Depth=1
	v_cmp_le_f32_e32 vcc_lo, 0, v3
	v_cmp_ge_f32_e64 s0, 1.0, v3
	s_delay_alu instid0(VALU_DEP_1)
	s_and_b32 s37, vcc_lo, s0
	s_mov_b32 s0, 0
	s_and_saveexec_b32 s36, s37
	s_cbranch_execz .LBB36_44
; %bb.43:                               ;   in Loop: Header=BB36_3 Depth=1
	v_cvt_f32_u32_e32 v7, v13
	v_lshlrev_b64 v[5:6], 2, v[5:6]
	s_mov_b32 s0, exec_lo
	s_delay_alu instid0(VALU_DEP_2) | instskip(NEXT) | instid1(VALU_DEP_2)
	v_fmaak_f32 v7, 0x2f800000, v7, 0x2f800000
	v_add_co_u32 v5, vcc_lo, s12, v5
	s_delay_alu instid0(VALU_DEP_3) | instskip(NEXT) | instid1(VALU_DEP_3)
	v_add_co_ci_u32_e32 v6, vcc_lo, s13, v6, vcc_lo
	v_cmp_le_f32_e32 vcc_lo, v7, v3
	v_cndmask_b32_e64 v3, 0, 1, vcc_lo
	global_store_b32 v[5:6], v3, off
.LBB36_44:                              ;   in Loop: Header=BB36_3 Depth=1
	s_or_b32 exec_lo, exec_lo, s36
	s_delay_alu instid0(SALU_CYCLE_1)
	s_and_not1_b32 s34, s34, exec_lo
	s_and_b32 s0, s0, exec_lo
	s_or_b32 s35, s35, exec_lo
	s_and_not1_b32 s33, s33, exec_lo
	s_and_not1_b32 s3, s3, exec_lo
	;; [unrolled: 1-line block ×3, first 2 shown]
	s_or_b32 s34, s34, s0
.LBB36_45:                              ;   in Loop: Header=BB36_3 Depth=1
	s_or_b32 exec_lo, exec_lo, s1
	s_delay_alu instid0(SALU_CYCLE_1)
	s_and_not1_b32 s1, s31, exec_lo
	s_and_b32 s31, s35, exec_lo
	s_and_not1_b32 s29, s29, exec_lo
	s_and_b32 s33, s33, exec_lo
	s_or_b32 s31, s1, s31
	s_and_not1_b32 s1, s30, exec_lo
	s_and_b32 s3, s3, exec_lo
	s_and_not1_b32 s28, s28, exec_lo
	s_and_b32 s2, s2, exec_lo
	s_mov_b32 s0, -1
	s_or_b32 s29, s29, s33
	s_or_b32 s30, s1, s3
	;; [unrolled: 1-line block ×3, first 2 shown]
	s_and_saveexec_b32 s1, s34
	s_cbranch_execz .LBB36_2
; %bb.46:                               ;   in Loop: Header=BB36_3 Depth=1
	v_add_nc_u32_e32 v0, s21, v0
	v_subrev_nc_u32_e32 v31, s21, v31
	s_add_i32 s25, s25, s23
	s_and_not1_b32 s31, s31, exec_lo
	s_and_not1_b32 s29, s29, exec_lo
	v_cmp_le_u32_e32 vcc_lo, s16, v0
	s_and_not1_b32 s30, s30, exec_lo
	s_and_not1_b32 s28, s28, exec_lo
	s_or_not1_b32 s0, vcc_lo, exec_lo
	s_branch .LBB36_2
.LBB36_47:
	s_or_b32 exec_lo, exec_lo, s22
	s_xor_b32 s3, s26, -1
	s_xor_b32 s4, s27, -1
	;; [unrolled: 1-line block ×3, first 2 shown]
	s_mov_b32 s1, 0
	s_and_saveexec_b32 s2, s0
	s_delay_alu instid0(SALU_CYCLE_1)
	s_xor_b32 s0, exec_lo, s2
	s_cbranch_execz .LBB36_56
; %bb.48:
	s_mov_b32 s2, 0
	s_and_saveexec_b32 s1, s4
	s_delay_alu instid0(SALU_CYCLE_1)
	s_xor_b32 s1, exec_lo, s1
	s_cbranch_execz .LBB36_54
; %bb.49:
	s_and_saveexec_b32 s4, s3
	s_delay_alu instid0(SALU_CYCLE_1)
	s_xor_b32 s3, exec_lo, s4
	s_cbranch_execz .LBB36_52
; %bb.50:
	s_and_saveexec_b32 s4, s20
	s_delay_alu instid0(SALU_CYCLE_1)
	s_xor_b32 s4, exec_lo, s4
	s_cbranch_execnz .LBB36_70
.LBB36_51:
	s_or_b32 exec_lo, exec_lo, s4
	s_delay_alu instid0(SALU_CYCLE_1)
	s_and_b32 s2, s2, exec_lo
.LBB36_52:
	s_and_not1_saveexec_b32 s3, s3
	s_cbranch_execnz .LBB36_66
.LBB36_53:
	s_or_b32 exec_lo, exec_lo, s3
	s_delay_alu instid0(SALU_CYCLE_1)
	s_and_b32 s2, s2, exec_lo
.LBB36_54:
	s_and_not1_saveexec_b32 s1, s1
	s_cbranch_execnz .LBB36_62
.LBB36_55:
	s_or_b32 exec_lo, exec_lo, s1
	s_delay_alu instid0(SALU_CYCLE_1)
	s_and_b32 s1, s2, exec_lo
.LBB36_56:
	s_and_not1_saveexec_b32 s0, s0
	s_cbranch_execnz .LBB36_60
; %bb.57:
	s_or_b32 exec_lo, exec_lo, s0
	s_delay_alu instid0(SALU_CYCLE_1)
	s_and_b32 exec_lo, exec_lo, s1
.LBB36_58:
	; divergent unreachable
.LBB36_59:
	s_nop 0
	s_sendmsg sendmsg(MSG_DEALLOC_VGPRS)
	s_endpgm
.LBB36_60:
	s_cbranch_execnz .LBB36_64
; %bb.61:
	s_or_b32 s1, s1, exec_lo
	s_or_b32 exec_lo, exec_lo, s0
	s_delay_alu instid0(SALU_CYCLE_1)
	s_and_b32 exec_lo, exec_lo, s1
	s_cbranch_execnz .LBB36_58
	s_branch .LBB36_59
.LBB36_62:
	s_cbranch_execnz .LBB36_68
; %bb.63:
	s_or_b32 s2, s2, exec_lo
	s_branch .LBB36_55
.LBB36_64:
	s_trap 2
	s_sendmsg_rtn_b32 s0, sendmsg(MSG_RTN_GET_DOORBELL)
	s_mov_b32 ttmp2, m0
	s_waitcnt lgkmcnt(0)
	s_and_b32 s0, s0, 0x3ff
	s_delay_alu instid0(SALU_CYCLE_1) | instskip(NEXT) | instid1(SALU_CYCLE_1)
	s_bitset1_b32 s0, 10
	s_mov_b32 m0, s0
	s_sendmsg sendmsg(MSG_INTERRUPT)
	s_mov_b32 m0, ttmp2
.LBB36_65:                              ; =>This Inner Loop Header: Depth=1
	s_sethalt 5
	s_branch .LBB36_65
.LBB36_66:
	s_cbranch_execnz .LBB36_72
; %bb.67:
	s_or_b32 s2, s2, exec_lo
	s_branch .LBB36_53
.LBB36_68:
	s_trap 2
	s_sendmsg_rtn_b32 s0, sendmsg(MSG_RTN_GET_DOORBELL)
	s_mov_b32 ttmp2, m0
	s_waitcnt lgkmcnt(0)
	s_and_b32 s0, s0, 0x3ff
	s_delay_alu instid0(SALU_CYCLE_1) | instskip(NEXT) | instid1(SALU_CYCLE_1)
	s_bitset1_b32 s0, 10
	s_mov_b32 m0, s0
	s_sendmsg sendmsg(MSG_INTERRUPT)
	s_mov_b32 m0, ttmp2
.LBB36_69:                              ; =>This Inner Loop Header: Depth=1
	s_sethalt 5
	s_branch .LBB36_69
.LBB36_70:
	s_cbranch_execnz .LBB36_74
; %bb.71:
	s_mov_b32 s2, exec_lo
	s_branch .LBB36_51
.LBB36_72:
	s_trap 2
	s_sendmsg_rtn_b32 s0, sendmsg(MSG_RTN_GET_DOORBELL)
	s_mov_b32 ttmp2, m0
	s_waitcnt lgkmcnt(0)
	s_and_b32 s0, s0, 0x3ff
	s_delay_alu instid0(SALU_CYCLE_1) | instskip(NEXT) | instid1(SALU_CYCLE_1)
	s_bitset1_b32 s0, 10
	s_mov_b32 m0, s0
	s_sendmsg sendmsg(MSG_INTERRUPT)
	s_mov_b32 m0, ttmp2
.LBB36_73:                              ; =>This Inner Loop Header: Depth=1
	s_sethalt 5
	s_branch .LBB36_73
.LBB36_74:
	s_trap 2
	s_sendmsg_rtn_b32 s0, sendmsg(MSG_RTN_GET_DOORBELL)
	s_mov_b32 ttmp2, m0
	s_waitcnt lgkmcnt(0)
	s_and_b32 s0, s0, 0x3ff
	s_delay_alu instid0(SALU_CYCLE_1) | instskip(NEXT) | instid1(SALU_CYCLE_1)
	s_bitset1_b32 s0, 10
	s_mov_b32 m0, s0
	s_sendmsg sendmsg(MSG_INTERRUPT)
	s_mov_b32 m0, ttmp2
.LBB36_75:                              ; =>This Inner Loop Header: Depth=1
	s_sethalt 5
	s_branch .LBB36_75
	.section	.rodata,"a",@progbits
	.p2align	6, 0x0
	.amdhsa_kernel _ZN2at4cuda12_GLOBAL__N_121kernelPointwiseApply2IZNS_6native9templates4cuda28bernoulli_tensor_cuda_kernelIifEEvRKNS_10TensorBaseES9_NS_15PhiloxCudaStateEEUliRiSB_SB_SB_RKfSD_SD_SD_E_iSC_jLi2ELi1ELi4ELi512ELi2EEEvNS0_6detail10TensorInfoIT0_T2_EENSG_IT1_SI_EESI_T_
		.amdhsa_group_segment_fixed_size 0
		.amdhsa_private_segment_fixed_size 0
		.amdhsa_kernarg_size 728
		.amdhsa_user_sgpr_count 15
		.amdhsa_user_sgpr_dispatch_ptr 0
		.amdhsa_user_sgpr_queue_ptr 0
		.amdhsa_user_sgpr_kernarg_segment_ptr 1
		.amdhsa_user_sgpr_dispatch_id 0
		.amdhsa_user_sgpr_private_segment_size 0
		.amdhsa_wavefront_size32 1
		.amdhsa_uses_dynamic_stack 0
		.amdhsa_enable_private_segment 0
		.amdhsa_system_sgpr_workgroup_id_x 1
		.amdhsa_system_sgpr_workgroup_id_y 0
		.amdhsa_system_sgpr_workgroup_id_z 0
		.amdhsa_system_sgpr_workgroup_info 0
		.amdhsa_system_vgpr_workitem_id 0
		.amdhsa_next_free_vgpr 48
		.amdhsa_next_free_sgpr 38
		.amdhsa_reserve_vcc 1
		.amdhsa_float_round_mode_32 0
		.amdhsa_float_round_mode_16_64 0
		.amdhsa_float_denorm_mode_32 3
		.amdhsa_float_denorm_mode_16_64 3
		.amdhsa_dx10_clamp 1
		.amdhsa_ieee_mode 1
		.amdhsa_fp16_overflow 0
		.amdhsa_workgroup_processor_mode 1
		.amdhsa_memory_ordered 1
		.amdhsa_forward_progress 0
		.amdhsa_shared_vgpr_count 0
		.amdhsa_exception_fp_ieee_invalid_op 0
		.amdhsa_exception_fp_denorm_src 0
		.amdhsa_exception_fp_ieee_div_zero 0
		.amdhsa_exception_fp_ieee_overflow 0
		.amdhsa_exception_fp_ieee_underflow 0
		.amdhsa_exception_fp_ieee_inexact 0
		.amdhsa_exception_int_div_zero 0
	.end_amdhsa_kernel
	.section	.text._ZN2at4cuda12_GLOBAL__N_121kernelPointwiseApply2IZNS_6native9templates4cuda28bernoulli_tensor_cuda_kernelIifEEvRKNS_10TensorBaseES9_NS_15PhiloxCudaStateEEUliRiSB_SB_SB_RKfSD_SD_SD_E_iSC_jLi2ELi1ELi4ELi512ELi2EEEvNS0_6detail10TensorInfoIT0_T2_EENSG_IT1_SI_EESI_T_,"axG",@progbits,_ZN2at4cuda12_GLOBAL__N_121kernelPointwiseApply2IZNS_6native9templates4cuda28bernoulli_tensor_cuda_kernelIifEEvRKNS_10TensorBaseES9_NS_15PhiloxCudaStateEEUliRiSB_SB_SB_RKfSD_SD_SD_E_iSC_jLi2ELi1ELi4ELi512ELi2EEEvNS0_6detail10TensorInfoIT0_T2_EENSG_IT1_SI_EESI_T_,comdat
.Lfunc_end36:
	.size	_ZN2at4cuda12_GLOBAL__N_121kernelPointwiseApply2IZNS_6native9templates4cuda28bernoulli_tensor_cuda_kernelIifEEvRKNS_10TensorBaseES9_NS_15PhiloxCudaStateEEUliRiSB_SB_SB_RKfSD_SD_SD_E_iSC_jLi2ELi1ELi4ELi512ELi2EEEvNS0_6detail10TensorInfoIT0_T2_EENSG_IT1_SI_EESI_T_, .Lfunc_end36-_ZN2at4cuda12_GLOBAL__N_121kernelPointwiseApply2IZNS_6native9templates4cuda28bernoulli_tensor_cuda_kernelIifEEvRKNS_10TensorBaseES9_NS_15PhiloxCudaStateEEUliRiSB_SB_SB_RKfSD_SD_SD_E_iSC_jLi2ELi1ELi4ELi512ELi2EEEvNS0_6detail10TensorInfoIT0_T2_EENSG_IT1_SI_EESI_T_
                                        ; -- End function
	.section	.AMDGPU.csdata,"",@progbits
; Kernel info:
; codeLenInByte = 3804
; NumSgprs: 40
; NumVgprs: 48
; ScratchSize: 0
; MemoryBound: 0
; FloatMode: 240
; IeeeMode: 1
; LDSByteSize: 0 bytes/workgroup (compile time only)
; SGPRBlocks: 4
; VGPRBlocks: 5
; NumSGPRsForWavesPerEU: 40
; NumVGPRsForWavesPerEU: 48
; Occupancy: 16
; WaveLimiterHint : 1
; COMPUTE_PGM_RSRC2:SCRATCH_EN: 0
; COMPUTE_PGM_RSRC2:USER_SGPR: 15
; COMPUTE_PGM_RSRC2:TRAP_HANDLER: 0
; COMPUTE_PGM_RSRC2:TGID_X_EN: 1
; COMPUTE_PGM_RSRC2:TGID_Y_EN: 0
; COMPUTE_PGM_RSRC2:TGID_Z_EN: 0
; COMPUTE_PGM_RSRC2:TIDIG_COMP_CNT: 0
	.section	.text._ZN2at4cuda12_GLOBAL__N_121kernelPointwiseApply2IZNS_6native9templates4cuda28bernoulli_tensor_cuda_kernelIifEEvRKNS_10TensorBaseES9_NS_15PhiloxCudaStateEEUliRiSB_SB_SB_RKfSD_SD_SD_E_iSC_jLi2ELi2ELi4ELi512ELi2EEEvNS0_6detail10TensorInfoIT0_T2_EENSG_IT1_SI_EESI_T_,"axG",@progbits,_ZN2at4cuda12_GLOBAL__N_121kernelPointwiseApply2IZNS_6native9templates4cuda28bernoulli_tensor_cuda_kernelIifEEvRKNS_10TensorBaseES9_NS_15PhiloxCudaStateEEUliRiSB_SB_SB_RKfSD_SD_SD_E_iSC_jLi2ELi2ELi4ELi512ELi2EEEvNS0_6detail10TensorInfoIT0_T2_EENSG_IT1_SI_EESI_T_,comdat
	.globl	_ZN2at4cuda12_GLOBAL__N_121kernelPointwiseApply2IZNS_6native9templates4cuda28bernoulli_tensor_cuda_kernelIifEEvRKNS_10TensorBaseES9_NS_15PhiloxCudaStateEEUliRiSB_SB_SB_RKfSD_SD_SD_E_iSC_jLi2ELi2ELi4ELi512ELi2EEEvNS0_6detail10TensorInfoIT0_T2_EENSG_IT1_SI_EESI_T_ ; -- Begin function _ZN2at4cuda12_GLOBAL__N_121kernelPointwiseApply2IZNS_6native9templates4cuda28bernoulli_tensor_cuda_kernelIifEEvRKNS_10TensorBaseES9_NS_15PhiloxCudaStateEEUliRiSB_SB_SB_RKfSD_SD_SD_E_iSC_jLi2ELi2ELi4ELi512ELi2EEEvNS0_6detail10TensorInfoIT0_T2_EENSG_IT1_SI_EESI_T_
	.p2align	8
	.type	_ZN2at4cuda12_GLOBAL__N_121kernelPointwiseApply2IZNS_6native9templates4cuda28bernoulli_tensor_cuda_kernelIifEEvRKNS_10TensorBaseES9_NS_15PhiloxCudaStateEEUliRiSB_SB_SB_RKfSD_SD_SD_E_iSC_jLi2ELi2ELi4ELi512ELi2EEEvNS0_6detail10TensorInfoIT0_T2_EENSG_IT1_SI_EESI_T_,@function
_ZN2at4cuda12_GLOBAL__N_121kernelPointwiseApply2IZNS_6native9templates4cuda28bernoulli_tensor_cuda_kernelIifEEvRKNS_10TensorBaseES9_NS_15PhiloxCudaStateEEUliRiSB_SB_SB_RKfSD_SD_SD_E_iSC_jLi2ELi2ELi4ELi512ELi2EEEvNS0_6detail10TensorInfoIT0_T2_EENSG_IT1_SI_EESI_T_: ; @_ZN2at4cuda12_GLOBAL__N_121kernelPointwiseApply2IZNS_6native9templates4cuda28bernoulli_tensor_cuda_kernelIifEEvRKNS_10TensorBaseES9_NS_15PhiloxCudaStateEEUliRiSB_SB_SB_RKfSD_SD_SD_E_iSC_jLi2ELi2ELi4ELi512ELi2EEEvNS0_6detail10TensorInfoIT0_T2_EENSG_IT1_SI_EESI_T_
; %bb.0:
	s_clause 0x1
	s_load_b32 s2, s[0:1], 0x1e4
	s_load_b32 s16, s[0:1], 0x1b0
	s_add_u32 s4, s0, 0x1d8
	s_addc_u32 s5, s1, 0
	s_waitcnt lgkmcnt(0)
	s_and_b32 s22, s2, 0xffff
	s_mov_b32 s2, exec_lo
	v_mad_u64_u32 v[1:2], null, s15, s22, v[0:1]
	s_delay_alu instid0(VALU_DEP_1) | instskip(NEXT) | instid1(VALU_DEP_1)
	v_lshlrev_b32_e32 v0, 2, v1
	v_cmpx_gt_u32_e64 s16, v0
	s_cbranch_execz .LBB37_67
; %bb.1:
	s_clause 0x6
	s_load_b32 s17, s[0:1], 0xc
	s_load_b32 s18, s[0:1], 0xe4
	s_load_b64 s[2:3], s[0:1], 0x6c
	s_load_b64 s[8:9], s[0:1], 0xd8
	;; [unrolled: 1-line block ×3, first 2 shown]
	s_load_b32 s6, s[0:1], 0x1d0
	s_load_b64 s[12:13], s[0:1], 0x0
	s_load_b32 s23, s[4:5], 0x0
	v_sub_nc_u32_e32 v32, s16, v0
                                        ; implicit-def: $sgpr26
                                        ; implicit-def: $sgpr25
                                        ; implicit-def: $sgpr27
                                        ; implicit-def: $sgpr29
                                        ; implicit-def: $sgpr28
                                        ; implicit-def: $sgpr30
	s_waitcnt lgkmcnt(0)
	v_cvt_f32_u32_e32 v2, s17
	v_cvt_f32_u32_e32 v3, s18
	s_delay_alu instid0(VALU_DEP_2) | instskip(NEXT) | instid1(VALU_DEP_1)
	v_rcp_iflag_f32_e32 v2, v2
	v_rcp_iflag_f32_e32 v3, v3
	s_bitcmp1_b32 s6, 0
	s_clause 0x1
	s_load_b64 s[14:15], s[0:1], 0x1c8
	s_load_b128 s[4:7], s[0:1], 0x1b8
	s_cselect_b32 s19, -1, 0
	s_sub_i32 s20, 0, s17
	s_sub_i32 s21, 0, s18
	s_mul_i32 s23, s23, s22
	s_mov_b32 s22, 0
	s_lshl_b32 s24, s23, 2
	s_waitcnt_depctr 0xfff
	v_dual_mul_f32 v2, 0x4f7ffffe, v2 :: v_dual_mul_f32 v3, 0x4f7ffffe, v3
                                        ; implicit-def: $sgpr23
                                        ; implicit-def: $sgpr1
	s_delay_alu instid0(VALU_DEP_1) | instskip(NEXT) | instid1(VALU_DEP_2)
	v_cvt_u32_f32_e32 v5, v2
	v_cvt_u32_f32_e32 v6, v3
	v_mad_u64_u32 v[2:3], null, 0xcd9e8d57, v1, 0
	s_delay_alu instid0(VALU_DEP_3) | instskip(NEXT) | instid1(VALU_DEP_3)
	v_mul_lo_u32 v4, s20, v5
	v_mul_lo_u32 v7, s21, v6
	s_delay_alu instid0(VALU_DEP_3) | instskip(NEXT) | instid1(VALU_DEP_3)
	v_mov_b32_e32 v29, v3
	v_mul_hi_u32 v8, v5, v4
	s_delay_alu instid0(VALU_DEP_3) | instskip(SKIP_1) | instid1(VALU_DEP_3)
	v_mul_hi_u32 v7, v6, v7
	v_mov_b32_e32 v4, 0
	v_add_nc_u32_e32 v30, v5, v8
	s_delay_alu instid0(VALU_DEP_3)
	v_add_nc_u32_e32 v31, v6, v7
	s_branch .LBB37_3
.LBB37_2:                               ;   in Loop: Header=BB37_3 Depth=1
	s_or_b32 exec_lo, exec_lo, s31
	s_delay_alu instid0(SALU_CYCLE_1) | instskip(NEXT) | instid1(SALU_CYCLE_1)
	s_and_b32 s0, exec_lo, s0
	s_or_b32 s22, s0, s22
	s_and_not1_b32 s0, s1, exec_lo
	s_and_b32 s1, s30, exec_lo
	s_and_not1_b32 s25, s25, exec_lo
	s_and_b32 s31, s28, exec_lo
	s_or_b32 s1, s0, s1
	s_or_b32 s25, s25, s31
	s_and_not1_b32 s0, s26, exec_lo
	s_and_b32 s26, s29, exec_lo
	s_and_not1_b32 s23, s23, exec_lo
	s_and_b32 s31, s27, exec_lo
	s_or_b32 s26, s0, s26
	s_or_b32 s23, s23, s31
	s_and_not1_b32 exec_lo, exec_lo, s22
	s_cbranch_execz .LBB37_55
.LBB37_3:                               ; =>This Inner Loop Header: Depth=1
	v_cmp_lt_i32_e32 vcc_lo, 0, v32
	v_mov_b32_e32 v5, 0
	s_and_saveexec_b32 s31, vcc_lo
	s_cbranch_execz .LBB37_5
; %bb.4:                                ;   in Loop: Header=BB37_3 Depth=1
	v_mul_hi_u32 v3, v30, v0
	s_delay_alu instid0(VALU_DEP_1) | instskip(SKIP_2) | instid1(VALU_DEP_3)
	v_not_b32_e32 v8, v3
	v_mad_u64_u32 v[5:6], null, s20, v3, v[0:1]
	v_add_nc_u32_e32 v9, 1, v3
	v_mad_u64_u32 v[6:7], null, s17, v8, v[0:1]
	s_delay_alu instid0(VALU_DEP_3) | instskip(NEXT) | instid1(VALU_DEP_1)
	v_cmp_le_u32_e64 s0, s17, v5
	v_cndmask_b32_e64 v3, v3, v9, s0
	s_delay_alu instid0(VALU_DEP_3) | instskip(NEXT) | instid1(VALU_DEP_2)
	v_cndmask_b32_e64 v5, v5, v6, s0
	v_add_nc_u32_e32 v6, 1, v3
	s_delay_alu instid0(VALU_DEP_2) | instskip(NEXT) | instid1(VALU_DEP_1)
	v_cmp_le_u32_e64 s0, s17, v5
	v_cndmask_b32_e64 v7, v3, v6, s0
	s_delay_alu instid0(VALU_DEP_1) | instskip(NEXT) | instid1(VALU_DEP_1)
	v_mad_u64_u32 v[5:6], null, s20, v7, v[0:1]
	v_mul_lo_u32 v3, v5, s3
	s_delay_alu instid0(VALU_DEP_1)
	v_mad_u64_u32 v[5:6], null, v7, s2, v[3:4]
.LBB37_5:                               ;   in Loop: Header=BB37_3 Depth=1
	s_or_b32 exec_lo, exec_lo, s31
	v_mov_b32_e32 v3, 0
	s_and_saveexec_b32 s0, vcc_lo
	s_cbranch_execz .LBB37_7
; %bb.6:                                ;   in Loop: Header=BB37_3 Depth=1
	v_mul_hi_u32 v3, v31, v0
	s_delay_alu instid0(VALU_DEP_1) | instskip(SKIP_2) | instid1(VALU_DEP_3)
	v_not_b32_e32 v9, v3
	v_mad_u64_u32 v[6:7], null, s21, v3, v[0:1]
	v_add_nc_u32_e32 v10, 1, v3
	v_mad_u64_u32 v[7:8], null, s18, v9, v[0:1]
	s_delay_alu instid0(VALU_DEP_3) | instskip(NEXT) | instid1(VALU_DEP_2)
	v_cmp_le_u32_e32 vcc_lo, s18, v6
	v_dual_cndmask_b32 v3, v3, v10 :: v_dual_cndmask_b32 v6, v6, v7
	s_delay_alu instid0(VALU_DEP_1) | instskip(NEXT) | instid1(VALU_DEP_2)
	v_add_nc_u32_e32 v7, 1, v3
	v_cmp_le_u32_e32 vcc_lo, s18, v6
	s_delay_alu instid0(VALU_DEP_2) | instskip(NEXT) | instid1(VALU_DEP_1)
	v_cndmask_b32_e32 v8, v3, v7, vcc_lo
	v_mad_u64_u32 v[6:7], null, s21, v8, v[0:1]
	s_delay_alu instid0(VALU_DEP_1) | instskip(NEXT) | instid1(VALU_DEP_1)
	v_mul_lo_u32 v3, v6, s11
	v_mad_u64_u32 v[6:7], null, v8, s10, v[3:4]
	s_delay_alu instid0(VALU_DEP_1)
	v_mov_b32_e32 v3, v6
.LBB37_7:                               ;   in Loop: Header=BB37_3 Depth=1
	s_or_b32 exec_lo, exec_lo, s0
	v_mov_b32_e32 v12, 0
	v_dual_mov_b32 v13, 0 :: v_dual_add_nc_u32 v8, 1, v0
	v_cmp_lt_i32_e32 vcc_lo, 1, v32
	s_delay_alu instid0(VALU_DEP_2)
	v_dual_mov_b32 v6, v12 :: v_dual_mov_b32 v7, v13
	s_and_saveexec_b32 s31, vcc_lo
	s_cbranch_execz .LBB37_9
; %bb.8:                                ;   in Loop: Header=BB37_3 Depth=1
	v_mul_hi_u32 v6, v8, v30
	s_delay_alu instid0(VALU_DEP_1) | instskip(SKIP_1) | instid1(VALU_DEP_2)
	v_mul_lo_u32 v7, v6, s17
	v_add_nc_u32_e32 v9, 1, v6
	v_sub_nc_u32_e32 v7, v8, v7
	s_delay_alu instid0(VALU_DEP_1) | instskip(SKIP_1) | instid1(VALU_DEP_1)
	v_subrev_nc_u32_e32 v10, s17, v7
	v_cmp_le_u32_e64 s0, s17, v7
	v_cndmask_b32_e64 v6, v6, v9, s0
	s_delay_alu instid0(VALU_DEP_3) | instskip(NEXT) | instid1(VALU_DEP_2)
	v_cndmask_b32_e64 v7, v7, v10, s0
	v_add_nc_u32_e32 v9, 1, v6
	s_delay_alu instid0(VALU_DEP_2) | instskip(NEXT) | instid1(VALU_DEP_1)
	v_cmp_le_u32_e64 s0, s17, v7
	v_cndmask_b32_e64 v10, v6, v9, s0
	s_delay_alu instid0(VALU_DEP_1) | instskip(NEXT) | instid1(VALU_DEP_1)
	v_mul_lo_u32 v6, v10, s17
	v_sub_nc_u32_e32 v6, v8, v6
	s_delay_alu instid0(VALU_DEP_1) | instskip(NEXT) | instid1(VALU_DEP_1)
	v_mul_lo_u32 v9, v6, s3
	v_mad_u64_u32 v[6:7], null, v10, s2, v[9:10]
	v_mov_b32_e32 v7, v4
.LBB37_9:                               ;   in Loop: Header=BB37_3 Depth=1
	s_or_b32 exec_lo, exec_lo, s31
	s_and_saveexec_b32 s0, vcc_lo
	s_cbranch_execz .LBB37_11
; %bb.10:                               ;   in Loop: Header=BB37_3 Depth=1
	v_mul_hi_u32 v9, v8, v31
	s_delay_alu instid0(VALU_DEP_1) | instskip(NEXT) | instid1(VALU_DEP_1)
	v_mul_lo_u32 v10, v9, s18
	v_sub_nc_u32_e32 v10, v8, v10
	s_delay_alu instid0(VALU_DEP_1) | instskip(SKIP_1) | instid1(VALU_DEP_2)
	v_subrev_nc_u32_e32 v12, s18, v10
	v_cmp_le_u32_e32 vcc_lo, s18, v10
	v_dual_cndmask_b32 v10, v10, v12 :: v_dual_add_nc_u32 v11, 1, v9
	s_delay_alu instid0(VALU_DEP_1) | instskip(NEXT) | instid1(VALU_DEP_2)
	v_cndmask_b32_e32 v9, v9, v11, vcc_lo
	v_cmp_le_u32_e32 vcc_lo, s18, v10
	s_delay_alu instid0(VALU_DEP_2) | instskip(NEXT) | instid1(VALU_DEP_1)
	v_add_nc_u32_e32 v11, 1, v9
	v_cndmask_b32_e32 v9, v9, v11, vcc_lo
	s_delay_alu instid0(VALU_DEP_1) | instskip(NEXT) | instid1(VALU_DEP_1)
	v_mul_lo_u32 v10, v9, s18
	v_sub_nc_u32_e32 v8, v8, v10
	s_delay_alu instid0(VALU_DEP_1) | instskip(NEXT) | instid1(VALU_DEP_1)
	v_mul_lo_u32 v8, v8, s11
	v_mad_u64_u32 v[12:13], null, v9, s10, v[8:9]
	v_mov_b32_e32 v13, v4
.LBB37_11:                              ;   in Loop: Header=BB37_3 Depth=1
	s_or_b32 exec_lo, exec_lo, s0
	v_mov_b32_e32 v14, 0
	v_dual_mov_b32 v15, 0 :: v_dual_add_nc_u32 v10, 2, v0
	v_cmp_lt_i32_e32 vcc_lo, 2, v32
	s_delay_alu instid0(VALU_DEP_2)
	v_dual_mov_b32 v8, v14 :: v_dual_mov_b32 v9, v15
	s_and_saveexec_b32 s31, vcc_lo
	s_cbranch_execz .LBB37_13
; %bb.12:                               ;   in Loop: Header=BB37_3 Depth=1
	v_mul_hi_u32 v8, v10, v30
	s_delay_alu instid0(VALU_DEP_1) | instskip(SKIP_1) | instid1(VALU_DEP_2)
	v_mul_lo_u32 v9, v8, s17
	v_add_nc_u32_e32 v11, 1, v8
	v_sub_nc_u32_e32 v9, v10, v9
	s_delay_alu instid0(VALU_DEP_1) | instskip(SKIP_1) | instid1(VALU_DEP_1)
	v_subrev_nc_u32_e32 v16, s17, v9
	v_cmp_le_u32_e64 s0, s17, v9
	v_cndmask_b32_e64 v8, v8, v11, s0
	s_delay_alu instid0(VALU_DEP_3) | instskip(NEXT) | instid1(VALU_DEP_2)
	v_cndmask_b32_e64 v9, v9, v16, s0
	v_add_nc_u32_e32 v11, 1, v8
	s_delay_alu instid0(VALU_DEP_2) | instskip(NEXT) | instid1(VALU_DEP_1)
	v_cmp_le_u32_e64 s0, s17, v9
	v_cndmask_b32_e64 v16, v8, v11, s0
	s_delay_alu instid0(VALU_DEP_1) | instskip(NEXT) | instid1(VALU_DEP_1)
	v_mul_lo_u32 v8, v16, s17
	v_sub_nc_u32_e32 v8, v10, v8
	s_delay_alu instid0(VALU_DEP_1) | instskip(NEXT) | instid1(VALU_DEP_1)
	v_mul_lo_u32 v11, v8, s3
	v_mad_u64_u32 v[8:9], null, v16, s2, v[11:12]
	v_mov_b32_e32 v9, v4
.LBB37_13:                              ;   in Loop: Header=BB37_3 Depth=1
	s_or_b32 exec_lo, exec_lo, s31
	s_and_saveexec_b32 s0, vcc_lo
	s_cbranch_execz .LBB37_15
; %bb.14:                               ;   in Loop: Header=BB37_3 Depth=1
	v_mul_hi_u32 v11, v10, v31
	s_delay_alu instid0(VALU_DEP_1) | instskip(NEXT) | instid1(VALU_DEP_1)
	v_mul_lo_u32 v14, v11, s18
	v_sub_nc_u32_e32 v14, v10, v14
	s_delay_alu instid0(VALU_DEP_1) | instskip(SKIP_1) | instid1(VALU_DEP_2)
	v_subrev_nc_u32_e32 v16, s18, v14
	v_cmp_le_u32_e32 vcc_lo, s18, v14
	v_dual_cndmask_b32 v14, v14, v16 :: v_dual_add_nc_u32 v15, 1, v11
	s_delay_alu instid0(VALU_DEP_1) | instskip(NEXT) | instid1(VALU_DEP_2)
	v_cndmask_b32_e32 v11, v11, v15, vcc_lo
	v_cmp_le_u32_e32 vcc_lo, s18, v14
	s_delay_alu instid0(VALU_DEP_2) | instskip(NEXT) | instid1(VALU_DEP_1)
	v_add_nc_u32_e32 v15, 1, v11
	v_cndmask_b32_e32 v11, v11, v15, vcc_lo
	s_delay_alu instid0(VALU_DEP_1) | instskip(NEXT) | instid1(VALU_DEP_1)
	v_mul_lo_u32 v14, v11, s18
	v_sub_nc_u32_e32 v10, v10, v14
	s_delay_alu instid0(VALU_DEP_1) | instskip(NEXT) | instid1(VALU_DEP_1)
	v_mul_lo_u32 v10, v10, s11
	v_mad_u64_u32 v[14:15], null, v11, s10, v[10:11]
	v_mov_b32_e32 v15, v4
.LBB37_15:                              ;   in Loop: Header=BB37_3 Depth=1
	s_or_b32 exec_lo, exec_lo, s0
	v_mov_b32_e32 v16, 0
	v_dual_mov_b32 v17, 0 :: v_dual_add_nc_u32 v18, 3, v0
	v_cmp_lt_i32_e32 vcc_lo, 3, v32
	s_delay_alu instid0(VALU_DEP_2)
	v_dual_mov_b32 v10, v16 :: v_dual_mov_b32 v11, v17
	s_and_saveexec_b32 s31, vcc_lo
	s_cbranch_execz .LBB37_17
; %bb.16:                               ;   in Loop: Header=BB37_3 Depth=1
	v_mul_hi_u32 v10, v18, v30
	s_delay_alu instid0(VALU_DEP_1) | instskip(SKIP_1) | instid1(VALU_DEP_2)
	v_mul_lo_u32 v11, v10, s17
	v_add_nc_u32_e32 v19, 1, v10
	v_sub_nc_u32_e32 v11, v18, v11
	s_delay_alu instid0(VALU_DEP_1) | instskip(SKIP_1) | instid1(VALU_DEP_1)
	v_subrev_nc_u32_e32 v20, s17, v11
	v_cmp_le_u32_e64 s0, s17, v11
	v_cndmask_b32_e64 v10, v10, v19, s0
	s_delay_alu instid0(VALU_DEP_3) | instskip(NEXT) | instid1(VALU_DEP_2)
	v_cndmask_b32_e64 v11, v11, v20, s0
	v_add_nc_u32_e32 v19, 1, v10
	s_delay_alu instid0(VALU_DEP_2) | instskip(NEXT) | instid1(VALU_DEP_1)
	v_cmp_le_u32_e64 s0, s17, v11
	v_cndmask_b32_e64 v20, v10, v19, s0
	s_delay_alu instid0(VALU_DEP_1) | instskip(NEXT) | instid1(VALU_DEP_1)
	v_mul_lo_u32 v10, v20, s17
	v_sub_nc_u32_e32 v10, v18, v10
	s_delay_alu instid0(VALU_DEP_1) | instskip(NEXT) | instid1(VALU_DEP_1)
	v_mul_lo_u32 v19, v10, s3
	v_mad_u64_u32 v[10:11], null, v20, s2, v[19:20]
	v_mov_b32_e32 v11, v4
.LBB37_17:                              ;   in Loop: Header=BB37_3 Depth=1
	s_or_b32 exec_lo, exec_lo, s31
	s_and_saveexec_b32 s0, vcc_lo
	s_cbranch_execz .LBB37_19
; %bb.18:                               ;   in Loop: Header=BB37_3 Depth=1
	v_mul_hi_u32 v16, v18, v31
	s_delay_alu instid0(VALU_DEP_1) | instskip(SKIP_1) | instid1(VALU_DEP_2)
	v_mul_lo_u32 v17, v16, s18
	v_add_nc_u32_e32 v19, 1, v16
	v_sub_nc_u32_e32 v17, v18, v17
	s_delay_alu instid0(VALU_DEP_1) | instskip(SKIP_1) | instid1(VALU_DEP_2)
	v_subrev_nc_u32_e32 v20, s18, v17
	v_cmp_le_u32_e32 vcc_lo, s18, v17
	v_dual_cndmask_b32 v16, v16, v19 :: v_dual_cndmask_b32 v17, v17, v20
	s_delay_alu instid0(VALU_DEP_1) | instskip(NEXT) | instid1(VALU_DEP_2)
	v_add_nc_u32_e32 v19, 1, v16
	v_cmp_le_u32_e32 vcc_lo, s18, v17
	s_delay_alu instid0(VALU_DEP_2) | instskip(NEXT) | instid1(VALU_DEP_1)
	v_cndmask_b32_e32 v19, v16, v19, vcc_lo
	v_mul_lo_u32 v16, v19, s18
	s_delay_alu instid0(VALU_DEP_1) | instskip(NEXT) | instid1(VALU_DEP_1)
	v_sub_nc_u32_e32 v16, v18, v16
	v_mul_lo_u32 v18, v16, s11
	s_delay_alu instid0(VALU_DEP_1)
	v_mad_u64_u32 v[16:17], null, v19, s10, v[18:19]
	v_mov_b32_e32 v17, v4
.LBB37_19:                              ;   in Loop: Header=BB37_3 Depth=1
	s_or_b32 exec_lo, exec_lo, s0
	v_lshlrev_b64 v[18:19], 2, v[3:4]
	v_lshlrev_b64 v[12:13], 2, v[12:13]
	;; [unrolled: 1-line block ×4, first 2 shown]
	s_delay_alu instid0(VALU_DEP_4)
	v_add_co_u32 v18, vcc_lo, s8, v18
	v_add_co_ci_u32_e32 v19, vcc_lo, s9, v19, vcc_lo
	v_add_co_u32 v12, vcc_lo, s8, v12
	v_add_co_ci_u32_e32 v13, vcc_lo, s9, v13, vcc_lo
	v_add_co_u32 v14, vcc_lo, s8, v14
	v_add_co_ci_u32_e32 v15, vcc_lo, s9, v15, vcc_lo
	v_add_co_u32 v16, vcc_lo, s8, v16
	v_add_co_ci_u32_e32 v17, vcc_lo, s9, v17, vcc_lo
	s_clause 0x3
	global_load_b32 v3, v[18:19], off
	global_load_b32 v33, v[12:13], off
	;; [unrolled: 1-line block ×4, first 2 shown]
	s_waitcnt lgkmcnt(0)
	v_dual_mov_b32 v17, s7 :: v_dual_mov_b32 v16, s6
	v_dual_mov_b32 v19, s5 :: v_dual_mov_b32 v18, s4
	s_and_not1_b32 vcc_lo, exec_lo, s19
	s_cbranch_vccnz .LBB37_21
; %bb.20:                               ;   in Loop: Header=BB37_3 Depth=1
	v_dual_mov_b32 v13, s7 :: v_dual_mov_b32 v12, s6
	v_dual_mov_b32 v15, s5 :: v_dual_mov_b32 v14, s4
	flat_load_b64 v[12:13], v[12:13]
	flat_load_b64 v[18:19], v[14:15]
	s_waitcnt vmcnt(1) lgkmcnt(1)
	v_add_co_u32 v16, vcc_lo, v12, s14
	v_add_co_ci_u32_e32 v17, vcc_lo, s15, v13, vcc_lo
.LBB37_21:                              ;   in Loop: Header=BB37_3 Depth=1
	s_delay_alu instid0(VALU_DEP_1)
	v_alignbit_b32 v15, v17, v16, 2
	v_lshrrev_b32_e32 v14, 2, v17
	s_waitcnt vmcnt(0) lgkmcnt(0)
	v_add_nc_u32_e32 v36, 0x9e3779b9, v18
	v_add_nc_u32_e32 v38, 0x76cf5d0a, v19
	;; [unrolled: 1-line block ×3, first 2 shown]
	v_add_co_u32 v17, vcc_lo, v15, 1
	s_delay_alu instid0(VALU_DEP_1) | instskip(SKIP_4) | instid1(VALU_DEP_4)
	v_cndmask_b32_e64 v12, 0, 1, vcc_lo
	v_add_co_ci_u32_e32 v26, vcc_lo, 0, v14, vcc_lo
	v_xor3_b32 v22, v29, v18, v14
	v_add_nc_u32_e32 v40, 0x32370b8f, v19
	v_add_nc_u32_e32 v41, 0xed9eba14, v19
	v_cmp_eq_u32_e32 vcc_lo, 0, v26
	v_add_nc_u32_e32 v42, 0x1715609d, v18
	v_add_nc_u32_e32 v43, 0xa9066899, v19
	s_mov_b32 s0, exec_lo
	v_dual_cndmask_b32 v20, 0, v12 :: v_dual_add_nc_u32 v37, 0xbb67ae85, v19
	v_mad_u64_u32 v[12:13], null, 0xd2511f53, v17, 0
	s_delay_alu instid0(VALU_DEP_2) | instskip(NEXT) | instid1(VALU_DEP_2)
	v_add_nc_u32_e32 v17, v20, v1
	v_xor_b32_e32 v21, v13, v19
	s_delay_alu instid0(VALU_DEP_2) | instskip(SKIP_2) | instid1(VALU_DEP_1)
	v_cmp_eq_u32_e32 vcc_lo, 0, v17
	v_mad_u64_u32 v[13:14], null, 0xd2511f53, v15, 0
	v_cndmask_b32_e32 v20, 0, v20, vcc_lo
	v_xor_b32_e32 v15, v20, v21
	v_mad_u64_u32 v[20:21], null, 0xd2511f53, v22, 0
	v_mad_u64_u32 v[22:23], null, 0xcd9e8d57, v17, 0
	s_delay_alu instid0(VALU_DEP_3) | instskip(SKIP_3) | instid1(VALU_DEP_3)
	v_mad_u64_u32 v[24:25], null, 0xcd9e8d57, v15, 0
	v_xor_b32_e32 v15, v14, v19
	v_add_nc_u32_e32 v17, 0x3c6ef372, v18
	v_xor3_b32 v27, v37, v21, v13
	v_mad_u64_u32 v[13:14], null, 0xcd9e8d57, v15, 0
	v_xor3_b32 v15, v23, v18, v26
	v_xor3_b32 v23, v36, v25, v22
	s_delay_alu instid0(VALU_DEP_4) | instskip(NEXT) | instid1(VALU_DEP_3)
	v_mad_u64_u32 v[21:22], null, 0xcd9e8d57, v27, 0
	v_mad_u64_u32 v[25:26], null, 0xd2511f53, v15, 0
	s_delay_alu instid0(VALU_DEP_3) | instskip(SKIP_1) | instid1(VALU_DEP_4)
	v_mad_u64_u32 v[27:28], null, 0xd2511f53, v23, 0
	v_xor3_b32 v15, v2, v14, v36
	v_xor3_b32 v36, v17, v22, v13
	s_delay_alu instid0(VALU_DEP_4) | instskip(NEXT) | instid1(VALU_DEP_3)
	v_xor3_b32 v12, v37, v26, v12
	v_mad_u64_u32 v[13:14], null, 0xd2511f53, v15, 0
	v_xor3_b32 v15, v38, v28, v25
	s_delay_alu instid0(VALU_DEP_4) | instskip(NEXT) | instid1(VALU_DEP_4)
	v_mad_u64_u32 v[22:23], null, 0xd2511f53, v36, 0
	v_mad_u64_u32 v[25:26], null, 0xcd9e8d57, v12, 0
	s_delay_alu instid0(VALU_DEP_3) | instskip(SKIP_4) | instid1(VALU_DEP_4)
	v_mad_u64_u32 v[36:37], null, 0xcd9e8d57, v15, 0
	v_xor3_b32 v14, v38, v14, v20
	v_add_nc_u32_e32 v28, 0x78dde6e4, v18
	v_xor3_b32 v20, v40, v23, v13
	v_xor3_b32 v17, v17, v26, v24
	v_mad_u64_u32 v[12:13], null, 0xcd9e8d57, v14, 0
	v_xor3_b32 v37, v39, v37, v25
	s_delay_alu instid0(VALU_DEP_4) | instskip(NEXT) | instid1(VALU_DEP_4)
	v_mad_u64_u32 v[14:15], null, 0xcd9e8d57, v20, 0
	v_mad_u64_u32 v[23:24], null, 0xd2511f53, v17, 0
	s_delay_alu instid0(VALU_DEP_3) | instskip(SKIP_1) | instid1(VALU_DEP_4)
	v_mad_u64_u32 v[25:26], null, 0xd2511f53, v37, 0
	v_xor3_b32 v17, v39, v13, v21
	v_xor3_b32 v15, v28, v15, v12
	s_delay_alu instid0(VALU_DEP_2) | instskip(SKIP_2) | instid1(VALU_DEP_4)
	v_mad_u64_u32 v[12:13], null, 0xd2511f53, v17, 0
	v_xor3_b32 v17, v40, v24, v27
	v_xor3_b32 v23, v41, v26, v23
	v_mad_u64_u32 v[26:27], null, 0xd2511f53, v15, 0
	s_delay_alu instid0(VALU_DEP_3) | instskip(NEXT) | instid1(VALU_DEP_3)
	v_mad_u64_u32 v[20:21], null, 0xcd9e8d57, v17, 0
	v_mad_u64_u32 v[37:38], null, 0xcd9e8d57, v23, 0
	v_xor3_b32 v15, v41, v13, v22
	s_delay_alu instid0(VALU_DEP_4) | instskip(SKIP_2) | instid1(VALU_DEP_4)
	v_xor3_b32 v23, v43, v27, v12
	v_add_nc_u32_e32 v17, 0xb54cda56, v18
	v_add_nc_u32_e32 v22, 0x646e171e, v19
	v_mad_u64_u32 v[12:13], null, 0xcd9e8d57, v15, 0
	v_xor3_b32 v15, v28, v21, v36
	v_xor3_b32 v24, v42, v38, v20
	v_mad_u64_u32 v[38:39], null, 0xcd9e8d57, v23, 0
	v_add_nc_u32_e32 v28, 0x5384540f, v18
	s_delay_alu instid0(VALU_DEP_4) | instskip(NEXT) | instid1(VALU_DEP_4)
	v_mad_u64_u32 v[20:21], null, 0xd2511f53, v15, 0
	v_mad_u64_u32 v[40:41], null, 0xd2511f53, v24, 0
	v_xor3_b32 v14, v42, v13, v14
	v_xor3_b32 v15, v17, v39, v12
	v_add_nc_u32_e32 v42, 0x1fd5c5a3, v19
	v_add_co_u32 v36, null, 0xf1bbcdc8, v18
	v_xor3_b32 v23, v43, v21, v25
	v_xor3_b32 v25, v22, v41, v20
	v_mad_u64_u32 v[12:13], null, 0xd2511f53, v14, 0
	v_mad_u64_u32 v[20:21], null, 0xd2511f53, v15, 0
	s_delay_alu instid0(VALU_DEP_4) | instskip(NEXT) | instid1(VALU_DEP_4)
	v_mad_u64_u32 v[14:15], null, 0xcd9e8d57, v23, 0
	v_mad_u64_u32 v[23:24], null, 0xcd9e8d57, v25, 0
	s_delay_alu instid0(VALU_DEP_4) | instskip(NEXT) | instid1(VALU_DEP_4)
	v_xor3_b32 v22, v22, v13, v26
	v_xor3_b32 v25, v42, v21, v12
	s_delay_alu instid0(VALU_DEP_4) | instskip(NEXT) | instid1(VALU_DEP_3)
	v_xor3_b32 v17, v17, v15, v37
	v_mad_u64_u32 v[12:13], null, 0xcd9e8d57, v22, 0
	v_xor3_b32 v24, v28, v24, v14
	s_delay_alu instid0(VALU_DEP_4) | instskip(NEXT) | instid1(VALU_DEP_4)
	v_mad_u64_u32 v[21:22], null, 0xcd9e8d57, v25, 0
	v_mad_u64_u32 v[14:15], null, 0xd2511f53, v17, 0
	s_delay_alu instid0(VALU_DEP_3)
	v_mad_u64_u32 v[26:27], null, 0xd2511f53, v24, 0
	v_add_nc_u32_e32 v37, 0xdb3d7428, v19
	v_xor3_b32 v13, v28, v13, v38
	v_xor3_b32 v17, v36, v22, v12
	v_add_nc_u32_e32 v38, 0x96a522ad, v19
	v_xor3_b32 v15, v42, v15, v40
	v_and_b32_e32 v19, 3, v16
	v_xor3_b32 v22, v37, v27, v14
	v_mad_u64_u32 v[24:25], null, 0xd2511f53, v13, 0
	v_mad_u64_u32 v[12:13], null, 0xd2511f53, v17, 0
	;; [unrolled: 1-line block ×3, first 2 shown]
	s_delay_alu instid0(VALU_DEP_4) | instskip(SKIP_1) | instid1(VALU_DEP_4)
	v_mad_u64_u32 v[14:15], null, 0xcd9e8d57, v22, 0
	v_add_nc_u32_e32 v22, 0x8ff34781, v18
                                        ; implicit-def: $vgpr17
	v_xor3_b32 v18, v13, v24, v38
	s_delay_alu instid0(VALU_DEP_2)
	v_xor3_b32 v13, v15, v27, v22
	v_cmpx_lt_i32_e32 1, v19
	s_xor_b32 s0, exec_lo, s0
	s_cbranch_execz .LBB37_27
; %bb.22:                               ;   in Loop: Header=BB37_3 Depth=1
	s_mov_b32 s31, exec_lo
                                        ; implicit-def: $vgpr17
	v_cmpx_lt_i32_e32 2, v19
	s_xor_b32 s31, exec_lo, s31
; %bb.23:                               ;   in Loop: Header=BB37_3 Depth=1
	v_xor3_b32 v15, v36, v28, v23
                                        ; implicit-def: $vgpr18
	s_delay_alu instid0(VALU_DEP_1) | instskip(NEXT) | instid1(VALU_DEP_1)
	v_mul_hi_u32 v15, 0xd2511f53, v15
	v_xor3_b32 v17, v15, v26, v38
; %bb.24:                               ;   in Loop: Header=BB37_3 Depth=1
	s_and_not1_saveexec_b32 s31, s31
; %bb.25:                               ;   in Loop: Header=BB37_3 Depth=1
	v_dual_mov_b32 v17, v14 :: v_dual_mov_b32 v14, v13
	v_dual_mov_b32 v13, v12 :: v_dual_mov_b32 v12, v18
; %bb.26:                               ;   in Loop: Header=BB37_3 Depth=1
	s_or_b32 exec_lo, exec_lo, s31
                                        ; implicit-def: $vgpr20_vgpr21
                                        ; implicit-def: $vgpr19
                                        ; implicit-def: $vgpr18
                                        ; implicit-def: $vgpr37
                                        ; implicit-def: $vgpr24_vgpr25
                                        ; implicit-def: $vgpr21_vgpr22
                                        ; implicit-def: $vgpr22
.LBB37_27:                              ;   in Loop: Header=BB37_3 Depth=1
	s_and_not1_saveexec_b32 s0, s0
	s_cbranch_execz .LBB37_31
; %bb.28:                               ;   in Loop: Header=BB37_3 Depth=1
	v_xor3_b32 v14, v37, v25, v20
	v_cmp_eq_u32_e32 vcc_lo, 1, v19
	v_mov_b32_e32 v17, v12
	s_delay_alu instid0(VALU_DEP_3) | instskip(SKIP_1) | instid1(VALU_DEP_2)
	v_mad_u64_u32 v[15:16], null, 0xcd9e8d57, v14, 0
	v_mov_b32_e32 v14, v18
	v_xor3_b32 v19, v16, v21, v22
	s_delay_alu instid0(VALU_DEP_3)
	v_mov_b32_e32 v16, v15
	s_and_saveexec_b32 s31, vcc_lo
; %bb.29:                               ;   in Loop: Header=BB37_3 Depth=1
	v_dual_mov_b32 v17, v13 :: v_dual_mov_b32 v14, v12
	v_dual_mov_b32 v16, v18 :: v_dual_mov_b32 v19, v15
; %bb.30:                               ;   in Loop: Header=BB37_3 Depth=1
	s_or_b32 exec_lo, exec_lo, s31
	s_delay_alu instid0(VALU_DEP_1)
	v_dual_mov_b32 v12, v19 :: v_dual_mov_b32 v13, v16
.LBB37_31:                              ;   in Loop: Header=BB37_3 Depth=1
	s_or_b32 exec_lo, exec_lo, s0
	v_min_i32_e32 v15, 4, v32
	s_mov_b32 s31, 0
	s_mov_b32 s38, 0
                                        ; implicit-def: $sgpr33
                                        ; implicit-def: $sgpr34
                                        ; implicit-def: $sgpr35
	s_mov_b32 s0, exec_lo
	s_delay_alu instid0(VALU_DEP_1)
	v_cmpx_lt_i32_e32 2, v15
	s_xor_b32 s36, exec_lo, s0
	s_cbranch_execz .LBB37_41
; %bb.32:                               ;   in Loop: Header=BB37_3 Depth=1
	s_mov_b32 s35, -1
	s_mov_b32 s34, exec_lo
                                        ; implicit-def: $sgpr33
                                        ; implicit-def: $sgpr37
	v_cmpx_lt_i32_e32 3, v15
	s_cbranch_execz .LBB37_36
; %bb.33:                               ;   in Loop: Header=BB37_3 Depth=1
	v_cmp_le_f32_e32 vcc_lo, 0, v35
	v_cmp_ge_f32_e64 s0, 1.0, v35
	s_mov_b32 s33, 0
	s_delay_alu instid0(VALU_DEP_1)
	s_and_b32 s37, vcc_lo, s0
	s_mov_b32 s0, 0
	s_and_saveexec_b32 s35, s37
	s_cbranch_execz .LBB37_35
; %bb.34:                               ;   in Loop: Header=BB37_3 Depth=1
	v_cvt_f32_u32_e32 v16, v17
	v_lshlrev_b64 v[10:11], 2, v[10:11]
	s_mov_b32 s0, exec_lo
	s_delay_alu instid0(VALU_DEP_2) | instskip(NEXT) | instid1(VALU_DEP_2)
	v_fmaak_f32 v16, 0x2f800000, v16, 0x2f800000
	v_add_co_u32 v10, vcc_lo, s12, v10
	s_delay_alu instid0(VALU_DEP_3) | instskip(NEXT) | instid1(VALU_DEP_3)
	v_add_co_ci_u32_e32 v11, vcc_lo, s13, v11, vcc_lo
	v_cmp_le_f32_e32 vcc_lo, v16, v35
	v_cndmask_b32_e64 v16, 0, 1, vcc_lo
	global_store_b32 v[10:11], v16, off
.LBB37_35:                              ;   in Loop: Header=BB37_3 Depth=1
	s_or_b32 exec_lo, exec_lo, s35
	s_mov_b32 s37, -1
	s_or_not1_b32 s35, s0, exec_lo
.LBB37_36:                              ;   in Loop: Header=BB37_3 Depth=1
	s_or_b32 exec_lo, exec_lo, s34
	s_mov_b32 s0, 0
	s_mov_b32 s38, s33
	s_and_saveexec_b32 s34, s35
	s_cbranch_execz .LBB37_40
; %bb.37:                               ;   in Loop: Header=BB37_3 Depth=1
	v_cmp_le_f32_e32 vcc_lo, 0, v34
	v_cmp_ge_f32_e64 s0, 1.0, v34
	s_delay_alu instid0(VALU_DEP_1) | instskip(SKIP_2) | instid1(SALU_CYCLE_1)
	s_and_b32 s35, vcc_lo, s0
	s_mov_b32 s0, 0
	s_and_saveexec_b32 s38, s35
	s_xor_b32 s35, exec_lo, s38
	s_cbranch_execz .LBB37_39
; %bb.38:                               ;   in Loop: Header=BB37_3 Depth=1
	v_cvt_f32_u32_e32 v10, v14
	v_lshlrev_b64 v[8:9], 2, v[8:9]
	s_mov_b32 s0, exec_lo
	s_delay_alu instid0(VALU_DEP_2) | instskip(NEXT) | instid1(VALU_DEP_2)
	v_fmaak_f32 v10, 0x2f800000, v10, 0x2f800000
	v_add_co_u32 v8, vcc_lo, s12, v8
	s_delay_alu instid0(VALU_DEP_3) | instskip(NEXT) | instid1(VALU_DEP_3)
	v_add_co_ci_u32_e32 v9, vcc_lo, s13, v9, vcc_lo
	v_cmp_le_f32_e32 vcc_lo, v10, v34
	v_cndmask_b32_e64 v10, 0, 1, vcc_lo
	global_store_b32 v[8:9], v10, off
.LBB37_39:                              ;   in Loop: Header=BB37_3 Depth=1
	s_or_b32 exec_lo, exec_lo, s35
	s_delay_alu instid0(SALU_CYCLE_1)
	s_and_not1_b32 s38, s33, exec_lo
	s_or_b32 s33, s33, exec_lo
	s_and_not1_b32 s37, s37, exec_lo
	s_and_b32 s0, s0, exec_lo
.LBB37_40:                              ;   in Loop: Header=BB37_3 Depth=1
	s_or_b32 exec_lo, exec_lo, s34
	s_delay_alu instid0(SALU_CYCLE_1)
	s_and_b32 s35, s38, exec_lo
	s_and_b32 s34, s33, exec_lo
	;; [unrolled: 1-line block ×4, first 2 shown]
.LBB37_41:                              ;   in Loop: Header=BB37_3 Depth=1
	s_and_not1_saveexec_b32 s0, s36
; %bb.42:                               ;   in Loop: Header=BB37_3 Depth=1
	v_cmp_lt_i32_e32 vcc_lo, 1, v15
	s_and_not1_b32 s36, s38, exec_lo
	s_mov_b32 s31, exec_lo
	s_and_not1_b32 s35, s35, exec_lo
	s_and_not1_b32 s34, s34, exec_lo
	s_and_b32 s37, vcc_lo, exec_lo
	s_and_not1_b32 s33, s33, exec_lo
	s_or_b32 s38, s36, s37
; %bb.43:                               ;   in Loop: Header=BB37_3 Depth=1
	s_or_b32 exec_lo, exec_lo, s0
	s_mov_b32 s36, 0
	s_mov_b32 s0, 0
	;; [unrolled: 1-line block ×3, first 2 shown]
	s_and_saveexec_b32 s39, s38
	s_cbranch_execnz .LBB37_46
; %bb.44:                               ;   in Loop: Header=BB37_3 Depth=1
	s_or_b32 exec_lo, exec_lo, s39
	s_and_saveexec_b32 s38, s31
	s_cbranch_execnz .LBB37_49
.LBB37_45:                              ;   in Loop: Header=BB37_3 Depth=1
	s_or_b32 exec_lo, exec_lo, s38
	s_and_saveexec_b32 s31, s0
	s_cbranch_execnz .LBB37_50
	s_branch .LBB37_53
.LBB37_46:                              ;   in Loop: Header=BB37_3 Depth=1
	v_cmp_le_f32_e32 vcc_lo, 0, v33
	v_cmp_ge_f32_e64 s0, 1.0, v33
	s_delay_alu instid0(VALU_DEP_1) | instskip(SKIP_2) | instid1(SALU_CYCLE_1)
	s_and_b32 s37, vcc_lo, s0
	s_mov_b32 s0, 0
	s_and_saveexec_b32 s38, s37
	s_xor_b32 s37, exec_lo, s38
	s_cbranch_execz .LBB37_48
; %bb.47:                               ;   in Loop: Header=BB37_3 Depth=1
	v_cvt_f32_u32_e32 v8, v13
	v_lshlrev_b64 v[6:7], 2, v[6:7]
	s_mov_b32 s0, exec_lo
	s_delay_alu instid0(VALU_DEP_2) | instskip(NEXT) | instid1(VALU_DEP_2)
	v_fmaak_f32 v8, 0x2f800000, v8, 0x2f800000
	v_add_co_u32 v6, vcc_lo, s12, v6
	s_delay_alu instid0(VALU_DEP_3) | instskip(NEXT) | instid1(VALU_DEP_3)
	v_add_co_ci_u32_e32 v7, vcc_lo, s13, v7, vcc_lo
	v_cmp_le_f32_e32 vcc_lo, v8, v33
	v_cndmask_b32_e64 v8, 0, 1, vcc_lo
	global_store_b32 v[6:7], v8, off
.LBB37_48:                              ;   in Loop: Header=BB37_3 Depth=1
	s_or_b32 exec_lo, exec_lo, s37
	s_delay_alu instid0(SALU_CYCLE_1)
	s_and_not1_b32 s37, s35, exec_lo
	s_or_b32 s35, s35, exec_lo
	s_and_not1_b32 s34, s34, exec_lo
	s_and_not1_b32 s33, s33, exec_lo
	s_and_b32 s0, s0, exec_lo
	s_and_not1_b32 s31, s31, exec_lo
	s_or_b32 exec_lo, exec_lo, s39
	s_and_saveexec_b32 s38, s31
	s_cbranch_execz .LBB37_45
.LBB37_49:                              ;   in Loop: Header=BB37_3 Depth=1
	v_cmp_eq_u32_e32 vcc_lo, 1, v15
	s_and_not1_b32 s0, s0, exec_lo
	s_mov_b32 s36, exec_lo
	s_and_not1_b32 s37, s37, exec_lo
	s_and_not1_b32 s35, s35, exec_lo
	s_and_b32 s31, vcc_lo, exec_lo
	s_and_not1_b32 s34, s34, exec_lo
	s_and_not1_b32 s33, s33, exec_lo
	s_or_b32 s0, s0, s31
	s_or_b32 exec_lo, exec_lo, s38
	s_and_saveexec_b32 s31, s0
	s_cbranch_execz .LBB37_53
.LBB37_50:                              ;   in Loop: Header=BB37_3 Depth=1
	v_cmp_le_f32_e32 vcc_lo, 0, v3
	v_cmp_ge_f32_e64 s0, 1.0, v3
	s_delay_alu instid0(VALU_DEP_1)
	s_and_b32 s39, vcc_lo, s0
	s_mov_b32 s0, 0
	s_and_saveexec_b32 s38, s39
	s_cbranch_execz .LBB37_52
; %bb.51:                               ;   in Loop: Header=BB37_3 Depth=1
	v_cvt_f32_u32_e32 v7, v12
	v_mov_b32_e32 v6, v4
	s_mov_b32 s0, exec_lo
	s_delay_alu instid0(VALU_DEP_2) | instskip(NEXT) | instid1(VALU_DEP_2)
	v_fmaak_f32 v7, 0x2f800000, v7, 0x2f800000
	v_lshlrev_b64 v[5:6], 2, v[5:6]
	s_delay_alu instid0(VALU_DEP_1) | instskip(NEXT) | instid1(VALU_DEP_2)
	v_add_co_u32 v5, vcc_lo, s12, v5
	v_add_co_ci_u32_e32 v6, vcc_lo, s13, v6, vcc_lo
	s_delay_alu instid0(VALU_DEP_4)
	v_cmp_le_f32_e32 vcc_lo, v7, v3
	v_cndmask_b32_e64 v3, 0, 1, vcc_lo
	global_store_b32 v[5:6], v3, off
.LBB37_52:                              ;   in Loop: Header=BB37_3 Depth=1
	s_or_b32 exec_lo, exec_lo, s38
	s_delay_alu instid0(SALU_CYCLE_1)
	s_and_not1_b32 s36, s36, exec_lo
	s_and_b32 s0, s0, exec_lo
	s_or_b32 s37, s37, exec_lo
	s_and_not1_b32 s35, s35, exec_lo
	s_and_not1_b32 s34, s34, exec_lo
	;; [unrolled: 1-line block ×3, first 2 shown]
	s_or_b32 s36, s36, s0
.LBB37_53:                              ;   in Loop: Header=BB37_3 Depth=1
	s_or_b32 exec_lo, exec_lo, s31
	s_delay_alu instid0(SALU_CYCLE_1)
	s_and_not1_b32 s30, s30, exec_lo
	s_and_b32 s31, s37, exec_lo
	s_and_not1_b32 s28, s28, exec_lo
	s_and_b32 s35, s35, exec_lo
	s_or_b32 s30, s30, s31
	s_and_not1_b32 s29, s29, exec_lo
	s_and_b32 s31, s34, exec_lo
	s_and_not1_b32 s27, s27, exec_lo
	s_and_b32 s33, s33, exec_lo
	s_mov_b32 s0, -1
	s_or_b32 s28, s28, s35
	s_or_b32 s29, s29, s31
	;; [unrolled: 1-line block ×3, first 2 shown]
	s_and_saveexec_b32 s31, s36
	s_cbranch_execz .LBB37_2
; %bb.54:                               ;   in Loop: Header=BB37_3 Depth=1
	v_add_nc_u32_e32 v0, s24, v0
	v_subrev_nc_u32_e32 v32, s24, v32
	s_and_not1_b32 s30, s30, exec_lo
	s_and_not1_b32 s28, s28, exec_lo
	;; [unrolled: 1-line block ×3, first 2 shown]
	v_cmp_le_u32_e32 vcc_lo, s16, v0
	s_and_not1_b32 s27, s27, exec_lo
	s_or_not1_b32 s0, vcc_lo, exec_lo
	s_branch .LBB37_2
.LBB37_55:
	s_or_b32 exec_lo, exec_lo, s22
	s_xor_b32 s4, s25, -1
	s_xor_b32 s5, s26, -1
	;; [unrolled: 1-line block ×3, first 2 shown]
	s_mov_b32 s2, 0
	s_and_saveexec_b32 s3, s0
	s_delay_alu instid0(SALU_CYCLE_1)
	s_xor_b32 s0, exec_lo, s3
	s_cbranch_execz .LBB37_64
; %bb.56:
	s_mov_b32 s3, 0
	s_and_saveexec_b32 s2, s5
	s_delay_alu instid0(SALU_CYCLE_1)
	s_xor_b32 s2, exec_lo, s2
	s_cbranch_execz .LBB37_62
; %bb.57:
	s_and_saveexec_b32 s5, s4
	s_delay_alu instid0(SALU_CYCLE_1)
	s_xor_b32 s4, exec_lo, s5
	s_cbranch_execz .LBB37_60
; %bb.58:
	s_and_saveexec_b32 s5, s1
	s_delay_alu instid0(SALU_CYCLE_1)
	s_xor_b32 s1, exec_lo, s5
	s_cbranch_execnz .LBB37_78
.LBB37_59:
	s_or_b32 exec_lo, exec_lo, s1
	s_delay_alu instid0(SALU_CYCLE_1)
	s_and_b32 s3, s3, exec_lo
.LBB37_60:
	s_and_not1_saveexec_b32 s1, s4
	s_cbranch_execnz .LBB37_74
.LBB37_61:
	s_or_b32 exec_lo, exec_lo, s1
	s_delay_alu instid0(SALU_CYCLE_1)
	s_and_b32 s3, s3, exec_lo
.LBB37_62:
	s_and_not1_saveexec_b32 s1, s2
	s_cbranch_execnz .LBB37_70
.LBB37_63:
	s_or_b32 exec_lo, exec_lo, s1
	s_delay_alu instid0(SALU_CYCLE_1)
	s_and_b32 s2, s3, exec_lo
.LBB37_64:
	s_and_not1_saveexec_b32 s0, s0
	s_cbranch_execnz .LBB37_68
; %bb.65:
	s_or_b32 exec_lo, exec_lo, s0
	s_delay_alu instid0(SALU_CYCLE_1)
	s_and_b32 exec_lo, exec_lo, s2
.LBB37_66:
	; divergent unreachable
.LBB37_67:
	s_nop 0
	s_sendmsg sendmsg(MSG_DEALLOC_VGPRS)
	s_endpgm
.LBB37_68:
	s_cbranch_execnz .LBB37_72
; %bb.69:
	s_or_b32 s2, s2, exec_lo
	s_or_b32 exec_lo, exec_lo, s0
	s_delay_alu instid0(SALU_CYCLE_1)
	s_and_b32 exec_lo, exec_lo, s2
	s_cbranch_execnz .LBB37_66
	s_branch .LBB37_67
.LBB37_70:
	s_cbranch_execnz .LBB37_76
; %bb.71:
	s_or_b32 s3, s3, exec_lo
	s_branch .LBB37_63
.LBB37_72:
	s_trap 2
	s_sendmsg_rtn_b32 s0, sendmsg(MSG_RTN_GET_DOORBELL)
	s_mov_b32 ttmp2, m0
	s_waitcnt lgkmcnt(0)
	s_and_b32 s0, s0, 0x3ff
	s_delay_alu instid0(SALU_CYCLE_1) | instskip(NEXT) | instid1(SALU_CYCLE_1)
	s_bitset1_b32 s0, 10
	s_mov_b32 m0, s0
	s_sendmsg sendmsg(MSG_INTERRUPT)
	s_mov_b32 m0, ttmp2
.LBB37_73:                              ; =>This Inner Loop Header: Depth=1
	s_sethalt 5
	s_branch .LBB37_73
.LBB37_74:
	s_cbranch_execnz .LBB37_80
; %bb.75:
	s_or_b32 s3, s3, exec_lo
	s_branch .LBB37_61
.LBB37_76:
	s_trap 2
	s_sendmsg_rtn_b32 s0, sendmsg(MSG_RTN_GET_DOORBELL)
	s_mov_b32 ttmp2, m0
	s_waitcnt lgkmcnt(0)
	s_and_b32 s0, s0, 0x3ff
	s_delay_alu instid0(SALU_CYCLE_1) | instskip(NEXT) | instid1(SALU_CYCLE_1)
	s_bitset1_b32 s0, 10
	s_mov_b32 m0, s0
	s_sendmsg sendmsg(MSG_INTERRUPT)
	s_mov_b32 m0, ttmp2
.LBB37_77:                              ; =>This Inner Loop Header: Depth=1
	s_sethalt 5
	s_branch .LBB37_77
.LBB37_78:
	s_cbranch_execnz .LBB37_82
; %bb.79:
	s_mov_b32 s3, exec_lo
	s_branch .LBB37_59
.LBB37_80:
	s_trap 2
	s_sendmsg_rtn_b32 s0, sendmsg(MSG_RTN_GET_DOORBELL)
	s_mov_b32 ttmp2, m0
	s_waitcnt lgkmcnt(0)
	s_and_b32 s0, s0, 0x3ff
	s_delay_alu instid0(SALU_CYCLE_1) | instskip(NEXT) | instid1(SALU_CYCLE_1)
	s_bitset1_b32 s0, 10
	s_mov_b32 m0, s0
	s_sendmsg sendmsg(MSG_INTERRUPT)
	s_mov_b32 m0, ttmp2
.LBB37_81:                              ; =>This Inner Loop Header: Depth=1
	s_sethalt 5
	s_branch .LBB37_81
.LBB37_82:
	s_trap 2
	s_sendmsg_rtn_b32 s0, sendmsg(MSG_RTN_GET_DOORBELL)
	s_mov_b32 ttmp2, m0
	s_waitcnt lgkmcnt(0)
	s_and_b32 s0, s0, 0x3ff
	s_delay_alu instid0(SALU_CYCLE_1) | instskip(NEXT) | instid1(SALU_CYCLE_1)
	s_bitset1_b32 s0, 10
	s_mov_b32 m0, s0
	s_sendmsg sendmsg(MSG_INTERRUPT)
	s_mov_b32 m0, ttmp2
.LBB37_83:                              ; =>This Inner Loop Header: Depth=1
	s_sethalt 5
	s_branch .LBB37_83
	.section	.rodata,"a",@progbits
	.p2align	6, 0x0
	.amdhsa_kernel _ZN2at4cuda12_GLOBAL__N_121kernelPointwiseApply2IZNS_6native9templates4cuda28bernoulli_tensor_cuda_kernelIifEEvRKNS_10TensorBaseES9_NS_15PhiloxCudaStateEEUliRiSB_SB_SB_RKfSD_SD_SD_E_iSC_jLi2ELi2ELi4ELi512ELi2EEEvNS0_6detail10TensorInfoIT0_T2_EENSG_IT1_SI_EESI_T_
		.amdhsa_group_segment_fixed_size 0
		.amdhsa_private_segment_fixed_size 0
		.amdhsa_kernarg_size 728
		.amdhsa_user_sgpr_count 15
		.amdhsa_user_sgpr_dispatch_ptr 0
		.amdhsa_user_sgpr_queue_ptr 0
		.amdhsa_user_sgpr_kernarg_segment_ptr 1
		.amdhsa_user_sgpr_dispatch_id 0
		.amdhsa_user_sgpr_private_segment_size 0
		.amdhsa_wavefront_size32 1
		.amdhsa_uses_dynamic_stack 0
		.amdhsa_enable_private_segment 0
		.amdhsa_system_sgpr_workgroup_id_x 1
		.amdhsa_system_sgpr_workgroup_id_y 0
		.amdhsa_system_sgpr_workgroup_id_z 0
		.amdhsa_system_sgpr_workgroup_info 0
		.amdhsa_system_vgpr_workitem_id 0
		.amdhsa_next_free_vgpr 44
		.amdhsa_next_free_sgpr 40
		.amdhsa_reserve_vcc 1
		.amdhsa_float_round_mode_32 0
		.amdhsa_float_round_mode_16_64 0
		.amdhsa_float_denorm_mode_32 3
		.amdhsa_float_denorm_mode_16_64 3
		.amdhsa_dx10_clamp 1
		.amdhsa_ieee_mode 1
		.amdhsa_fp16_overflow 0
		.amdhsa_workgroup_processor_mode 1
		.amdhsa_memory_ordered 1
		.amdhsa_forward_progress 0
		.amdhsa_shared_vgpr_count 0
		.amdhsa_exception_fp_ieee_invalid_op 0
		.amdhsa_exception_fp_denorm_src 0
		.amdhsa_exception_fp_ieee_div_zero 0
		.amdhsa_exception_fp_ieee_overflow 0
		.amdhsa_exception_fp_ieee_underflow 0
		.amdhsa_exception_fp_ieee_inexact 0
		.amdhsa_exception_int_div_zero 0
	.end_amdhsa_kernel
	.section	.text._ZN2at4cuda12_GLOBAL__N_121kernelPointwiseApply2IZNS_6native9templates4cuda28bernoulli_tensor_cuda_kernelIifEEvRKNS_10TensorBaseES9_NS_15PhiloxCudaStateEEUliRiSB_SB_SB_RKfSD_SD_SD_E_iSC_jLi2ELi2ELi4ELi512ELi2EEEvNS0_6detail10TensorInfoIT0_T2_EENSG_IT1_SI_EESI_T_,"axG",@progbits,_ZN2at4cuda12_GLOBAL__N_121kernelPointwiseApply2IZNS_6native9templates4cuda28bernoulli_tensor_cuda_kernelIifEEvRKNS_10TensorBaseES9_NS_15PhiloxCudaStateEEUliRiSB_SB_SB_RKfSD_SD_SD_E_iSC_jLi2ELi2ELi4ELi512ELi2EEEvNS0_6detail10TensorInfoIT0_T2_EENSG_IT1_SI_EESI_T_,comdat
.Lfunc_end37:
	.size	_ZN2at4cuda12_GLOBAL__N_121kernelPointwiseApply2IZNS_6native9templates4cuda28bernoulli_tensor_cuda_kernelIifEEvRKNS_10TensorBaseES9_NS_15PhiloxCudaStateEEUliRiSB_SB_SB_RKfSD_SD_SD_E_iSC_jLi2ELi2ELi4ELi512ELi2EEEvNS0_6detail10TensorInfoIT0_T2_EENSG_IT1_SI_EESI_T_, .Lfunc_end37-_ZN2at4cuda12_GLOBAL__N_121kernelPointwiseApply2IZNS_6native9templates4cuda28bernoulli_tensor_cuda_kernelIifEEvRKNS_10TensorBaseES9_NS_15PhiloxCudaStateEEUliRiSB_SB_SB_RKfSD_SD_SD_E_iSC_jLi2ELi2ELi4ELi512ELi2EEEvNS0_6detail10TensorInfoIT0_T2_EENSG_IT1_SI_EESI_T_
                                        ; -- End function
	.section	.AMDGPU.csdata,"",@progbits
; Kernel info:
; codeLenInByte = 4236
; NumSgprs: 42
; NumVgprs: 44
; ScratchSize: 0
; MemoryBound: 0
; FloatMode: 240
; IeeeMode: 1
; LDSByteSize: 0 bytes/workgroup (compile time only)
; SGPRBlocks: 5
; VGPRBlocks: 5
; NumSGPRsForWavesPerEU: 42
; NumVGPRsForWavesPerEU: 44
; Occupancy: 16
; WaveLimiterHint : 1
; COMPUTE_PGM_RSRC2:SCRATCH_EN: 0
; COMPUTE_PGM_RSRC2:USER_SGPR: 15
; COMPUTE_PGM_RSRC2:TRAP_HANDLER: 0
; COMPUTE_PGM_RSRC2:TGID_X_EN: 1
; COMPUTE_PGM_RSRC2:TGID_Y_EN: 0
; COMPUTE_PGM_RSRC2:TGID_Z_EN: 0
; COMPUTE_PGM_RSRC2:TIDIG_COMP_CNT: 0
	.section	.text._ZN2at4cuda12_GLOBAL__N_121kernelPointwiseApply2IZNS_6native9templates4cuda28bernoulli_tensor_cuda_kernelIifEEvRKNS_10TensorBaseES9_NS_15PhiloxCudaStateEEUliRiSB_SB_SB_RKfSD_SD_SD_E_iSC_jLi2ELin1ELi4ELi512ELi2EEEvNS0_6detail10TensorInfoIT0_T2_EENSG_IT1_SI_EESI_T_,"axG",@progbits,_ZN2at4cuda12_GLOBAL__N_121kernelPointwiseApply2IZNS_6native9templates4cuda28bernoulli_tensor_cuda_kernelIifEEvRKNS_10TensorBaseES9_NS_15PhiloxCudaStateEEUliRiSB_SB_SB_RKfSD_SD_SD_E_iSC_jLi2ELin1ELi4ELi512ELi2EEEvNS0_6detail10TensorInfoIT0_T2_EENSG_IT1_SI_EESI_T_,comdat
	.globl	_ZN2at4cuda12_GLOBAL__N_121kernelPointwiseApply2IZNS_6native9templates4cuda28bernoulli_tensor_cuda_kernelIifEEvRKNS_10TensorBaseES9_NS_15PhiloxCudaStateEEUliRiSB_SB_SB_RKfSD_SD_SD_E_iSC_jLi2ELin1ELi4ELi512ELi2EEEvNS0_6detail10TensorInfoIT0_T2_EENSG_IT1_SI_EESI_T_ ; -- Begin function _ZN2at4cuda12_GLOBAL__N_121kernelPointwiseApply2IZNS_6native9templates4cuda28bernoulli_tensor_cuda_kernelIifEEvRKNS_10TensorBaseES9_NS_15PhiloxCudaStateEEUliRiSB_SB_SB_RKfSD_SD_SD_E_iSC_jLi2ELin1ELi4ELi512ELi2EEEvNS0_6detail10TensorInfoIT0_T2_EENSG_IT1_SI_EESI_T_
	.p2align	8
	.type	_ZN2at4cuda12_GLOBAL__N_121kernelPointwiseApply2IZNS_6native9templates4cuda28bernoulli_tensor_cuda_kernelIifEEvRKNS_10TensorBaseES9_NS_15PhiloxCudaStateEEUliRiSB_SB_SB_RKfSD_SD_SD_E_iSC_jLi2ELin1ELi4ELi512ELi2EEEvNS0_6detail10TensorInfoIT0_T2_EENSG_IT1_SI_EESI_T_,@function
_ZN2at4cuda12_GLOBAL__N_121kernelPointwiseApply2IZNS_6native9templates4cuda28bernoulli_tensor_cuda_kernelIifEEvRKNS_10TensorBaseES9_NS_15PhiloxCudaStateEEUliRiSB_SB_SB_RKfSD_SD_SD_E_iSC_jLi2ELin1ELi4ELi512ELi2EEEvNS0_6detail10TensorInfoIT0_T2_EENSG_IT1_SI_EESI_T_: ; @_ZN2at4cuda12_GLOBAL__N_121kernelPointwiseApply2IZNS_6native9templates4cuda28bernoulli_tensor_cuda_kernelIifEEvRKNS_10TensorBaseES9_NS_15PhiloxCudaStateEEUliRiSB_SB_SB_RKfSD_SD_SD_E_iSC_jLi2ELin1ELi4ELi512ELi2EEEvNS0_6detail10TensorInfoIT0_T2_EENSG_IT1_SI_EESI_T_
; %bb.0:
	s_clause 0x1
	s_load_b32 s2, s[0:1], 0x1e4
	s_load_b32 s18, s[0:1], 0x1b0
	s_add_u32 s4, s0, 0x1d8
	s_addc_u32 s5, s1, 0
	s_waitcnt lgkmcnt(0)
	s_and_b32 s14, s2, 0xffff
	s_mov_b32 s2, exec_lo
	v_mad_u64_u32 v[1:2], null, s15, s14, v[0:1]
	s_delay_alu instid0(VALU_DEP_1) | instskip(NEXT) | instid1(VALU_DEP_1)
	v_lshlrev_b32_e32 v27, 2, v1
	v_cmpx_gt_u32_e64 s18, v27
	s_cbranch_execz .LBB38_81
; %bb.1:
	s_clause 0x4
	s_load_b32 s19, s[0:1], 0xc
	s_load_b32 s16, s[0:1], 0x1a8
	;; [unrolled: 1-line block ×3, first 2 shown]
	s_load_b64 s[2:3], s[0:1], 0x6c
	s_load_b64 s[8:9], s[0:1], 0xd8
	s_add_u32 s17, s0, 0xd8
	s_load_b32 s15, s[4:5], 0x0
	s_load_b32 s20, s[0:1], 0x144
	s_addc_u32 s23, s1, 0
	s_load_b64 s[10:11], s[0:1], 0x0
	v_mad_u64_u32 v[2:3], null, 0xcd9e8d57, v1, 0
                                        ; implicit-def: $sgpr26
                                        ; implicit-def: $sgpr28
                                        ; implicit-def: $sgpr27
                                        ; implicit-def: $sgpr29
                                        ; implicit-def: $sgpr31
                                        ; implicit-def: $sgpr30
                                        ; implicit-def: $sgpr33
	s_delay_alu instid0(VALU_DEP_1)
	v_mov_b32_e32 v28, v3
	s_waitcnt lgkmcnt(0)
	v_cvt_f32_u32_e32 v0, s19
	s_cmp_gt_i32 s16, 1
	s_cselect_b32 s21, -1, 0
	s_bitcmp1_b32 s6, 0
	s_delay_alu instid0(VALU_DEP_1)
	v_rcp_iflag_f32_e32 v0, v0
	s_cselect_b32 s22, -1, 0
	s_sub_i32 s4, 0, s19
	s_mul_i32 s15, s15, s14
	s_add_i32 s25, s16, 1
	s_lshl_b32 s24, s15, 2
	s_waitcnt_depctr 0xfff
	v_mul_f32_e32 v0, 0x4f7ffffe, v0
	s_delay_alu instid0(VALU_DEP_1) | instskip(NEXT) | instid1(VALU_DEP_1)
	v_cvt_u32_f32_e32 v0, v0
	v_mul_lo_u32 v5, s4, v0
	s_clause 0x1
	s_load_b64 s[12:13], s[0:1], 0x1c8
	s_load_b128 s[4:7], s[0:1], 0x1b8
	s_mov_b32 s1, 0
	s_add_i32 s0, s16, -1
	s_delay_alu instid0(SALU_CYCLE_1) | instskip(NEXT) | instid1(SALU_CYCLE_1)
	s_lshl_b64 s[14:15], s[0:1], 2
	s_add_u32 s0, s14, s17
	v_mul_hi_u32 v5, v0, v5
	v_mov_b32_e32 v4, 0
	s_addc_u32 s15, s15, s23
	s_add_u32 s14, s0, 8
	s_addc_u32 s15, s15, 0
                                        ; implicit-def: $sgpr23
	s_delay_alu instid0(VALU_DEP_2)
	v_add_nc_u32_e32 v29, v0, v5
	s_branch .LBB38_3
.LBB38_2:                               ;   in Loop: Header=BB38_3 Depth=1
	s_or_b32 exec_lo, exec_lo, s16
	s_delay_alu instid0(SALU_CYCLE_1) | instskip(NEXT) | instid1(SALU_CYCLE_1)
	s_and_b32 s0, exec_lo, s0
	s_or_b32 s1, s0, s1
	s_and_not1_b32 s0, s23, exec_lo
	s_and_b32 s16, s33, exec_lo
	s_and_not1_b32 s17, s27, exec_lo
	s_and_b32 s27, s30, exec_lo
	s_or_b32 s23, s0, s16
	s_or_b32 s27, s17, s27
	s_and_not1_b32 s0, s28, exec_lo
	s_and_b32 s16, s31, exec_lo
	s_and_not1_b32 s17, s26, exec_lo
	s_and_b32 s26, s29, exec_lo
	s_or_b32 s28, s0, s16
	s_or_b32 s26, s17, s26
	s_and_not1_b32 exec_lo, exec_lo, s1
	s_cbranch_execz .LBB38_69
.LBB38_3:                               ; =>This Loop Header: Depth=1
                                        ;     Child Loop BB38_8 Depth 2
                                        ;     Child Loop BB38_15 Depth 2
	;; [unrolled: 1-line block ×4, first 2 shown]
	v_sub_nc_u32_e32 v30, s18, v27
	v_mov_b32_e32 v5, 0
	s_delay_alu instid0(VALU_DEP_2)
	v_cmp_lt_i32_e32 vcc_lo, 0, v30
	s_and_saveexec_b32 s16, vcc_lo
	s_cbranch_execz .LBB38_5
; %bb.4:                                ;   in Loop: Header=BB38_3 Depth=1
	v_mul_hi_u32 v0, v27, v29
	s_delay_alu instid0(VALU_DEP_1) | instskip(SKIP_1) | instid1(VALU_DEP_2)
	v_mul_lo_u32 v3, v0, s19
	v_add_nc_u32_e32 v5, 1, v0
	v_sub_nc_u32_e32 v3, v27, v3
	s_delay_alu instid0(VALU_DEP_1) | instskip(SKIP_1) | instid1(VALU_DEP_1)
	v_subrev_nc_u32_e32 v6, s19, v3
	v_cmp_le_u32_e64 s0, s19, v3
	v_cndmask_b32_e64 v0, v0, v5, s0
	s_delay_alu instid0(VALU_DEP_3) | instskip(NEXT) | instid1(VALU_DEP_2)
	v_cndmask_b32_e64 v3, v3, v6, s0
	v_add_nc_u32_e32 v5, 1, v0
	s_delay_alu instid0(VALU_DEP_2) | instskip(NEXT) | instid1(VALU_DEP_1)
	v_cmp_le_u32_e64 s0, s19, v3
	v_cndmask_b32_e64 v3, v0, v5, s0
	s_delay_alu instid0(VALU_DEP_1) | instskip(NEXT) | instid1(VALU_DEP_1)
	v_mul_lo_u32 v0, v3, s19
	v_sub_nc_u32_e32 v0, v27, v0
	s_delay_alu instid0(VALU_DEP_1) | instskip(NEXT) | instid1(VALU_DEP_1)
	v_mul_lo_u32 v0, v0, s3
	v_mad_u64_u32 v[5:6], null, v3, s2, v[0:1]
.LBB38_5:                               ;   in Loop: Header=BB38_3 Depth=1
	s_or_b32 exec_lo, exec_lo, s16
	v_mov_b32_e32 v3, 0
	s_and_saveexec_b32 s0, vcc_lo
	s_cbranch_execz .LBB38_10
; %bb.6:                                ;   in Loop: Header=BB38_3 Depth=1
	v_dual_mov_b32 v0, 0 :: v_dual_mov_b32 v3, v27
	s_and_not1_b32 vcc_lo, exec_lo, s21
	s_cbranch_vccnz .LBB38_9
; %bb.7:                                ;   in Loop: Header=BB38_3 Depth=1
	v_dual_mov_b32 v0, 0 :: v_dual_mov_b32 v3, v27
	s_mov_b64 s[16:17], s[14:15]
	s_mov_b32 s34, s25
	s_set_inst_prefetch_distance 0x1
	.p2align	6
.LBB38_8:                               ;   Parent Loop BB38_3 Depth=1
                                        ; =>  This Inner Loop Header: Depth=2
	s_clause 0x1
	s_load_b32 s35, s[16:17], 0x0
	s_load_b32 s36, s[16:17], 0x64
	s_add_i32 s34, s34, -1
	s_waitcnt lgkmcnt(0)
	v_cvt_f32_u32_e32 v6, s35
	s_sub_i32 s37, 0, s35
	s_add_u32 s16, s16, -4
	s_addc_u32 s17, s17, -1
	s_cmp_gt_u32 s34, 2
	v_rcp_iflag_f32_e32 v6, v6
	s_waitcnt_depctr 0xfff
	v_mul_f32_e32 v6, 0x4f7ffffe, v6
	s_delay_alu instid0(VALU_DEP_1) | instskip(NEXT) | instid1(VALU_DEP_1)
	v_cvt_u32_f32_e32 v6, v6
	v_mul_lo_u32 v7, s37, v6
	s_delay_alu instid0(VALU_DEP_1) | instskip(NEXT) | instid1(VALU_DEP_1)
	v_mul_hi_u32 v7, v6, v7
	v_dual_mov_b32 v8, v3 :: v_dual_add_nc_u32 v3, v6, v7
	s_delay_alu instid0(VALU_DEP_1) | instskip(NEXT) | instid1(VALU_DEP_1)
	v_mul_hi_u32 v3, v8, v3
	v_mul_lo_u32 v6, v3, s35
	v_add_nc_u32_e32 v7, 1, v3
	s_delay_alu instid0(VALU_DEP_2) | instskip(NEXT) | instid1(VALU_DEP_1)
	v_sub_nc_u32_e32 v6, v8, v6
	v_subrev_nc_u32_e32 v9, s35, v6
	v_cmp_le_u32_e32 vcc_lo, s35, v6
	s_delay_alu instid0(VALU_DEP_2) | instskip(NEXT) | instid1(VALU_DEP_1)
	v_dual_cndmask_b32 v3, v3, v7 :: v_dual_cndmask_b32 v6, v6, v9
	v_add_nc_u32_e32 v7, 1, v3
	s_delay_alu instid0(VALU_DEP_2) | instskip(NEXT) | instid1(VALU_DEP_2)
	v_cmp_le_u32_e32 vcc_lo, s35, v6
	v_cndmask_b32_e32 v3, v3, v7, vcc_lo
	s_delay_alu instid0(VALU_DEP_1) | instskip(NEXT) | instid1(VALU_DEP_1)
	v_mul_lo_u32 v6, v3, s35
	v_sub_nc_u32_e32 v8, v8, v6
	s_delay_alu instid0(VALU_DEP_1) | instskip(NEXT) | instid1(VALU_DEP_1)
	v_mad_u64_u32 v[6:7], null, s36, v8, v[0:1]
	v_mov_b32_e32 v0, v6
	s_cbranch_scc1 .LBB38_8
.LBB38_9:                               ;   in Loop: Header=BB38_3 Depth=1
	s_set_inst_prefetch_distance 0x2
	s_delay_alu instid0(VALU_DEP_1) | instskip(NEXT) | instid1(VALU_DEP_1)
	v_mad_u64_u32 v[6:7], null, s20, v3, v[0:1]
	v_mov_b32_e32 v3, v6
.LBB38_10:                              ;   in Loop: Header=BB38_3 Depth=1
	s_or_b32 exec_lo, exec_lo, s0
	v_or_b32_e32 v8, 1, v27
	v_cmp_lt_i32_e32 vcc_lo, 1, v30
	v_mov_b32_e32 v10, 0
	v_mov_b32_e32 v6, 0
	s_and_saveexec_b32 s16, vcc_lo
	s_cbranch_execz .LBB38_12
; %bb.11:                               ;   in Loop: Header=BB38_3 Depth=1
	v_mul_hi_u32 v0, v8, v29
	s_delay_alu instid0(VALU_DEP_1) | instskip(SKIP_1) | instid1(VALU_DEP_2)
	v_mul_lo_u32 v6, v0, s19
	v_add_nc_u32_e32 v7, 1, v0
	v_sub_nc_u32_e32 v6, v8, v6
	s_delay_alu instid0(VALU_DEP_1) | instskip(SKIP_1) | instid1(VALU_DEP_1)
	v_subrev_nc_u32_e32 v9, s19, v6
	v_cmp_le_u32_e64 s0, s19, v6
	v_cndmask_b32_e64 v0, v0, v7, s0
	s_delay_alu instid0(VALU_DEP_3) | instskip(NEXT) | instid1(VALU_DEP_2)
	v_cndmask_b32_e64 v6, v6, v9, s0
	v_add_nc_u32_e32 v7, 1, v0
	s_delay_alu instid0(VALU_DEP_2) | instskip(NEXT) | instid1(VALU_DEP_1)
	v_cmp_le_u32_e64 s0, s19, v6
	v_cndmask_b32_e64 v9, v0, v7, s0
	s_delay_alu instid0(VALU_DEP_1) | instskip(NEXT) | instid1(VALU_DEP_1)
	v_mul_lo_u32 v0, v9, s19
	v_sub_nc_u32_e32 v0, v8, v0
	s_delay_alu instid0(VALU_DEP_1) | instskip(NEXT) | instid1(VALU_DEP_1)
	v_mul_lo_u32 v0, v0, s3
	v_mad_u64_u32 v[6:7], null, v9, s2, v[0:1]
.LBB38_12:                              ;   in Loop: Header=BB38_3 Depth=1
	s_or_b32 exec_lo, exec_lo, s16
	s_and_saveexec_b32 s0, vcc_lo
	s_cbranch_execz .LBB38_17
; %bb.13:                               ;   in Loop: Header=BB38_3 Depth=1
	v_mov_b32_e32 v0, 0
	s_and_not1_b32 vcc_lo, exec_lo, s21
	s_cbranch_vccnz .LBB38_16
; %bb.14:                               ;   in Loop: Header=BB38_3 Depth=1
	v_mov_b32_e32 v0, 0
	s_mov_b64 s[16:17], s[14:15]
	s_mov_b32 s34, s25
	s_set_inst_prefetch_distance 0x1
	.p2align	6
.LBB38_15:                              ;   Parent Loop BB38_3 Depth=1
                                        ; =>  This Inner Loop Header: Depth=2
	s_clause 0x1
	s_load_b32 s35, s[16:17], 0x0
	s_load_b32 s36, s[16:17], 0x64
	s_add_i32 s34, s34, -1
	v_mov_b32_e32 v10, v8
	s_waitcnt lgkmcnt(0)
	v_cvt_f32_u32_e32 v7, s35
	s_sub_i32 s37, 0, s35
	s_add_u32 s16, s16, -4
	s_addc_u32 s17, s17, -1
	s_cmp_gt_u32 s34, 2
	v_rcp_iflag_f32_e32 v7, v7
	s_waitcnt_depctr 0xfff
	v_mul_f32_e32 v7, 0x4f7ffffe, v7
	s_delay_alu instid0(VALU_DEP_1) | instskip(NEXT) | instid1(VALU_DEP_1)
	v_cvt_u32_f32_e32 v7, v7
	v_mul_lo_u32 v9, s37, v7
	s_delay_alu instid0(VALU_DEP_1) | instskip(NEXT) | instid1(VALU_DEP_1)
	v_mul_hi_u32 v9, v7, v9
	v_add_nc_u32_e32 v7, v7, v9
	s_delay_alu instid0(VALU_DEP_1) | instskip(NEXT) | instid1(VALU_DEP_1)
	v_mul_hi_u32 v7, v10, v7
	v_mul_lo_u32 v8, v7, s35
	v_add_nc_u32_e32 v9, 1, v7
	s_delay_alu instid0(VALU_DEP_2) | instskip(NEXT) | instid1(VALU_DEP_1)
	v_sub_nc_u32_e32 v8, v10, v8
	v_subrev_nc_u32_e32 v11, s35, v8
	v_cmp_le_u32_e32 vcc_lo, s35, v8
	s_delay_alu instid0(VALU_DEP_2) | instskip(NEXT) | instid1(VALU_DEP_1)
	v_dual_cndmask_b32 v8, v8, v11 :: v_dual_cndmask_b32 v7, v7, v9
	v_cmp_le_u32_e32 vcc_lo, s35, v8
	s_delay_alu instid0(VALU_DEP_2) | instskip(NEXT) | instid1(VALU_DEP_1)
	v_add_nc_u32_e32 v9, 1, v7
	v_cndmask_b32_e32 v8, v7, v9, vcc_lo
	s_delay_alu instid0(VALU_DEP_1) | instskip(NEXT) | instid1(VALU_DEP_1)
	v_mul_lo_u32 v7, v8, s35
	v_sub_nc_u32_e32 v7, v10, v7
	s_delay_alu instid0(VALU_DEP_1) | instskip(NEXT) | instid1(VALU_DEP_1)
	v_mad_u64_u32 v[9:10], null, s36, v7, v[0:1]
	v_mov_b32_e32 v0, v9
	s_cbranch_scc1 .LBB38_15
.LBB38_16:                              ;   in Loop: Header=BB38_3 Depth=1
	s_set_inst_prefetch_distance 0x2
	s_delay_alu instid0(VALU_DEP_1)
	v_mad_u64_u32 v[10:11], null, s20, v8, v[0:1]
.LBB38_17:                              ;   in Loop: Header=BB38_3 Depth=1
	s_or_b32 exec_lo, exec_lo, s0
	v_or_b32_e32 v9, 2, v27
	v_cmp_lt_i32_e32 vcc_lo, 2, v30
	v_mov_b32_e32 v7, 0
	s_and_saveexec_b32 s16, vcc_lo
	s_cbranch_execz .LBB38_19
; %bb.18:                               ;   in Loop: Header=BB38_3 Depth=1
	v_mul_hi_u32 v0, v9, v29
	s_delay_alu instid0(VALU_DEP_1) | instskip(SKIP_1) | instid1(VALU_DEP_2)
	v_mul_lo_u32 v7, v0, s19
	v_add_nc_u32_e32 v8, 1, v0
	v_sub_nc_u32_e32 v7, v9, v7
	s_delay_alu instid0(VALU_DEP_1) | instskip(SKIP_1) | instid1(VALU_DEP_1)
	v_subrev_nc_u32_e32 v11, s19, v7
	v_cmp_le_u32_e64 s0, s19, v7
	v_cndmask_b32_e64 v0, v0, v8, s0
	s_delay_alu instid0(VALU_DEP_3) | instskip(NEXT) | instid1(VALU_DEP_2)
	v_cndmask_b32_e64 v7, v7, v11, s0
	v_add_nc_u32_e32 v8, 1, v0
	s_delay_alu instid0(VALU_DEP_2) | instskip(NEXT) | instid1(VALU_DEP_1)
	v_cmp_le_u32_e64 s0, s19, v7
	v_cndmask_b32_e64 v11, v0, v8, s0
	s_delay_alu instid0(VALU_DEP_1) | instskip(NEXT) | instid1(VALU_DEP_1)
	v_mul_lo_u32 v0, v11, s19
	v_sub_nc_u32_e32 v0, v9, v0
	s_delay_alu instid0(VALU_DEP_1) | instskip(NEXT) | instid1(VALU_DEP_1)
	v_mul_lo_u32 v0, v0, s3
	v_mad_u64_u32 v[7:8], null, v11, s2, v[0:1]
.LBB38_19:                              ;   in Loop: Header=BB38_3 Depth=1
	s_or_b32 exec_lo, exec_lo, s16
	v_mov_b32_e32 v12, 0
	v_mov_b32_e32 v13, 0
	s_and_saveexec_b32 s0, vcc_lo
	s_cbranch_execz .LBB38_24
; %bb.20:                               ;   in Loop: Header=BB38_3 Depth=1
	v_mov_b32_e32 v0, 0
	s_and_not1_b32 vcc_lo, exec_lo, s21
	s_cbranch_vccnz .LBB38_23
; %bb.21:                               ;   in Loop: Header=BB38_3 Depth=1
	v_mov_b32_e32 v0, 0
	s_mov_b64 s[16:17], s[14:15]
	s_mov_b32 s34, s25
	s_set_inst_prefetch_distance 0x1
	.p2align	6
.LBB38_22:                              ;   Parent Loop BB38_3 Depth=1
                                        ; =>  This Inner Loop Header: Depth=2
	s_clause 0x1
	s_load_b32 s35, s[16:17], 0x0
	s_load_b32 s36, s[16:17], 0x64
	v_mov_b32_e32 v12, v9
	s_add_i32 s34, s34, -1
	s_waitcnt lgkmcnt(0)
	v_cvt_f32_u32_e32 v8, s35
	s_sub_i32 s37, 0, s35
	s_add_u32 s16, s16, -4
	s_addc_u32 s17, s17, -1
	s_cmp_gt_u32 s34, 2
	v_rcp_iflag_f32_e32 v8, v8
	s_waitcnt_depctr 0xfff
	v_mul_f32_e32 v8, 0x4f7ffffe, v8
	s_delay_alu instid0(VALU_DEP_1) | instskip(NEXT) | instid1(VALU_DEP_1)
	v_cvt_u32_f32_e32 v8, v8
	v_mul_lo_u32 v11, s37, v8
	s_delay_alu instid0(VALU_DEP_1) | instskip(NEXT) | instid1(VALU_DEP_1)
	v_mul_hi_u32 v11, v8, v11
	v_add_nc_u32_e32 v8, v8, v11
	s_delay_alu instid0(VALU_DEP_1) | instskip(NEXT) | instid1(VALU_DEP_1)
	v_mul_hi_u32 v8, v12, v8
	v_mul_lo_u32 v9, v8, s35
	v_add_nc_u32_e32 v11, 1, v8
	s_delay_alu instid0(VALU_DEP_2) | instskip(NEXT) | instid1(VALU_DEP_1)
	v_sub_nc_u32_e32 v9, v12, v9
	v_subrev_nc_u32_e32 v13, s35, v9
	v_cmp_le_u32_e32 vcc_lo, s35, v9
	s_delay_alu instid0(VALU_DEP_2) | instskip(NEXT) | instid1(VALU_DEP_1)
	v_dual_cndmask_b32 v9, v9, v13 :: v_dual_cndmask_b32 v8, v8, v11
	v_cmp_le_u32_e32 vcc_lo, s35, v9
	s_delay_alu instid0(VALU_DEP_2) | instskip(NEXT) | instid1(VALU_DEP_1)
	v_add_nc_u32_e32 v11, 1, v8
	v_cndmask_b32_e32 v9, v8, v11, vcc_lo
	s_delay_alu instid0(VALU_DEP_1) | instskip(NEXT) | instid1(VALU_DEP_1)
	v_mul_lo_u32 v8, v9, s35
	v_sub_nc_u32_e32 v8, v12, v8
	s_delay_alu instid0(VALU_DEP_1) | instskip(NEXT) | instid1(VALU_DEP_1)
	v_mad_u64_u32 v[11:12], null, s36, v8, v[0:1]
	v_mov_b32_e32 v0, v11
	s_cbranch_scc1 .LBB38_22
.LBB38_23:                              ;   in Loop: Header=BB38_3 Depth=1
	s_set_inst_prefetch_distance 0x2
	s_delay_alu instid0(VALU_DEP_1)
	v_mad_u64_u32 v[12:13], null, s20, v9, v[0:1]
	v_mov_b32_e32 v13, v4
.LBB38_24:                              ;   in Loop: Header=BB38_3 Depth=1
	s_or_b32 exec_lo, exec_lo, s0
	v_mov_b32_e32 v14, 0
	v_mov_b32_e32 v15, 0
	v_or_b32_e32 v11, 3, v27
	v_cmp_lt_i32_e32 vcc_lo, 3, v30
	s_delay_alu instid0(VALU_DEP_3)
	v_dual_mov_b32 v8, v14 :: v_dual_mov_b32 v9, v15
	s_and_saveexec_b32 s16, vcc_lo
	s_cbranch_execz .LBB38_26
; %bb.25:                               ;   in Loop: Header=BB38_3 Depth=1
	v_mul_hi_u32 v0, v11, v29
	s_delay_alu instid0(VALU_DEP_1) | instskip(SKIP_1) | instid1(VALU_DEP_2)
	v_mul_lo_u32 v8, v0, s19
	v_add_nc_u32_e32 v9, 1, v0
	v_sub_nc_u32_e32 v8, v11, v8
	s_delay_alu instid0(VALU_DEP_1) | instskip(SKIP_1) | instid1(VALU_DEP_1)
	v_subrev_nc_u32_e32 v16, s19, v8
	v_cmp_le_u32_e64 s0, s19, v8
	v_cndmask_b32_e64 v0, v0, v9, s0
	s_delay_alu instid0(VALU_DEP_3) | instskip(NEXT) | instid1(VALU_DEP_2)
	v_cndmask_b32_e64 v8, v8, v16, s0
	v_add_nc_u32_e32 v9, 1, v0
	s_delay_alu instid0(VALU_DEP_2) | instskip(NEXT) | instid1(VALU_DEP_1)
	v_cmp_le_u32_e64 s0, s19, v8
	v_cndmask_b32_e64 v16, v0, v9, s0
	s_delay_alu instid0(VALU_DEP_1) | instskip(NEXT) | instid1(VALU_DEP_1)
	v_mul_lo_u32 v0, v16, s19
	v_sub_nc_u32_e32 v0, v11, v0
	s_delay_alu instid0(VALU_DEP_1) | instskip(NEXT) | instid1(VALU_DEP_1)
	v_mul_lo_u32 v0, v0, s3
	v_mad_u64_u32 v[8:9], null, v16, s2, v[0:1]
	v_mov_b32_e32 v9, v4
.LBB38_26:                              ;   in Loop: Header=BB38_3 Depth=1
	s_or_b32 exec_lo, exec_lo, s16
	s_and_saveexec_b32 s0, vcc_lo
	s_cbranch_execz .LBB38_31
; %bb.27:                               ;   in Loop: Header=BB38_3 Depth=1
	v_mov_b32_e32 v0, 0
	s_and_not1_b32 vcc_lo, exec_lo, s21
	s_cbranch_vccnz .LBB38_30
; %bb.28:                               ;   in Loop: Header=BB38_3 Depth=1
	v_mov_b32_e32 v0, 0
	s_mov_b64 s[16:17], s[14:15]
	s_mov_b32 s34, s25
	s_set_inst_prefetch_distance 0x1
	.p2align	6
.LBB38_29:                              ;   Parent Loop BB38_3 Depth=1
                                        ; =>  This Inner Loop Header: Depth=2
	s_clause 0x1
	s_load_b32 s35, s[16:17], 0x0
	s_load_b32 s36, s[16:17], 0x64
	s_add_i32 s34, s34, -1
	s_waitcnt lgkmcnt(0)
	v_cvt_f32_u32_e32 v14, s35
	s_sub_i32 s37, 0, s35
	s_add_u32 s16, s16, -4
	s_addc_u32 s17, s17, -1
	s_cmp_gt_u32 s34, 2
	v_rcp_iflag_f32_e32 v14, v14
	s_waitcnt_depctr 0xfff
	v_mul_f32_e32 v14, 0x4f7ffffe, v14
	s_delay_alu instid0(VALU_DEP_1) | instskip(NEXT) | instid1(VALU_DEP_1)
	v_cvt_u32_f32_e32 v14, v14
	v_mul_lo_u32 v15, s37, v14
	s_delay_alu instid0(VALU_DEP_1) | instskip(NEXT) | instid1(VALU_DEP_1)
	v_mul_hi_u32 v15, v14, v15
	v_dual_mov_b32 v16, v11 :: v_dual_add_nc_u32 v11, v14, v15
	s_delay_alu instid0(VALU_DEP_1) | instskip(NEXT) | instid1(VALU_DEP_1)
	v_mul_hi_u32 v11, v16, v11
	v_mul_lo_u32 v14, v11, s35
	v_add_nc_u32_e32 v15, 1, v11
	s_delay_alu instid0(VALU_DEP_2) | instskip(NEXT) | instid1(VALU_DEP_1)
	v_sub_nc_u32_e32 v14, v16, v14
	v_subrev_nc_u32_e32 v17, s35, v14
	v_cmp_le_u32_e32 vcc_lo, s35, v14
	s_delay_alu instid0(VALU_DEP_2) | instskip(NEXT) | instid1(VALU_DEP_1)
	v_dual_cndmask_b32 v11, v11, v15 :: v_dual_cndmask_b32 v14, v14, v17
	v_add_nc_u32_e32 v15, 1, v11
	s_delay_alu instid0(VALU_DEP_2) | instskip(NEXT) | instid1(VALU_DEP_2)
	v_cmp_le_u32_e32 vcc_lo, s35, v14
	v_cndmask_b32_e32 v11, v11, v15, vcc_lo
	s_delay_alu instid0(VALU_DEP_1) | instskip(NEXT) | instid1(VALU_DEP_1)
	v_mul_lo_u32 v14, v11, s35
	v_sub_nc_u32_e32 v16, v16, v14
	s_delay_alu instid0(VALU_DEP_1) | instskip(NEXT) | instid1(VALU_DEP_1)
	v_mad_u64_u32 v[14:15], null, s36, v16, v[0:1]
	v_mov_b32_e32 v0, v14
	s_cbranch_scc1 .LBB38_29
.LBB38_30:                              ;   in Loop: Header=BB38_3 Depth=1
	s_set_inst_prefetch_distance 0x2
	s_delay_alu instid0(VALU_DEP_1)
	v_mad_u64_u32 v[14:15], null, s20, v11, v[0:1]
	v_mov_b32_e32 v15, v4
.LBB38_31:                              ;   in Loop: Header=BB38_3 Depth=1
	s_or_b32 exec_lo, exec_lo, s0
	v_mov_b32_e32 v11, v4
	v_lshlrev_b64 v[16:17], 2, v[3:4]
	v_lshlrev_b64 v[12:13], 2, v[12:13]
	;; [unrolled: 1-line block ×3, first 2 shown]
	s_delay_alu instid0(VALU_DEP_4) | instskip(NEXT) | instid1(VALU_DEP_4)
	v_lshlrev_b64 v[10:11], 2, v[10:11]
	v_add_co_u32 v16, vcc_lo, s8, v16
	v_add_co_ci_u32_e32 v17, vcc_lo, s9, v17, vcc_lo
	s_delay_alu instid0(VALU_DEP_3) | instskip(NEXT) | instid1(VALU_DEP_4)
	v_add_co_u32 v10, vcc_lo, s8, v10
	v_add_co_ci_u32_e32 v11, vcc_lo, s9, v11, vcc_lo
	v_add_co_u32 v12, vcc_lo, s8, v12
	v_add_co_ci_u32_e32 v13, vcc_lo, s9, v13, vcc_lo
	;; [unrolled: 2-line block ×3, first 2 shown]
	s_clause 0x3
	global_load_b32 v0, v[16:17], off
	global_load_b32 v3, v[10:11], off
	;; [unrolled: 1-line block ×4, first 2 shown]
	s_waitcnt lgkmcnt(0)
	v_mov_b32_e32 v15, s7
	v_dual_mov_b32 v17, s5 :: v_dual_mov_b32 v16, s4
	v_mov_b32_e32 v14, s6
	s_and_not1_b32 vcc_lo, exec_lo, s22
	s_cbranch_vccnz .LBB38_33
; %bb.32:                               ;   in Loop: Header=BB38_3 Depth=1
	v_dual_mov_b32 v11, s7 :: v_dual_mov_b32 v10, s6
	v_dual_mov_b32 v13, s5 :: v_dual_mov_b32 v12, s4
	flat_load_b64 v[10:11], v[10:11]
	flat_load_b64 v[16:17], v[12:13]
	s_waitcnt vmcnt(1) lgkmcnt(1)
	v_add_co_u32 v14, vcc_lo, v10, s12
	v_add_co_ci_u32_e32 v15, vcc_lo, s13, v11, vcc_lo
.LBB38_33:                              ;   in Loop: Header=BB38_3 Depth=1
	s_delay_alu instid0(VALU_DEP_1)
	v_alignbit_b32 v13, v15, v14, 2
	v_lshrrev_b32_e32 v12, 2, v15
	s_waitcnt vmcnt(0) lgkmcnt(0)
	v_add_nc_u32_e32 v34, 0xbb67ae85, v17
	v_add_nc_u32_e32 v35, 0x76cf5d0a, v17
	v_add_nc_u32_e32 v36, 0xdaa66d2b, v16
	v_add_co_u32 v15, vcc_lo, v13, 1
	s_delay_alu instid0(VALU_DEP_1) | instskip(SKIP_4) | instid1(VALU_DEP_4)
	v_cndmask_b32_e64 v10, 0, 1, vcc_lo
	v_add_co_ci_u32_e32 v24, vcc_lo, 0, v12, vcc_lo
	v_xor3_b32 v20, v28, v16, v12
	v_add_nc_u32_e32 v37, 0x32370b8f, v17
	v_add_nc_u32_e32 v38, 0xed9eba14, v17
	v_cmp_eq_u32_e32 vcc_lo, 0, v24
	v_add_nc_u32_e32 v39, 0x1715609d, v16
	v_add_nc_u32_e32 v40, 0xa9066899, v17
	s_mov_b32 s0, exec_lo
	v_dual_cndmask_b32 v18, 0, v10 :: v_dual_add_nc_u32 v33, 0x9e3779b9, v16
	v_mad_u64_u32 v[10:11], null, 0xd2511f53, v15, 0
	s_delay_alu instid0(VALU_DEP_2) | instskip(NEXT) | instid1(VALU_DEP_2)
	v_add_nc_u32_e32 v15, v18, v1
	v_xor_b32_e32 v19, v11, v17
	s_delay_alu instid0(VALU_DEP_2) | instskip(SKIP_2) | instid1(VALU_DEP_1)
	v_cmp_eq_u32_e32 vcc_lo, 0, v15
	v_mad_u64_u32 v[11:12], null, 0xd2511f53, v13, 0
	v_cndmask_b32_e32 v18, 0, v18, vcc_lo
	v_xor_b32_e32 v13, v18, v19
	v_mad_u64_u32 v[18:19], null, 0xd2511f53, v20, 0
	v_mad_u64_u32 v[20:21], null, 0xcd9e8d57, v15, 0
	s_delay_alu instid0(VALU_DEP_3) | instskip(SKIP_3) | instid1(VALU_DEP_3)
	v_mad_u64_u32 v[22:23], null, 0xcd9e8d57, v13, 0
	v_xor_b32_e32 v13, v12, v17
	v_add_nc_u32_e32 v15, 0x3c6ef372, v16
	v_xor3_b32 v25, v34, v19, v11
	v_mad_u64_u32 v[11:12], null, 0xcd9e8d57, v13, 0
	v_xor3_b32 v13, v21, v16, v24
	v_xor3_b32 v21, v33, v23, v20
	s_delay_alu instid0(VALU_DEP_4) | instskip(NEXT) | instid1(VALU_DEP_3)
	v_mad_u64_u32 v[19:20], null, 0xcd9e8d57, v25, 0
	v_mad_u64_u32 v[23:24], null, 0xd2511f53, v13, 0
	s_delay_alu instid0(VALU_DEP_3) | instskip(SKIP_1) | instid1(VALU_DEP_4)
	v_mad_u64_u32 v[25:26], null, 0xd2511f53, v21, 0
	v_xor3_b32 v13, v2, v12, v33
	v_xor3_b32 v33, v15, v20, v11
	s_delay_alu instid0(VALU_DEP_4) | instskip(NEXT) | instid1(VALU_DEP_3)
	v_xor3_b32 v10, v34, v24, v10
	v_mad_u64_u32 v[11:12], null, 0xd2511f53, v13, 0
	v_xor3_b32 v13, v35, v26, v23
	s_delay_alu instid0(VALU_DEP_4) | instskip(NEXT) | instid1(VALU_DEP_4)
	v_mad_u64_u32 v[20:21], null, 0xd2511f53, v33, 0
	v_mad_u64_u32 v[23:24], null, 0xcd9e8d57, v10, 0
	s_delay_alu instid0(VALU_DEP_3) | instskip(SKIP_4) | instid1(VALU_DEP_4)
	v_mad_u64_u32 v[33:34], null, 0xcd9e8d57, v13, 0
	v_xor3_b32 v12, v35, v12, v18
	v_add_nc_u32_e32 v26, 0x78dde6e4, v16
	v_xor3_b32 v18, v37, v21, v11
	v_xor3_b32 v15, v15, v24, v22
	v_mad_u64_u32 v[10:11], null, 0xcd9e8d57, v12, 0
	v_xor3_b32 v34, v36, v34, v23
	s_delay_alu instid0(VALU_DEP_4) | instskip(NEXT) | instid1(VALU_DEP_4)
	v_mad_u64_u32 v[12:13], null, 0xcd9e8d57, v18, 0
	v_mad_u64_u32 v[21:22], null, 0xd2511f53, v15, 0
	s_delay_alu instid0(VALU_DEP_3) | instskip(SKIP_1) | instid1(VALU_DEP_4)
	v_mad_u64_u32 v[23:24], null, 0xd2511f53, v34, 0
	v_xor3_b32 v15, v36, v11, v19
	v_xor3_b32 v13, v26, v13, v10
	s_delay_alu instid0(VALU_DEP_2) | instskip(SKIP_2) | instid1(VALU_DEP_4)
	v_mad_u64_u32 v[10:11], null, 0xd2511f53, v15, 0
	v_xor3_b32 v15, v37, v22, v25
	v_xor3_b32 v21, v38, v24, v21
	v_mad_u64_u32 v[24:25], null, 0xd2511f53, v13, 0
	s_delay_alu instid0(VALU_DEP_3) | instskip(NEXT) | instid1(VALU_DEP_3)
	v_mad_u64_u32 v[18:19], null, 0xcd9e8d57, v15, 0
	v_mad_u64_u32 v[34:35], null, 0xcd9e8d57, v21, 0
	v_xor3_b32 v13, v38, v11, v20
	s_delay_alu instid0(VALU_DEP_4) | instskip(SKIP_2) | instid1(VALU_DEP_4)
	v_xor3_b32 v21, v40, v25, v10
	v_add_nc_u32_e32 v15, 0xb54cda56, v16
	v_add_nc_u32_e32 v20, 0x646e171e, v17
	v_mad_u64_u32 v[10:11], null, 0xcd9e8d57, v13, 0
	v_xor3_b32 v13, v26, v19, v33
	v_xor3_b32 v22, v39, v35, v18
	v_mad_u64_u32 v[35:36], null, 0xcd9e8d57, v21, 0
	v_add_nc_u32_e32 v26, 0x5384540f, v16
	s_delay_alu instid0(VALU_DEP_4) | instskip(NEXT) | instid1(VALU_DEP_4)
	v_mad_u64_u32 v[18:19], null, 0xd2511f53, v13, 0
	v_mad_u64_u32 v[37:38], null, 0xd2511f53, v22, 0
	v_xor3_b32 v12, v39, v11, v12
	v_xor3_b32 v13, v15, v36, v10
	v_add_nc_u32_e32 v39, 0x1fd5c5a3, v17
	v_add_co_u32 v33, null, 0xf1bbcdc8, v16
	v_xor3_b32 v21, v40, v19, v23
	v_xor3_b32 v23, v20, v38, v18
	v_mad_u64_u32 v[10:11], null, 0xd2511f53, v12, 0
	v_mad_u64_u32 v[18:19], null, 0xd2511f53, v13, 0
	s_delay_alu instid0(VALU_DEP_4) | instskip(NEXT) | instid1(VALU_DEP_4)
	v_mad_u64_u32 v[12:13], null, 0xcd9e8d57, v21, 0
	v_mad_u64_u32 v[21:22], null, 0xcd9e8d57, v23, 0
	s_delay_alu instid0(VALU_DEP_4) | instskip(NEXT) | instid1(VALU_DEP_4)
	v_xor3_b32 v20, v20, v11, v24
	v_xor3_b32 v23, v39, v19, v10
	s_delay_alu instid0(VALU_DEP_4) | instskip(NEXT) | instid1(VALU_DEP_3)
	v_xor3_b32 v15, v15, v13, v34
	v_mad_u64_u32 v[10:11], null, 0xcd9e8d57, v20, 0
	v_xor3_b32 v22, v26, v22, v12
	s_delay_alu instid0(VALU_DEP_4) | instskip(NEXT) | instid1(VALU_DEP_4)
	v_mad_u64_u32 v[19:20], null, 0xcd9e8d57, v23, 0
	v_mad_u64_u32 v[12:13], null, 0xd2511f53, v15, 0
	s_delay_alu instid0(VALU_DEP_3)
	v_mad_u64_u32 v[24:25], null, 0xd2511f53, v22, 0
	v_add_nc_u32_e32 v34, 0xdb3d7428, v17
	v_xor3_b32 v11, v26, v11, v35
	v_xor3_b32 v15, v33, v20, v10
	v_add_nc_u32_e32 v35, 0x96a522ad, v17
	v_xor3_b32 v13, v39, v13, v37
	v_and_b32_e32 v17, 3, v14
	v_xor3_b32 v20, v34, v25, v12
	v_mad_u64_u32 v[22:23], null, 0xd2511f53, v11, 0
	v_mad_u64_u32 v[10:11], null, 0xd2511f53, v15, 0
	;; [unrolled: 1-line block ×3, first 2 shown]
	s_delay_alu instid0(VALU_DEP_4) | instskip(SKIP_1) | instid1(VALU_DEP_4)
	v_mad_u64_u32 v[12:13], null, 0xcd9e8d57, v20, 0
	v_add_nc_u32_e32 v20, 0x8ff34781, v16
                                        ; implicit-def: $vgpr15
	v_xor3_b32 v16, v11, v22, v35
	s_delay_alu instid0(VALU_DEP_2)
	v_xor3_b32 v11, v13, v25, v20
	v_cmpx_lt_i32_e32 1, v17
	s_xor_b32 s0, exec_lo, s0
	s_cbranch_execz .LBB38_39
; %bb.34:                               ;   in Loop: Header=BB38_3 Depth=1
	s_mov_b32 s16, exec_lo
                                        ; implicit-def: $vgpr15
	v_cmpx_lt_i32_e32 2, v17
	s_xor_b32 s16, exec_lo, s16
; %bb.35:                               ;   in Loop: Header=BB38_3 Depth=1
	v_xor3_b32 v13, v33, v26, v21
                                        ; implicit-def: $vgpr16
	s_delay_alu instid0(VALU_DEP_1) | instskip(NEXT) | instid1(VALU_DEP_1)
	v_mul_hi_u32 v13, 0xd2511f53, v13
	v_xor3_b32 v15, v13, v24, v35
; %bb.36:                               ;   in Loop: Header=BB38_3 Depth=1
	s_and_not1_saveexec_b32 s16, s16
; %bb.37:                               ;   in Loop: Header=BB38_3 Depth=1
	v_dual_mov_b32 v15, v12 :: v_dual_mov_b32 v12, v11
	v_dual_mov_b32 v11, v10 :: v_dual_mov_b32 v10, v16
; %bb.38:                               ;   in Loop: Header=BB38_3 Depth=1
	s_or_b32 exec_lo, exec_lo, s16
                                        ; implicit-def: $vgpr18_vgpr19
                                        ; implicit-def: $vgpr17
                                        ; implicit-def: $vgpr16
                                        ; implicit-def: $vgpr34
                                        ; implicit-def: $vgpr22_vgpr23
                                        ; implicit-def: $vgpr19_vgpr20
                                        ; implicit-def: $vgpr20
.LBB38_39:                              ;   in Loop: Header=BB38_3 Depth=1
	s_and_not1_saveexec_b32 s0, s0
	s_cbranch_execz .LBB38_43
; %bb.40:                               ;   in Loop: Header=BB38_3 Depth=1
	v_xor3_b32 v12, v34, v23, v18
	v_cmp_eq_u32_e32 vcc_lo, 1, v17
	v_mov_b32_e32 v15, v10
	s_delay_alu instid0(VALU_DEP_3) | instskip(SKIP_1) | instid1(VALU_DEP_2)
	v_mad_u64_u32 v[13:14], null, 0xcd9e8d57, v12, 0
	v_mov_b32_e32 v12, v16
	v_xor3_b32 v17, v14, v19, v20
	s_delay_alu instid0(VALU_DEP_3)
	v_mov_b32_e32 v14, v13
	s_and_saveexec_b32 s16, vcc_lo
; %bb.41:                               ;   in Loop: Header=BB38_3 Depth=1
	v_dual_mov_b32 v15, v11 :: v_dual_mov_b32 v12, v10
	v_dual_mov_b32 v14, v16 :: v_dual_mov_b32 v17, v13
; %bb.42:                               ;   in Loop: Header=BB38_3 Depth=1
	s_or_b32 exec_lo, exec_lo, s16
	s_delay_alu instid0(VALU_DEP_1)
	v_dual_mov_b32 v10, v17 :: v_dual_mov_b32 v11, v14
.LBB38_43:                              ;   in Loop: Header=BB38_3 Depth=1
	s_or_b32 exec_lo, exec_lo, s0
	v_min_i32_e32 v13, 4, v30
	s_mov_b32 s16, 0
	s_mov_b32 s38, 0
	;; [unrolled: 1-line block ×3, first 2 shown]
                                        ; implicit-def: $sgpr34
                                        ; implicit-def: $sgpr35
                                        ; implicit-def: $sgpr36
	s_mov_b32 s0, exec_lo
	v_cmpx_lt_i32_e32 2, v13
	s_xor_b32 s37, exec_lo, s0
	s_cbranch_execz .LBB38_55
; %bb.44:                               ;   in Loop: Header=BB38_3 Depth=1
	s_mov_b32 s0, -1
	s_mov_b32 s39, 0
	s_mov_b32 s35, exec_lo
                                        ; implicit-def: $sgpr17
                                        ; implicit-def: $sgpr34
	v_cmpx_lt_i32_e32 3, v13
	s_cbranch_execz .LBB38_50
; %bb.45:                               ;   in Loop: Header=BB38_3 Depth=1
	s_mov_b32 s0, 0
	s_mov_b32 s39, -1
	s_mov_b32 s36, exec_lo
                                        ; implicit-def: $sgpr17
                                        ; implicit-def: $sgpr34
	v_cmpx_eq_u32_e32 4, v13
	s_cbranch_execz .LBB38_49
; %bb.46:                               ;   in Loop: Header=BB38_3 Depth=1
	v_cmp_le_f32_e32 vcc_lo, 0, v32
	v_cmp_ge_f32_e64 s0, 1.0, v32
	s_mov_b32 s17, 0
	s_delay_alu instid0(VALU_DEP_1)
	s_and_b32 s39, vcc_lo, s0
	s_mov_b32 s0, 0
	s_and_saveexec_b32 s34, s39
	s_cbranch_execz .LBB38_48
; %bb.47:                               ;   in Loop: Header=BB38_3 Depth=1
	v_cvt_f32_u32_e32 v14, v15
	v_lshlrev_b64 v[8:9], 2, v[8:9]
	s_mov_b32 s0, exec_lo
	s_delay_alu instid0(VALU_DEP_2) | instskip(NEXT) | instid1(VALU_DEP_2)
	v_fmaak_f32 v14, 0x2f800000, v14, 0x2f800000
	v_add_co_u32 v8, vcc_lo, s10, v8
	s_delay_alu instid0(VALU_DEP_3) | instskip(NEXT) | instid1(VALU_DEP_3)
	v_add_co_ci_u32_e32 v9, vcc_lo, s11, v9, vcc_lo
	v_cmp_le_f32_e32 vcc_lo, v14, v32
	v_cndmask_b32_e64 v14, 0, 1, vcc_lo
	global_store_b32 v[8:9], v14, off
.LBB38_48:                              ;   in Loop: Header=BB38_3 Depth=1
	s_or_b32 exec_lo, exec_lo, s34
	s_mov_b32 s34, -1
	s_xor_b32 s39, exec_lo, -1
	s_and_b32 s0, s0, exec_lo
.LBB38_49:                              ;   in Loop: Header=BB38_3 Depth=1
	s_or_b32 exec_lo, exec_lo, s36
	s_delay_alu instid0(SALU_CYCLE_1)
	s_and_b32 s39, s39, exec_lo
	s_or_not1_b32 s0, s0, exec_lo
.LBB38_50:                              ;   in Loop: Header=BB38_3 Depth=1
	s_or_b32 exec_lo, exec_lo, s35
	s_mov_b32 s36, s17
	s_and_saveexec_b32 s35, s0
	s_cbranch_execz .LBB38_54
; %bb.51:                               ;   in Loop: Header=BB38_3 Depth=1
	v_cmp_le_f32_e32 vcc_lo, 0, v31
	v_cmp_ge_f32_e64 s0, 1.0, v31
	s_delay_alu instid0(VALU_DEP_1) | instskip(SKIP_2) | instid1(SALU_CYCLE_1)
	s_and_b32 s36, vcc_lo, s0
	s_mov_b32 s0, 0
	s_and_saveexec_b32 s38, s36
	s_xor_b32 s36, exec_lo, s38
	s_cbranch_execz .LBB38_53
; %bb.52:                               ;   in Loop: Header=BB38_3 Depth=1
	v_cvt_f32_u32_e32 v9, v12
	v_mov_b32_e32 v8, v4
	s_mov_b32 s0, exec_lo
	s_delay_alu instid0(VALU_DEP_2) | instskip(NEXT) | instid1(VALU_DEP_2)
	v_fmaak_f32 v9, 0x2f800000, v9, 0x2f800000
	v_lshlrev_b64 v[7:8], 2, v[7:8]
	s_delay_alu instid0(VALU_DEP_1) | instskip(NEXT) | instid1(VALU_DEP_2)
	v_add_co_u32 v7, vcc_lo, s10, v7
	v_add_co_ci_u32_e32 v8, vcc_lo, s11, v8, vcc_lo
	s_delay_alu instid0(VALU_DEP_4)
	v_cmp_le_f32_e32 vcc_lo, v9, v31
	v_cndmask_b32_e64 v9, 0, 1, vcc_lo
	global_store_b32 v[7:8], v9, off
.LBB38_53:                              ;   in Loop: Header=BB38_3 Depth=1
	s_or_b32 exec_lo, exec_lo, s36
	s_delay_alu instid0(SALU_CYCLE_1)
	s_and_not1_b32 s36, s17, exec_lo
	s_or_b32 s17, s17, exec_lo
	s_and_not1_b32 s34, s34, exec_lo
	s_and_b32 s38, s0, exec_lo
.LBB38_54:                              ;   in Loop: Header=BB38_3 Depth=1
	s_or_b32 exec_lo, exec_lo, s35
	s_delay_alu instid0(SALU_CYCLE_1)
	s_and_b32 s36, s36, exec_lo
	s_and_b32 s35, s17, exec_lo
	;; [unrolled: 1-line block ×5, first 2 shown]
.LBB38_55:                              ;   in Loop: Header=BB38_3 Depth=1
	s_and_not1_saveexec_b32 s0, s37
; %bb.56:                               ;   in Loop: Header=BB38_3 Depth=1
	v_cmp_lt_i32_e32 vcc_lo, 1, v13
	s_and_not1_b32 s37, s38, exec_lo
	s_mov_b32 s16, exec_lo
	s_and_not1_b32 s36, s36, exec_lo
	s_and_not1_b32 s35, s35, exec_lo
	s_and_b32 s38, vcc_lo, exec_lo
	s_and_not1_b32 s34, s34, exec_lo
	s_or_b32 s38, s37, s38
; %bb.57:                               ;   in Loop: Header=BB38_3 Depth=1
	s_or_b32 exec_lo, exec_lo, s0
	s_mov_b32 s0, 0
	s_mov_b32 s37, s36
	s_and_saveexec_b32 s39, s38
	s_cbranch_execnz .LBB38_60
; %bb.58:                               ;   in Loop: Header=BB38_3 Depth=1
	s_or_b32 exec_lo, exec_lo, s39
	s_and_saveexec_b32 s38, s16
	s_cbranch_execnz .LBB38_63
.LBB38_59:                              ;   in Loop: Header=BB38_3 Depth=1
	s_or_b32 exec_lo, exec_lo, s38
	s_and_saveexec_b32 s16, s0
	s_cbranch_execnz .LBB38_64
	s_branch .LBB38_67
.LBB38_60:                              ;   in Loop: Header=BB38_3 Depth=1
	v_cmp_le_f32_e32 vcc_lo, 0, v3
	v_cmp_ge_f32_e64 s0, 1.0, v3
	s_delay_alu instid0(VALU_DEP_1) | instskip(SKIP_2) | instid1(SALU_CYCLE_1)
	s_and_b32 s37, vcc_lo, s0
	s_mov_b32 s0, 0
	s_and_saveexec_b32 s38, s37
	s_xor_b32 s37, exec_lo, s38
	s_cbranch_execz .LBB38_62
; %bb.61:                               ;   in Loop: Header=BB38_3 Depth=1
	v_cvt_f32_u32_e32 v8, v11
	v_mov_b32_e32 v7, v4
	s_mov_b32 s0, exec_lo
	s_delay_alu instid0(VALU_DEP_2) | instskip(NEXT) | instid1(VALU_DEP_2)
	v_fmaak_f32 v8, 0x2f800000, v8, 0x2f800000
	v_lshlrev_b64 v[6:7], 2, v[6:7]
	s_delay_alu instid0(VALU_DEP_1) | instskip(NEXT) | instid1(VALU_DEP_2)
	v_add_co_u32 v6, vcc_lo, s10, v6
	v_add_co_ci_u32_e32 v7, vcc_lo, s11, v7, vcc_lo
	s_delay_alu instid0(VALU_DEP_4)
	v_cmp_le_f32_e32 vcc_lo, v8, v3
	v_cndmask_b32_e64 v3, 0, 1, vcc_lo
	global_store_b32 v[6:7], v3, off
.LBB38_62:                              ;   in Loop: Header=BB38_3 Depth=1
	s_or_b32 exec_lo, exec_lo, s37
	s_delay_alu instid0(SALU_CYCLE_1)
	s_and_not1_b32 s37, s36, exec_lo
	s_or_b32 s36, s36, exec_lo
	s_and_not1_b32 s35, s35, exec_lo
	s_and_not1_b32 s34, s34, exec_lo
	s_and_b32 s0, s0, exec_lo
	s_and_not1_b32 s16, s16, exec_lo
	s_or_b32 exec_lo, exec_lo, s39
	s_and_saveexec_b32 s38, s16
	s_cbranch_execz .LBB38_59
.LBB38_63:                              ;   in Loop: Header=BB38_3 Depth=1
	v_cmp_eq_u32_e32 vcc_lo, 1, v13
	s_and_not1_b32 s0, s0, exec_lo
	s_and_not1_b32 s37, s37, exec_lo
	;; [unrolled: 1-line block ×4, first 2 shown]
	s_and_b32 s16, vcc_lo, exec_lo
	s_and_not1_b32 s34, s34, exec_lo
	s_or_b32 s17, s17, exec_lo
	s_or_b32 s0, s0, s16
	s_or_b32 exec_lo, exec_lo, s38
	s_and_saveexec_b32 s16, s0
	s_cbranch_execz .LBB38_67
.LBB38_64:                              ;   in Loop: Header=BB38_3 Depth=1
	v_cmp_le_f32_e32 vcc_lo, 0, v0
	v_cmp_ge_f32_e64 s0, 1.0, v0
	s_delay_alu instid0(VALU_DEP_1)
	s_and_b32 s39, vcc_lo, s0
	s_mov_b32 s0, 0
	s_and_saveexec_b32 s38, s39
	s_cbranch_execz .LBB38_66
; %bb.65:                               ;   in Loop: Header=BB38_3 Depth=1
	v_cvt_f32_u32_e32 v3, v10
	v_mov_b32_e32 v6, v4
	s_mov_b32 s0, exec_lo
	s_delay_alu instid0(VALU_DEP_2) | instskip(NEXT) | instid1(VALU_DEP_2)
	v_fmaak_f32 v3, 0x2f800000, v3, 0x2f800000
	v_lshlrev_b64 v[5:6], 2, v[5:6]
	s_delay_alu instid0(VALU_DEP_1) | instskip(NEXT) | instid1(VALU_DEP_2)
	v_add_co_u32 v5, vcc_lo, s10, v5
	v_add_co_ci_u32_e32 v6, vcc_lo, s11, v6, vcc_lo
	s_delay_alu instid0(VALU_DEP_4)
	v_cmp_le_f32_e32 vcc_lo, v3, v0
	v_cndmask_b32_e64 v0, 0, 1, vcc_lo
	global_store_b32 v[5:6], v0, off
.LBB38_66:                              ;   in Loop: Header=BB38_3 Depth=1
	s_or_b32 exec_lo, exec_lo, s38
	s_delay_alu instid0(SALU_CYCLE_1)
	s_and_not1_b32 s17, s17, exec_lo
	s_and_b32 s0, s0, exec_lo
	s_or_b32 s37, s37, exec_lo
	s_and_not1_b32 s36, s36, exec_lo
	s_and_not1_b32 s35, s35, exec_lo
	;; [unrolled: 1-line block ×3, first 2 shown]
	s_or_b32 s17, s17, s0
.LBB38_67:                              ;   in Loop: Header=BB38_3 Depth=1
	s_or_b32 exec_lo, exec_lo, s16
	s_delay_alu instid0(SALU_CYCLE_1)
	s_and_not1_b32 s16, s33, exec_lo
	s_and_b32 s33, s37, exec_lo
	s_and_not1_b32 s30, s30, exec_lo
	s_and_b32 s36, s36, exec_lo
	s_or_b32 s33, s16, s33
	s_and_not1_b32 s16, s31, exec_lo
	s_and_b32 s31, s35, exec_lo
	s_and_not1_b32 s29, s29, exec_lo
	s_and_b32 s34, s34, exec_lo
	s_mov_b32 s0, -1
	s_or_b32 s30, s30, s36
	s_or_b32 s31, s16, s31
	;; [unrolled: 1-line block ×3, first 2 shown]
	s_and_saveexec_b32 s16, s17
	s_cbranch_execz .LBB38_2
; %bb.68:                               ;   in Loop: Header=BB38_3 Depth=1
	v_add_nc_u32_e32 v27, s24, v27
	s_and_not1_b32 s33, s33, exec_lo
	s_and_not1_b32 s30, s30, exec_lo
	s_and_not1_b32 s31, s31, exec_lo
	s_and_not1_b32 s29, s29, exec_lo
	v_cmp_le_u32_e32 vcc_lo, s18, v27
	s_or_not1_b32 s0, vcc_lo, exec_lo
	s_branch .LBB38_2
.LBB38_69:
	s_or_b32 exec_lo, exec_lo, s1
	s_xor_b32 s3, s27, -1
	s_xor_b32 s4, s28, -1
	;; [unrolled: 1-line block ×3, first 2 shown]
	s_mov_b32 s1, 0
	s_and_saveexec_b32 s2, s0
	s_delay_alu instid0(SALU_CYCLE_1)
	s_xor_b32 s0, exec_lo, s2
	s_cbranch_execz .LBB38_78
; %bb.70:
	s_mov_b32 s2, 0
	s_and_saveexec_b32 s1, s4
	s_delay_alu instid0(SALU_CYCLE_1)
	s_xor_b32 s1, exec_lo, s1
	s_cbranch_execz .LBB38_76
; %bb.71:
	s_and_saveexec_b32 s4, s3
	s_delay_alu instid0(SALU_CYCLE_1)
	s_xor_b32 s3, exec_lo, s4
	s_cbranch_execz .LBB38_74
; %bb.72:
	s_and_saveexec_b32 s4, s23
	s_delay_alu instid0(SALU_CYCLE_1)
	s_xor_b32 s4, exec_lo, s4
	s_cbranch_execnz .LBB38_92
.LBB38_73:
	s_or_b32 exec_lo, exec_lo, s4
	s_delay_alu instid0(SALU_CYCLE_1)
	s_and_b32 s2, s2, exec_lo
.LBB38_74:
	s_and_not1_saveexec_b32 s3, s3
	s_cbranch_execnz .LBB38_88
.LBB38_75:
	s_or_b32 exec_lo, exec_lo, s3
	s_delay_alu instid0(SALU_CYCLE_1)
	s_and_b32 s2, s2, exec_lo
.LBB38_76:
	s_and_not1_saveexec_b32 s1, s1
	s_cbranch_execnz .LBB38_84
.LBB38_77:
	s_or_b32 exec_lo, exec_lo, s1
	s_delay_alu instid0(SALU_CYCLE_1)
	s_and_b32 s1, s2, exec_lo
.LBB38_78:
	s_and_not1_saveexec_b32 s0, s0
	s_cbranch_execnz .LBB38_82
; %bb.79:
	s_or_b32 exec_lo, exec_lo, s0
	s_delay_alu instid0(SALU_CYCLE_1)
	s_and_b32 exec_lo, exec_lo, s1
.LBB38_80:
	; divergent unreachable
.LBB38_81:
	s_nop 0
	s_sendmsg sendmsg(MSG_DEALLOC_VGPRS)
	s_endpgm
.LBB38_82:
	s_cbranch_execnz .LBB38_86
; %bb.83:
	s_or_b32 s1, s1, exec_lo
	s_or_b32 exec_lo, exec_lo, s0
	s_delay_alu instid0(SALU_CYCLE_1)
	s_and_b32 exec_lo, exec_lo, s1
	s_cbranch_execnz .LBB38_80
	s_branch .LBB38_81
.LBB38_84:
	s_cbranch_execnz .LBB38_90
; %bb.85:
	s_or_b32 s2, s2, exec_lo
	s_branch .LBB38_77
.LBB38_86:
	s_trap 2
	s_sendmsg_rtn_b32 s0, sendmsg(MSG_RTN_GET_DOORBELL)
	s_mov_b32 ttmp2, m0
	s_waitcnt lgkmcnt(0)
	s_and_b32 s0, s0, 0x3ff
	s_delay_alu instid0(SALU_CYCLE_1) | instskip(NEXT) | instid1(SALU_CYCLE_1)
	s_bitset1_b32 s0, 10
	s_mov_b32 m0, s0
	s_sendmsg sendmsg(MSG_INTERRUPT)
	s_mov_b32 m0, ttmp2
.LBB38_87:                              ; =>This Inner Loop Header: Depth=1
	s_sethalt 5
	s_branch .LBB38_87
.LBB38_88:
	s_cbranch_execnz .LBB38_94
; %bb.89:
	s_or_b32 s2, s2, exec_lo
	s_branch .LBB38_75
.LBB38_90:
	s_trap 2
	s_sendmsg_rtn_b32 s0, sendmsg(MSG_RTN_GET_DOORBELL)
	s_mov_b32 ttmp2, m0
	s_waitcnt lgkmcnt(0)
	s_and_b32 s0, s0, 0x3ff
	s_delay_alu instid0(SALU_CYCLE_1) | instskip(NEXT) | instid1(SALU_CYCLE_1)
	s_bitset1_b32 s0, 10
	s_mov_b32 m0, s0
	s_sendmsg sendmsg(MSG_INTERRUPT)
	s_mov_b32 m0, ttmp2
.LBB38_91:                              ; =>This Inner Loop Header: Depth=1
	s_sethalt 5
	s_branch .LBB38_91
.LBB38_92:
	s_cbranch_execnz .LBB38_96
; %bb.93:
	s_mov_b32 s2, exec_lo
	s_branch .LBB38_73
.LBB38_94:
	s_trap 2
	s_sendmsg_rtn_b32 s0, sendmsg(MSG_RTN_GET_DOORBELL)
	s_mov_b32 ttmp2, m0
	s_waitcnt lgkmcnt(0)
	s_and_b32 s0, s0, 0x3ff
	s_delay_alu instid0(SALU_CYCLE_1) | instskip(NEXT) | instid1(SALU_CYCLE_1)
	s_bitset1_b32 s0, 10
	s_mov_b32 m0, s0
	s_sendmsg sendmsg(MSG_INTERRUPT)
	s_mov_b32 m0, ttmp2
.LBB38_95:                              ; =>This Inner Loop Header: Depth=1
	s_sethalt 5
	s_branch .LBB38_95
.LBB38_96:
	s_trap 2
	s_sendmsg_rtn_b32 s0, sendmsg(MSG_RTN_GET_DOORBELL)
	s_mov_b32 ttmp2, m0
	s_waitcnt lgkmcnt(0)
	s_and_b32 s0, s0, 0x3ff
	s_delay_alu instid0(SALU_CYCLE_1) | instskip(NEXT) | instid1(SALU_CYCLE_1)
	s_bitset1_b32 s0, 10
	s_mov_b32 m0, s0
	s_sendmsg sendmsg(MSG_INTERRUPT)
	s_mov_b32 m0, ttmp2
.LBB38_97:                              ; =>This Inner Loop Header: Depth=1
	s_sethalt 5
	s_branch .LBB38_97
	.section	.rodata,"a",@progbits
	.p2align	6, 0x0
	.amdhsa_kernel _ZN2at4cuda12_GLOBAL__N_121kernelPointwiseApply2IZNS_6native9templates4cuda28bernoulli_tensor_cuda_kernelIifEEvRKNS_10TensorBaseES9_NS_15PhiloxCudaStateEEUliRiSB_SB_SB_RKfSD_SD_SD_E_iSC_jLi2ELin1ELi4ELi512ELi2EEEvNS0_6detail10TensorInfoIT0_T2_EENSG_IT1_SI_EESI_T_
		.amdhsa_group_segment_fixed_size 0
		.amdhsa_private_segment_fixed_size 0
		.amdhsa_kernarg_size 728
		.amdhsa_user_sgpr_count 15
		.amdhsa_user_sgpr_dispatch_ptr 0
		.amdhsa_user_sgpr_queue_ptr 0
		.amdhsa_user_sgpr_kernarg_segment_ptr 1
		.amdhsa_user_sgpr_dispatch_id 0
		.amdhsa_user_sgpr_private_segment_size 0
		.amdhsa_wavefront_size32 1
		.amdhsa_uses_dynamic_stack 0
		.amdhsa_enable_private_segment 0
		.amdhsa_system_sgpr_workgroup_id_x 1
		.amdhsa_system_sgpr_workgroup_id_y 0
		.amdhsa_system_sgpr_workgroup_id_z 0
		.amdhsa_system_sgpr_workgroup_info 0
		.amdhsa_system_vgpr_workitem_id 0
		.amdhsa_next_free_vgpr 41
		.amdhsa_next_free_sgpr 40
		.amdhsa_reserve_vcc 1
		.amdhsa_float_round_mode_32 0
		.amdhsa_float_round_mode_16_64 0
		.amdhsa_float_denorm_mode_32 3
		.amdhsa_float_denorm_mode_16_64 3
		.amdhsa_dx10_clamp 1
		.amdhsa_ieee_mode 1
		.amdhsa_fp16_overflow 0
		.amdhsa_workgroup_processor_mode 1
		.amdhsa_memory_ordered 1
		.amdhsa_forward_progress 0
		.amdhsa_shared_vgpr_count 0
		.amdhsa_exception_fp_ieee_invalid_op 0
		.amdhsa_exception_fp_denorm_src 0
		.amdhsa_exception_fp_ieee_div_zero 0
		.amdhsa_exception_fp_ieee_overflow 0
		.amdhsa_exception_fp_ieee_underflow 0
		.amdhsa_exception_fp_ieee_inexact 0
		.amdhsa_exception_int_div_zero 0
	.end_amdhsa_kernel
	.section	.text._ZN2at4cuda12_GLOBAL__N_121kernelPointwiseApply2IZNS_6native9templates4cuda28bernoulli_tensor_cuda_kernelIifEEvRKNS_10TensorBaseES9_NS_15PhiloxCudaStateEEUliRiSB_SB_SB_RKfSD_SD_SD_E_iSC_jLi2ELin1ELi4ELi512ELi2EEEvNS0_6detail10TensorInfoIT0_T2_EENSG_IT1_SI_EESI_T_,"axG",@progbits,_ZN2at4cuda12_GLOBAL__N_121kernelPointwiseApply2IZNS_6native9templates4cuda28bernoulli_tensor_cuda_kernelIifEEvRKNS_10TensorBaseES9_NS_15PhiloxCudaStateEEUliRiSB_SB_SB_RKfSD_SD_SD_E_iSC_jLi2ELin1ELi4ELi512ELi2EEEvNS0_6detail10TensorInfoIT0_T2_EENSG_IT1_SI_EESI_T_,comdat
.Lfunc_end38:
	.size	_ZN2at4cuda12_GLOBAL__N_121kernelPointwiseApply2IZNS_6native9templates4cuda28bernoulli_tensor_cuda_kernelIifEEvRKNS_10TensorBaseES9_NS_15PhiloxCudaStateEEUliRiSB_SB_SB_RKfSD_SD_SD_E_iSC_jLi2ELin1ELi4ELi512ELi2EEEvNS0_6detail10TensorInfoIT0_T2_EENSG_IT1_SI_EESI_T_, .Lfunc_end38-_ZN2at4cuda12_GLOBAL__N_121kernelPointwiseApply2IZNS_6native9templates4cuda28bernoulli_tensor_cuda_kernelIifEEvRKNS_10TensorBaseES9_NS_15PhiloxCudaStateEEUliRiSB_SB_SB_RKfSD_SD_SD_E_iSC_jLi2ELin1ELi4ELi512ELi2EEEvNS0_6detail10TensorInfoIT0_T2_EENSG_IT1_SI_EESI_T_
                                        ; -- End function
	.section	.AMDGPU.csdata,"",@progbits
; Kernel info:
; codeLenInByte = 4856
; NumSgprs: 42
; NumVgprs: 41
; ScratchSize: 0
; MemoryBound: 0
; FloatMode: 240
; IeeeMode: 1
; LDSByteSize: 0 bytes/workgroup (compile time only)
; SGPRBlocks: 5
; VGPRBlocks: 5
; NumSGPRsForWavesPerEU: 42
; NumVGPRsForWavesPerEU: 41
; Occupancy: 16
; WaveLimiterHint : 1
; COMPUTE_PGM_RSRC2:SCRATCH_EN: 0
; COMPUTE_PGM_RSRC2:USER_SGPR: 15
; COMPUTE_PGM_RSRC2:TRAP_HANDLER: 0
; COMPUTE_PGM_RSRC2:TGID_X_EN: 1
; COMPUTE_PGM_RSRC2:TGID_Y_EN: 0
; COMPUTE_PGM_RSRC2:TGID_Z_EN: 0
; COMPUTE_PGM_RSRC2:TIDIG_COMP_CNT: 0
	.section	.text._ZN2at4cuda12_GLOBAL__N_121kernelPointwiseApply2IZNS_6native9templates4cuda28bernoulli_tensor_cuda_kernelIifEEvRKNS_10TensorBaseES9_NS_15PhiloxCudaStateEEUliRiSB_SB_SB_RKfSD_SD_SD_E_iSC_jLin1ELi1ELi4ELi512ELi2EEEvNS0_6detail10TensorInfoIT0_T2_EENSG_IT1_SI_EESI_T_,"axG",@progbits,_ZN2at4cuda12_GLOBAL__N_121kernelPointwiseApply2IZNS_6native9templates4cuda28bernoulli_tensor_cuda_kernelIifEEvRKNS_10TensorBaseES9_NS_15PhiloxCudaStateEEUliRiSB_SB_SB_RKfSD_SD_SD_E_iSC_jLin1ELi1ELi4ELi512ELi2EEEvNS0_6detail10TensorInfoIT0_T2_EENSG_IT1_SI_EESI_T_,comdat
	.globl	_ZN2at4cuda12_GLOBAL__N_121kernelPointwiseApply2IZNS_6native9templates4cuda28bernoulli_tensor_cuda_kernelIifEEvRKNS_10TensorBaseES9_NS_15PhiloxCudaStateEEUliRiSB_SB_SB_RKfSD_SD_SD_E_iSC_jLin1ELi1ELi4ELi512ELi2EEEvNS0_6detail10TensorInfoIT0_T2_EENSG_IT1_SI_EESI_T_ ; -- Begin function _ZN2at4cuda12_GLOBAL__N_121kernelPointwiseApply2IZNS_6native9templates4cuda28bernoulli_tensor_cuda_kernelIifEEvRKNS_10TensorBaseES9_NS_15PhiloxCudaStateEEUliRiSB_SB_SB_RKfSD_SD_SD_E_iSC_jLin1ELi1ELi4ELi512ELi2EEEvNS0_6detail10TensorInfoIT0_T2_EENSG_IT1_SI_EESI_T_
	.p2align	8
	.type	_ZN2at4cuda12_GLOBAL__N_121kernelPointwiseApply2IZNS_6native9templates4cuda28bernoulli_tensor_cuda_kernelIifEEvRKNS_10TensorBaseES9_NS_15PhiloxCudaStateEEUliRiSB_SB_SB_RKfSD_SD_SD_E_iSC_jLin1ELi1ELi4ELi512ELi2EEEvNS0_6detail10TensorInfoIT0_T2_EENSG_IT1_SI_EESI_T_,@function
_ZN2at4cuda12_GLOBAL__N_121kernelPointwiseApply2IZNS_6native9templates4cuda28bernoulli_tensor_cuda_kernelIifEEvRKNS_10TensorBaseES9_NS_15PhiloxCudaStateEEUliRiSB_SB_SB_RKfSD_SD_SD_E_iSC_jLin1ELi1ELi4ELi512ELi2EEEvNS0_6detail10TensorInfoIT0_T2_EENSG_IT1_SI_EESI_T_: ; @_ZN2at4cuda12_GLOBAL__N_121kernelPointwiseApply2IZNS_6native9templates4cuda28bernoulli_tensor_cuda_kernelIifEEvRKNS_10TensorBaseES9_NS_15PhiloxCudaStateEEUliRiSB_SB_SB_RKfSD_SD_SD_E_iSC_jLin1ELi1ELi4ELi512ELi2EEEvNS0_6detail10TensorInfoIT0_T2_EENSG_IT1_SI_EESI_T_
; %bb.0:
	s_clause 0x1
	s_load_b32 s4, s[0:1], 0x1e4
	s_load_b32 s20, s[0:1], 0x1b0
	s_add_u32 s2, s0, 0x1d8
	s_addc_u32 s3, s1, 0
	s_waitcnt lgkmcnt(0)
	s_and_b32 s14, s4, 0xffff
	s_mov_b32 s4, exec_lo
	v_mad_u64_u32 v[1:2], null, s15, s14, v[0:1]
	s_delay_alu instid0(VALU_DEP_1) | instskip(NEXT) | instid1(VALU_DEP_1)
	v_lshlrev_b32_e32 v29, 2, v1
	v_cmpx_gt_u32_e64 s20, v29
	s_cbranch_execz .LBB39_73
; %bb.1:
	s_load_b32 s16, s[0:1], 0xd0
	s_load_b32 s2, s[2:3], 0x0
	s_clause 0x6
	s_load_b32 s3, s[0:1], 0x1d0
	s_load_b64 s[8:9], s[0:1], 0xd8
	s_load_b64 s[10:11], s[0:1], 0x1c8
	s_load_b32 s21, s[0:1], 0x144
	s_load_b128 s[4:7], s[0:1], 0x1b8
	s_load_b32 s22, s[0:1], 0x6c
	s_load_b64 s[12:13], s[0:1], 0x0
	v_mad_u64_u32 v[2:3], null, 0xcd9e8d57, v1, 0
	s_mov_b32 s15, 0
	v_mov_b32_e32 v4, 0
                                        ; implicit-def: $sgpr27
                                        ; implicit-def: $sgpr29
                                        ; implicit-def: $sgpr28
                                        ; implicit-def: $sgpr30
                                        ; implicit-def: $sgpr33
                                        ; implicit-def: $sgpr31
                                        ; implicit-def: $sgpr34
	s_delay_alu instid0(VALU_DEP_2)
	v_mov_b32_e32 v30, v3
	s_waitcnt lgkmcnt(0)
	s_cmp_gt_i32 s16, 1
	s_mul_i32 s2, s2, s14
	s_cselect_b32 s23, -1, 0
	s_bitcmp1_b32 s3, 0
	s_cselect_b32 s24, -1, 0
	s_add_i32 s14, s16, -1
	s_lshl_b32 s25, s2, 2
	s_lshl_b64 s[2:3], s[14:15], 2
	s_add_i32 s26, s16, 1
	s_add_u32 s0, s2, s0
	s_addc_u32 s1, s3, s1
	s_add_u32 s16, s0, 8
	s_addc_u32 s17, s1, 0
                                        ; implicit-def: $sgpr14
	s_branch .LBB39_3
.LBB39_2:                               ;   in Loop: Header=BB39_3 Depth=1
	s_or_b32 exec_lo, exec_lo, s1
	s_delay_alu instid0(SALU_CYCLE_1) | instskip(NEXT) | instid1(SALU_CYCLE_1)
	s_and_b32 s0, exec_lo, s0
	s_or_b32 s15, s0, s15
	s_and_not1_b32 s0, s14, exec_lo
	s_and_b32 s1, s34, exec_lo
	s_and_not1_b32 s2, s28, exec_lo
	s_and_b32 s3, s31, exec_lo
	s_or_b32 s14, s0, s1
	s_or_b32 s28, s2, s3
	s_and_not1_b32 s0, s29, exec_lo
	s_and_b32 s1, s33, exec_lo
	s_and_not1_b32 s2, s27, exec_lo
	s_and_b32 s3, s30, exec_lo
	s_or_b32 s29, s0, s1
	s_or_b32 s27, s2, s3
	s_and_not1_b32 exec_lo, exec_lo, s15
	s_cbranch_execz .LBB39_61
.LBB39_3:                               ; =>This Loop Header: Depth=1
                                        ;     Child Loop BB39_6 Depth 2
                                        ;     Child Loop BB39_11 Depth 2
	;; [unrolled: 1-line block ×4, first 2 shown]
	v_sub_nc_u32_e32 v31, s20, v29
	v_mov_b32_e32 v5, 0
	s_delay_alu instid0(VALU_DEP_2) | instskip(NEXT) | instid1(VALU_DEP_1)
	v_cmp_lt_i32_e64 s0, 0, v31
	s_and_saveexec_b32 s1, s0
	s_cbranch_execz .LBB39_8
; %bb.4:                                ;   in Loop: Header=BB39_3 Depth=1
	v_dual_mov_b32 v0, 0 :: v_dual_mov_b32 v3, v29
	s_and_not1_b32 vcc_lo, exec_lo, s23
	s_cbranch_vccnz .LBB39_7
; %bb.5:                                ;   in Loop: Header=BB39_3 Depth=1
	v_dual_mov_b32 v0, 0 :: v_dual_mov_b32 v3, v29
	s_mov_b64 s[2:3], s[16:17]
	s_mov_b32 s18, s26
	s_set_inst_prefetch_distance 0x1
	.p2align	6
.LBB39_6:                               ;   Parent Loop BB39_3 Depth=1
                                        ; =>  This Inner Loop Header: Depth=2
	s_clause 0x1
	s_load_b32 s19, s[2:3], 0x0
	s_load_b32 s35, s[2:3], 0x64
	v_mov_b32_e32 v7, v3
	s_add_i32 s18, s18, -1
	s_waitcnt lgkmcnt(0)
	v_cvt_f32_u32_e32 v5, s19
	s_sub_i32 s36, 0, s19
	s_add_u32 s2, s2, -4
	s_addc_u32 s3, s3, -1
	s_cmp_gt_u32 s18, 2
	v_rcp_iflag_f32_e32 v5, v5
	s_waitcnt_depctr 0xfff
	v_mul_f32_e32 v5, 0x4f7ffffe, v5
	s_delay_alu instid0(VALU_DEP_1) | instskip(NEXT) | instid1(VALU_DEP_1)
	v_cvt_u32_f32_e32 v5, v5
	v_mul_lo_u32 v6, s36, v5
	s_delay_alu instid0(VALU_DEP_1) | instskip(NEXT) | instid1(VALU_DEP_1)
	v_mul_hi_u32 v6, v5, v6
	v_add_nc_u32_e32 v3, v5, v6
	s_delay_alu instid0(VALU_DEP_1) | instskip(NEXT) | instid1(VALU_DEP_1)
	v_mul_hi_u32 v3, v7, v3
	v_add_nc_u32_e32 v6, 1, v3
	v_mul_lo_u32 v5, v3, s19
	s_delay_alu instid0(VALU_DEP_1) | instskip(NEXT) | instid1(VALU_DEP_1)
	v_sub_nc_u32_e32 v5, v7, v5
	v_subrev_nc_u32_e32 v8, s19, v5
	v_cmp_le_u32_e32 vcc_lo, s19, v5
	v_cndmask_b32_e32 v3, v3, v6, vcc_lo
	s_delay_alu instid0(VALU_DEP_1) | instskip(NEXT) | instid1(VALU_DEP_1)
	v_dual_cndmask_b32 v5, v5, v8 :: v_dual_add_nc_u32 v6, 1, v3
	v_cmp_le_u32_e32 vcc_lo, s19, v5
	s_delay_alu instid0(VALU_DEP_2) | instskip(NEXT) | instid1(VALU_DEP_1)
	v_cndmask_b32_e32 v3, v3, v6, vcc_lo
	v_mul_lo_u32 v5, v3, s19
	s_delay_alu instid0(VALU_DEP_1) | instskip(NEXT) | instid1(VALU_DEP_1)
	v_sub_nc_u32_e32 v7, v7, v5
	v_mad_u64_u32 v[5:6], null, s35, v7, v[0:1]
	s_delay_alu instid0(VALU_DEP_1)
	v_mov_b32_e32 v0, v5
	s_cbranch_scc1 .LBB39_6
.LBB39_7:                               ;   in Loop: Header=BB39_3 Depth=1
	s_set_inst_prefetch_distance 0x2
	s_delay_alu instid0(VALU_DEP_1)
	v_mad_u64_u32 v[5:6], null, s22, v3, v[0:1]
.LBB39_8:                               ;   in Loop: Header=BB39_3 Depth=1
	s_or_b32 exec_lo, exec_lo, s1
	v_mov_b32_e32 v6, 0
	v_mov_b32_e32 v7, 0
	v_cmp_lt_i32_e64 s1, 1, v31
	s_delay_alu instid0(VALU_DEP_1)
	s_and_saveexec_b32 s18, s1
	s_cbranch_execz .LBB39_13
; %bb.9:                                ;   in Loop: Header=BB39_3 Depth=1
	v_or_b32_e32 v3, 1, v29
	v_mov_b32_e32 v0, 0
	s_and_not1_b32 vcc_lo, exec_lo, s23
	s_cbranch_vccnz .LBB39_12
; %bb.10:                               ;   in Loop: Header=BB39_3 Depth=1
	v_mov_b32_e32 v0, 0
	s_mov_b64 s[2:3], s[16:17]
	s_mov_b32 s19, s26
	s_set_inst_prefetch_distance 0x1
	.p2align	6
.LBB39_11:                              ;   Parent Loop BB39_3 Depth=1
                                        ; =>  This Inner Loop Header: Depth=2
	s_clause 0x1
	s_load_b32 s35, s[2:3], 0x0
	s_load_b32 s36, s[2:3], 0x64
	s_add_i32 s19, s19, -1
	s_waitcnt lgkmcnt(0)
	v_cvt_f32_u32_e32 v6, s35
	s_sub_i32 s37, 0, s35
	s_add_u32 s2, s2, -4
	s_addc_u32 s3, s3, -1
	s_cmp_gt_u32 s19, 2
	v_rcp_iflag_f32_e32 v6, v6
	s_waitcnt_depctr 0xfff
	v_mul_f32_e32 v6, 0x4f7ffffe, v6
	s_delay_alu instid0(VALU_DEP_1) | instskip(NEXT) | instid1(VALU_DEP_1)
	v_cvt_u32_f32_e32 v6, v6
	v_mul_lo_u32 v7, s37, v6
	s_delay_alu instid0(VALU_DEP_1) | instskip(NEXT) | instid1(VALU_DEP_1)
	v_mul_hi_u32 v7, v6, v7
	v_dual_mov_b32 v8, v3 :: v_dual_add_nc_u32 v3, v6, v7
	s_delay_alu instid0(VALU_DEP_1) | instskip(NEXT) | instid1(VALU_DEP_1)
	v_mul_hi_u32 v3, v8, v3
	v_mul_lo_u32 v6, v3, s35
	v_add_nc_u32_e32 v7, 1, v3
	s_delay_alu instid0(VALU_DEP_2) | instskip(NEXT) | instid1(VALU_DEP_1)
	v_sub_nc_u32_e32 v6, v8, v6
	v_subrev_nc_u32_e32 v9, s35, v6
	v_cmp_le_u32_e32 vcc_lo, s35, v6
	s_delay_alu instid0(VALU_DEP_2) | instskip(NEXT) | instid1(VALU_DEP_1)
	v_dual_cndmask_b32 v3, v3, v7 :: v_dual_cndmask_b32 v6, v6, v9
	v_add_nc_u32_e32 v7, 1, v3
	s_delay_alu instid0(VALU_DEP_2) | instskip(NEXT) | instid1(VALU_DEP_2)
	v_cmp_le_u32_e32 vcc_lo, s35, v6
	v_cndmask_b32_e32 v3, v3, v7, vcc_lo
	s_delay_alu instid0(VALU_DEP_1) | instskip(NEXT) | instid1(VALU_DEP_1)
	v_mul_lo_u32 v6, v3, s35
	v_sub_nc_u32_e32 v8, v8, v6
	s_delay_alu instid0(VALU_DEP_1) | instskip(NEXT) | instid1(VALU_DEP_1)
	v_mad_u64_u32 v[6:7], null, s36, v8, v[0:1]
	v_mov_b32_e32 v0, v6
	s_cbranch_scc1 .LBB39_11
.LBB39_12:                              ;   in Loop: Header=BB39_3 Depth=1
	s_set_inst_prefetch_distance 0x2
	s_delay_alu instid0(VALU_DEP_1)
	v_mad_u64_u32 v[6:7], null, s22, v3, v[0:1]
	v_mov_b32_e32 v7, v4
.LBB39_13:                              ;   in Loop: Header=BB39_3 Depth=1
	s_or_b32 exec_lo, exec_lo, s18
	v_mov_b32_e32 v8, 0
	v_mov_b32_e32 v9, 0
	v_cmp_lt_i32_e64 s2, 2, v31
	s_delay_alu instid0(VALU_DEP_1)
	s_and_saveexec_b32 s3, s2
	s_cbranch_execz .LBB39_18
; %bb.14:                               ;   in Loop: Header=BB39_3 Depth=1
	v_or_b32_e32 v3, 2, v29
	v_mov_b32_e32 v0, 0
	s_and_not1_b32 vcc_lo, exec_lo, s23
	s_cbranch_vccnz .LBB39_17
; %bb.15:                               ;   in Loop: Header=BB39_3 Depth=1
	v_mov_b32_e32 v0, 0
	s_mov_b64 s[18:19], s[16:17]
	s_mov_b32 s35, s26
	s_set_inst_prefetch_distance 0x1
	.p2align	6
.LBB39_16:                              ;   Parent Loop BB39_3 Depth=1
                                        ; =>  This Inner Loop Header: Depth=2
	s_clause 0x1
	s_load_b32 s36, s[18:19], 0x0
	s_load_b32 s37, s[18:19], 0x64
	s_add_i32 s35, s35, -1
	s_waitcnt lgkmcnt(0)
	v_cvt_f32_u32_e32 v8, s36
	s_sub_i32 s38, 0, s36
	s_add_u32 s18, s18, -4
	s_addc_u32 s19, s19, -1
	s_cmp_gt_u32 s35, 2
	v_rcp_iflag_f32_e32 v8, v8
	s_waitcnt_depctr 0xfff
	v_mul_f32_e32 v8, 0x4f7ffffe, v8
	s_delay_alu instid0(VALU_DEP_1) | instskip(NEXT) | instid1(VALU_DEP_1)
	v_cvt_u32_f32_e32 v8, v8
	v_mul_lo_u32 v9, s38, v8
	s_delay_alu instid0(VALU_DEP_1) | instskip(NEXT) | instid1(VALU_DEP_1)
	v_mul_hi_u32 v9, v8, v9
	v_dual_mov_b32 v10, v3 :: v_dual_add_nc_u32 v3, v8, v9
	s_delay_alu instid0(VALU_DEP_1) | instskip(NEXT) | instid1(VALU_DEP_1)
	v_mul_hi_u32 v3, v10, v3
	v_mul_lo_u32 v8, v3, s36
	v_add_nc_u32_e32 v9, 1, v3
	s_delay_alu instid0(VALU_DEP_2) | instskip(NEXT) | instid1(VALU_DEP_1)
	v_sub_nc_u32_e32 v8, v10, v8
	v_subrev_nc_u32_e32 v11, s36, v8
	v_cmp_le_u32_e32 vcc_lo, s36, v8
	s_delay_alu instid0(VALU_DEP_2) | instskip(NEXT) | instid1(VALU_DEP_1)
	v_dual_cndmask_b32 v3, v3, v9 :: v_dual_cndmask_b32 v8, v8, v11
	v_add_nc_u32_e32 v9, 1, v3
	s_delay_alu instid0(VALU_DEP_2) | instskip(NEXT) | instid1(VALU_DEP_2)
	v_cmp_le_u32_e32 vcc_lo, s36, v8
	v_cndmask_b32_e32 v3, v3, v9, vcc_lo
	s_delay_alu instid0(VALU_DEP_1) | instskip(NEXT) | instid1(VALU_DEP_1)
	v_mul_lo_u32 v8, v3, s36
	v_sub_nc_u32_e32 v10, v10, v8
	s_delay_alu instid0(VALU_DEP_1) | instskip(NEXT) | instid1(VALU_DEP_1)
	v_mad_u64_u32 v[8:9], null, s37, v10, v[0:1]
	v_mov_b32_e32 v0, v8
	s_cbranch_scc1 .LBB39_16
.LBB39_17:                              ;   in Loop: Header=BB39_3 Depth=1
	s_set_inst_prefetch_distance 0x2
	s_delay_alu instid0(VALU_DEP_1)
	v_mad_u64_u32 v[8:9], null, s22, v3, v[0:1]
	v_mov_b32_e32 v9, v4
.LBB39_18:                              ;   in Loop: Header=BB39_3 Depth=1
	s_or_b32 exec_lo, exec_lo, s3
	v_mov_b32_e32 v12, 0
	v_mov_b32_e32 v13, 0
	v_cmp_lt_i32_e64 s3, 3, v31
	s_delay_alu instid0(VALU_DEP_1)
	s_and_saveexec_b32 s35, s3
	s_cbranch_execz .LBB39_23
; %bb.19:                               ;   in Loop: Header=BB39_3 Depth=1
	v_or_b32_e32 v3, 3, v29
	v_mov_b32_e32 v0, 0
	s_and_not1_b32 vcc_lo, exec_lo, s23
	s_cbranch_vccnz .LBB39_22
; %bb.20:                               ;   in Loop: Header=BB39_3 Depth=1
	v_mov_b32_e32 v0, 0
	s_mov_b64 s[18:19], s[16:17]
	s_mov_b32 s36, s26
	s_set_inst_prefetch_distance 0x1
	.p2align	6
.LBB39_21:                              ;   Parent Loop BB39_3 Depth=1
                                        ; =>  This Inner Loop Header: Depth=2
	s_clause 0x1
	s_load_b32 s37, s[18:19], 0x0
	s_load_b32 s38, s[18:19], 0x64
	s_add_i32 s36, s36, -1
	s_waitcnt lgkmcnt(0)
	v_cvt_f32_u32_e32 v10, s37
	s_sub_i32 s39, 0, s37
	s_add_u32 s18, s18, -4
	s_addc_u32 s19, s19, -1
	s_cmp_gt_u32 s36, 2
	v_rcp_iflag_f32_e32 v10, v10
	s_waitcnt_depctr 0xfff
	v_mul_f32_e32 v10, 0x4f7ffffe, v10
	s_delay_alu instid0(VALU_DEP_1) | instskip(NEXT) | instid1(VALU_DEP_1)
	v_cvt_u32_f32_e32 v10, v10
	v_mul_lo_u32 v11, s39, v10
	s_delay_alu instid0(VALU_DEP_1) | instskip(NEXT) | instid1(VALU_DEP_1)
	v_mul_hi_u32 v11, v10, v11
	v_dual_mov_b32 v12, v3 :: v_dual_add_nc_u32 v3, v10, v11
	s_delay_alu instid0(VALU_DEP_1) | instskip(NEXT) | instid1(VALU_DEP_1)
	v_mul_hi_u32 v3, v12, v3
	v_mul_lo_u32 v10, v3, s37
	v_add_nc_u32_e32 v11, 1, v3
	s_delay_alu instid0(VALU_DEP_2) | instskip(NEXT) | instid1(VALU_DEP_1)
	v_sub_nc_u32_e32 v10, v12, v10
	v_subrev_nc_u32_e32 v13, s37, v10
	v_cmp_le_u32_e32 vcc_lo, s37, v10
	s_delay_alu instid0(VALU_DEP_2) | instskip(NEXT) | instid1(VALU_DEP_1)
	v_dual_cndmask_b32 v3, v3, v11 :: v_dual_cndmask_b32 v10, v10, v13
	v_add_nc_u32_e32 v11, 1, v3
	s_delay_alu instid0(VALU_DEP_2) | instskip(NEXT) | instid1(VALU_DEP_2)
	v_cmp_le_u32_e32 vcc_lo, s37, v10
	v_cndmask_b32_e32 v3, v3, v11, vcc_lo
	s_delay_alu instid0(VALU_DEP_1) | instskip(NEXT) | instid1(VALU_DEP_1)
	v_mul_lo_u32 v10, v3, s37
	v_sub_nc_u32_e32 v12, v12, v10
	s_delay_alu instid0(VALU_DEP_1) | instskip(NEXT) | instid1(VALU_DEP_1)
	v_mad_u64_u32 v[10:11], null, s38, v12, v[0:1]
	v_mov_b32_e32 v0, v10
	s_cbranch_scc1 .LBB39_21
.LBB39_22:                              ;   in Loop: Header=BB39_3 Depth=1
	s_set_inst_prefetch_distance 0x2
	s_delay_alu instid0(VALU_DEP_1)
	v_mad_u64_u32 v[12:13], null, s22, v3, v[0:1]
	v_mov_b32_e32 v13, v4
.LBB39_23:                              ;   in Loop: Header=BB39_3 Depth=1
	s_or_b32 exec_lo, exec_lo, s35
	v_mul_lo_u32 v0, v29, s21
	s_delay_alu instid0(VALU_DEP_1) | instskip(SKIP_1) | instid1(VALU_DEP_2)
	v_add_nc_u32_e32 v14, s21, v0
	v_cndmask_b32_e64 v3, 0, v0, s0
	v_add_nc_u32_e32 v0, s21, v14
	s_delay_alu instid0(VALU_DEP_2) | instskip(SKIP_1) | instid1(VALU_DEP_3)
	v_lshlrev_b64 v[10:11], 2, v[3:4]
	v_cndmask_b32_e64 v3, 0, v14, s1
	v_add_nc_u32_e32 v18, s21, v0
	s_delay_alu instid0(VALU_DEP_2) | instskip(SKIP_3) | instid1(VALU_DEP_3)
	v_lshlrev_b64 v[14:15], 2, v[3:4]
	v_cndmask_b32_e64 v3, 0, v0, s2
	v_add_co_u32 v10, vcc_lo, s8, v10
	v_add_co_ci_u32_e32 v11, vcc_lo, s9, v11, vcc_lo
	v_lshlrev_b64 v[16:17], 2, v[3:4]
	v_cndmask_b32_e64 v3, 0, v18, s3
	v_add_co_u32 v14, vcc_lo, s8, v14
	v_add_co_ci_u32_e32 v15, vcc_lo, s9, v15, vcc_lo
	s_delay_alu instid0(VALU_DEP_3) | instskip(SKIP_2) | instid1(VALU_DEP_3)
	v_lshlrev_b64 v[18:19], 2, v[3:4]
	v_add_co_u32 v16, vcc_lo, s8, v16
	v_add_co_ci_u32_e32 v17, vcc_lo, s9, v17, vcc_lo
	v_add_co_u32 v18, vcc_lo, s8, v18
	s_delay_alu instid0(VALU_DEP_4)
	v_add_co_ci_u32_e32 v19, vcc_lo, s9, v19, vcc_lo
	s_clause 0x3
	global_load_b32 v0, v[10:11], off
	global_load_b32 v3, v[14:15], off
	;; [unrolled: 1-line block ×4, first 2 shown]
	v_mov_b32_e32 v19, s5
	v_dual_mov_b32 v17, s7 :: v_dual_mov_b32 v16, s6
	v_mov_b32_e32 v18, s4
	s_and_not1_b32 vcc_lo, exec_lo, s24
	s_cbranch_vccnz .LBB39_25
; %bb.24:                               ;   in Loop: Header=BB39_3 Depth=1
	v_dual_mov_b32 v11, s7 :: v_dual_mov_b32 v10, s6
	v_dual_mov_b32 v15, s5 :: v_dual_mov_b32 v14, s4
	flat_load_b64 v[10:11], v[10:11]
	flat_load_b64 v[18:19], v[14:15]
	s_waitcnt vmcnt(1) lgkmcnt(1)
	v_add_co_u32 v16, vcc_lo, v10, s10
	v_add_co_ci_u32_e32 v17, vcc_lo, s11, v11, vcc_lo
.LBB39_25:                              ;   in Loop: Header=BB39_3 Depth=1
	s_delay_alu instid0(VALU_DEP_1)
	v_alignbit_b32 v20, v17, v16, 2
	v_lshrrev_b32_e32 v14, 2, v17
	s_waitcnt vmcnt(0) lgkmcnt(0)
	v_add_nc_u32_e32 v35, 0xbb67ae85, v19
	v_add_nc_u32_e32 v36, 0x3c6ef372, v18
	;; [unrolled: 1-line block ×3, first 2 shown]
	v_add_co_u32 v15, vcc_lo, v20, 1
	s_delay_alu instid0(VALU_DEP_1) | instskip(SKIP_4) | instid1(VALU_DEP_4)
	v_cndmask_b32_e64 v10, 0, 1, vcc_lo
	v_add_co_ci_u32_e32 v17, vcc_lo, 0, v14, vcc_lo
	v_xor3_b32 v22, v30, v18, v14
	v_add_nc_u32_e32 v39, 0xed9eba14, v19
	v_add_nc_u32_e32 v40, 0x1fd5c5a3, v19
	v_cmp_eq_u32_e32 vcc_lo, 0, v17
	s_mov_b32 s0, exec_lo
	v_dual_cndmask_b32 v21, 0, v10 :: v_dual_add_nc_u32 v38, 0x32370b8f, v19
	v_mad_u64_u32 v[10:11], null, 0xd2511f53, v15, 0
	v_mad_u64_u32 v[14:15], null, 0xd2511f53, v20, 0
	s_delay_alu instid0(VALU_DEP_3) | instskip(NEXT) | instid1(VALU_DEP_3)
	v_add_nc_u32_e32 v24, v21, v1
	v_xor_b32_e32 v11, v11, v19
	s_delay_alu instid0(VALU_DEP_2) | instskip(SKIP_1) | instid1(VALU_DEP_1)
	v_cmp_eq_u32_e32 vcc_lo, 0, v24
	v_dual_cndmask_b32 v21, 0, v21 :: v_dual_add_nc_u32 v34, 0x9e3779b9, v18
	v_xor_b32_e32 v11, v21, v11
	v_mad_u64_u32 v[20:21], null, 0xd2511f53, v22, 0
	v_mad_u64_u32 v[22:23], null, 0xcd9e8d57, v24, 0
	s_delay_alu instid0(VALU_DEP_3) | instskip(SKIP_1) | instid1(VALU_DEP_4)
	v_mad_u64_u32 v[24:25], null, 0xcd9e8d57, v11, 0
	v_xor_b32_e32 v11, v15, v19
	v_xor3_b32 v26, v35, v21, v14
	s_delay_alu instid0(VALU_DEP_2) | instskip(SKIP_2) | instid1(VALU_DEP_4)
	v_mad_u64_u32 v[14:15], null, 0xcd9e8d57, v11, 0
	v_xor3_b32 v11, v23, v18, v17
	v_xor3_b32 v17, v34, v25, v22
	v_mad_u64_u32 v[21:22], null, 0xcd9e8d57, v26, 0
	s_delay_alu instid0(VALU_DEP_3) | instskip(NEXT) | instid1(VALU_DEP_3)
	v_mad_u64_u32 v[25:26], null, 0xd2511f53, v11, 0
	v_mad_u64_u32 v[27:28], null, 0xd2511f53, v17, 0
	v_xor3_b32 v11, v2, v15, v34
	s_delay_alu instid0(VALU_DEP_4) | instskip(SKIP_2) | instid1(VALU_DEP_4)
	v_xor3_b32 v22, v36, v22, v14
	v_add_nc_u32_e32 v17, 0xdaa66d2b, v18
	v_xor3_b32 v26, v35, v26, v10
	v_mad_u64_u32 v[14:15], null, 0xd2511f53, v11, 0
	v_xor3_b32 v28, v37, v28, v25
	v_mad_u64_u32 v[10:11], null, 0xd2511f53, v22, 0
	s_delay_alu instid0(VALU_DEP_4) | instskip(NEXT) | instid1(VALU_DEP_3)
	v_mad_u64_u32 v[22:23], null, 0xcd9e8d57, v26, 0
	v_mad_u64_u32 v[25:26], null, 0xcd9e8d57, v28, 0
	v_xor3_b32 v20, v37, v15, v20
	v_add_nc_u32_e32 v28, 0x78dde6e4, v18
	v_xor3_b32 v11, v38, v11, v14
	s_delay_alu instid0(VALU_DEP_3) | instskip(SKIP_2) | instid1(VALU_DEP_4)
	v_mad_u64_u32 v[14:15], null, 0xcd9e8d57, v20, 0
	v_xor3_b32 v20, v36, v23, v24
	v_xor3_b32 v24, v17, v26, v22
	v_mad_u64_u32 v[22:23], null, 0xcd9e8d57, v11, 0
	s_delay_alu instid0(VALU_DEP_3) | instskip(NEXT) | instid1(VALU_DEP_3)
	v_mad_u64_u32 v[34:35], null, 0xd2511f53, v20, 0
	v_mad_u64_u32 v[36:37], null, 0xd2511f53, v24, 0
	v_xor3_b32 v11, v17, v15, v21
	s_delay_alu instid0(VALU_DEP_4) | instskip(SKIP_2) | instid1(VALU_DEP_4)
	v_xor3_b32 v20, v28, v23, v14
	v_add_nc_u32_e32 v17, 0x1715609d, v18
	v_add_nc_u32_e32 v24, 0xa9066899, v19
	v_mad_u64_u32 v[14:15], null, 0xd2511f53, v11, 0
	v_xor3_b32 v11, v38, v35, v27
	v_xor3_b32 v23, v39, v37, v34
	v_mad_u64_u32 v[26:27], null, 0xd2511f53, v20, 0
	v_add_nc_u32_e32 v35, 0xb54cda56, v18
	s_delay_alu instid0(VALU_DEP_4) | instskip(NEXT) | instid1(VALU_DEP_4)
	v_mad_u64_u32 v[20:21], null, 0xcd9e8d57, v11, 0
	v_mad_u64_u32 v[37:38], null, 0xcd9e8d57, v23, 0
	v_xor3_b32 v15, v39, v15, v10
	v_xor3_b32 v23, v24, v27, v14
	v_add_nc_u32_e32 v34, 0x646e171e, v19
	v_xor3_b32 v25, v28, v21, v25
	s_delay_alu instid0(VALU_DEP_4) | instskip(SKIP_2) | instid1(VALU_DEP_4)
	v_mad_u64_u32 v[10:11], null, 0xcd9e8d57, v15, 0
	v_xor3_b32 v27, v17, v38, v20
	v_mad_u64_u32 v[14:15], null, 0xcd9e8d57, v23, 0
	v_mad_u64_u32 v[20:21], null, 0xd2511f53, v25, 0
	s_delay_alu instid0(VALU_DEP_3) | instskip(SKIP_3) | instid1(VALU_DEP_3)
	v_mad_u64_u32 v[38:39], null, 0xd2511f53, v27, 0
	v_xor3_b32 v17, v17, v11, v22
	v_add_nc_u32_e32 v25, 0x5384540f, v18
	v_xor3_b32 v15, v35, v15, v10
	v_mad_u64_u32 v[10:11], null, 0xd2511f53, v17, 0
	v_xor3_b32 v17, v24, v21, v36
	v_xor3_b32 v22, v34, v39, v20
	s_delay_alu instid0(VALU_DEP_4) | instskip(NEXT) | instid1(VALU_DEP_3)
	v_mad_u64_u32 v[20:21], null, 0xd2511f53, v15, 0
	v_mad_u64_u32 v[27:28], null, 0xcd9e8d57, v17, 0
	s_delay_alu instid0(VALU_DEP_3) | instskip(SKIP_1) | instid1(VALU_DEP_4)
	v_mad_u64_u32 v[23:24], null, 0xcd9e8d57, v22, 0
	v_xor3_b32 v15, v34, v11, v26
	v_xor3_b32 v17, v40, v21, v10
	v_add_co_u32 v34, null, 0xf1bbcdc8, v18
	s_delay_alu instid0(VALU_DEP_3) | instskip(SKIP_4) | instid1(VALU_DEP_4)
	v_mad_u64_u32 v[10:11], null, 0xcd9e8d57, v15, 0
	v_xor3_b32 v15, v35, v28, v37
	v_xor3_b32 v24, v25, v24, v27
	v_mad_u64_u32 v[21:22], null, 0xcd9e8d57, v17, 0
	v_add_nc_u32_e32 v35, 0xdb3d7428, v19
	v_mad_u64_u32 v[36:37], null, 0xd2511f53, v15, 0
	s_delay_alu instid0(VALU_DEP_4) | instskip(SKIP_4) | instid1(VALU_DEP_4)
	v_mad_u64_u32 v[26:27], null, 0xd2511f53, v24, 0
	v_xor3_b32 v11, v25, v11, v14
	v_xor3_b32 v14, v34, v22, v10
	v_add_nc_u32_e32 v22, 0x8ff34781, v18
	v_xor3_b32 v15, v40, v37, v38
	v_mad_u64_u32 v[24:25], null, 0xd2511f53, v11, 0
	v_xor3_b32 v17, v35, v27, v36
	v_mad_u64_u32 v[10:11], null, 0xd2511f53, v14, 0
	s_delay_alu instid0(VALU_DEP_4) | instskip(NEXT) | instid1(VALU_DEP_3)
	v_mad_u64_u32 v[27:28], null, 0xcd9e8d57, v15, 0
	v_mad_u64_u32 v[14:15], null, 0xcd9e8d57, v17, 0
	v_add_nc_u32_e32 v36, 0x96a522ad, v19
	v_and_b32_e32 v19, 3, v16
                                        ; implicit-def: $vgpr17
	s_delay_alu instid0(VALU_DEP_2) | instskip(NEXT) | instid1(VALU_DEP_4)
	v_xor3_b32 v18, v11, v24, v36
	v_xor3_b32 v11, v15, v27, v22
	s_delay_alu instid0(VALU_DEP_3)
	v_cmpx_lt_i32_e32 1, v19
	s_xor_b32 s0, exec_lo, s0
	s_cbranch_execz .LBB39_31
; %bb.26:                               ;   in Loop: Header=BB39_3 Depth=1
	s_mov_b32 s1, exec_lo
                                        ; implicit-def: $vgpr17
	v_cmpx_lt_i32_e32 2, v19
	s_xor_b32 s1, exec_lo, s1
; %bb.27:                               ;   in Loop: Header=BB39_3 Depth=1
	v_xor3_b32 v15, v34, v28, v23
                                        ; implicit-def: $vgpr18
	s_delay_alu instid0(VALU_DEP_1) | instskip(NEXT) | instid1(VALU_DEP_1)
	v_mul_hi_u32 v15, 0xd2511f53, v15
	v_xor3_b32 v17, v15, v26, v36
; %bb.28:                               ;   in Loop: Header=BB39_3 Depth=1
	s_and_not1_saveexec_b32 s1, s1
; %bb.29:                               ;   in Loop: Header=BB39_3 Depth=1
	v_dual_mov_b32 v17, v14 :: v_dual_mov_b32 v14, v11
	v_mov_b32_e32 v11, v10
	v_mov_b32_e32 v10, v18
; %bb.30:                               ;   in Loop: Header=BB39_3 Depth=1
	s_or_b32 exec_lo, exec_lo, s1
                                        ; implicit-def: $vgpr20_vgpr21
                                        ; implicit-def: $vgpr19
                                        ; implicit-def: $vgpr18
                                        ; implicit-def: $vgpr35
                                        ; implicit-def: $vgpr24_vgpr25
                                        ; implicit-def: $vgpr21_vgpr22
                                        ; implicit-def: $vgpr22
.LBB39_31:                              ;   in Loop: Header=BB39_3 Depth=1
	s_and_not1_saveexec_b32 s0, s0
	s_cbranch_execz .LBB39_35
; %bb.32:                               ;   in Loop: Header=BB39_3 Depth=1
	v_xor3_b32 v14, v35, v25, v20
	v_cmp_eq_u32_e32 vcc_lo, 1, v19
	s_delay_alu instid0(VALU_DEP_2) | instskip(SKIP_2) | instid1(VALU_DEP_3)
	v_mad_u64_u32 v[15:16], null, 0xcd9e8d57, v14, 0
	v_mov_b32_e32 v17, v10
	v_mov_b32_e32 v14, v18
	v_xor3_b32 v19, v16, v21, v22
	s_delay_alu instid0(VALU_DEP_4)
	v_mov_b32_e32 v16, v15
	s_and_saveexec_b32 s1, vcc_lo
; %bb.33:                               ;   in Loop: Header=BB39_3 Depth=1
	v_dual_mov_b32 v17, v11 :: v_dual_mov_b32 v14, v10
	v_dual_mov_b32 v16, v18 :: v_dual_mov_b32 v19, v15
; %bb.34:                               ;   in Loop: Header=BB39_3 Depth=1
	s_or_b32 exec_lo, exec_lo, s1
	s_delay_alu instid0(VALU_DEP_1)
	v_dual_mov_b32 v10, v19 :: v_dual_mov_b32 v11, v16
.LBB39_35:                              ;   in Loop: Header=BB39_3 Depth=1
	s_or_b32 exec_lo, exec_lo, s0
	v_min_i32_e32 v15, 4, v31
	s_mov_b32 s1, 0
	s_mov_b32 s36, 0
	;; [unrolled: 1-line block ×3, first 2 shown]
                                        ; implicit-def: $sgpr3
                                        ; implicit-def: $sgpr18
                                        ; implicit-def: $sgpr19
	s_mov_b32 s0, exec_lo
	v_cmpx_lt_i32_e32 2, v15
	s_xor_b32 s35, exec_lo, s0
	s_cbranch_execz .LBB39_47
; %bb.36:                               ;   in Loop: Header=BB39_3 Depth=1
	s_mov_b32 s0, -1
	s_mov_b32 s37, 0
	s_mov_b32 s18, exec_lo
                                        ; implicit-def: $sgpr2
                                        ; implicit-def: $sgpr3
	v_cmpx_lt_i32_e32 3, v15
	s_cbranch_execz .LBB39_42
; %bb.37:                               ;   in Loop: Header=BB39_3 Depth=1
	s_mov_b32 s0, 0
	s_mov_b32 s37, -1
	s_mov_b32 s19, exec_lo
                                        ; implicit-def: $sgpr2
                                        ; implicit-def: $sgpr3
	v_cmpx_eq_u32_e32 4, v15
	s_cbranch_execz .LBB39_41
; %bb.38:                               ;   in Loop: Header=BB39_3 Depth=1
	v_cmp_le_f32_e32 vcc_lo, 0, v33
	v_cmp_ge_f32_e64 s0, 1.0, v33
	s_mov_b32 s2, 0
	s_delay_alu instid0(VALU_DEP_1)
	s_and_b32 s37, vcc_lo, s0
	s_mov_b32 s0, 0
	s_and_saveexec_b32 s3, s37
	s_cbranch_execz .LBB39_40
; %bb.39:                               ;   in Loop: Header=BB39_3 Depth=1
	v_cvt_f32_u32_e32 v16, v17
	v_lshlrev_b64 v[12:13], 2, v[12:13]
	s_mov_b32 s0, exec_lo
	s_delay_alu instid0(VALU_DEP_2) | instskip(NEXT) | instid1(VALU_DEP_2)
	v_fmaak_f32 v16, 0x2f800000, v16, 0x2f800000
	v_add_co_u32 v12, vcc_lo, s12, v12
	s_delay_alu instid0(VALU_DEP_3) | instskip(NEXT) | instid1(VALU_DEP_3)
	v_add_co_ci_u32_e32 v13, vcc_lo, s13, v13, vcc_lo
	v_cmp_le_f32_e32 vcc_lo, v16, v33
	v_cndmask_b32_e64 v16, 0, 1, vcc_lo
	global_store_b32 v[12:13], v16, off
.LBB39_40:                              ;   in Loop: Header=BB39_3 Depth=1
	s_or_b32 exec_lo, exec_lo, s3
	s_mov_b32 s3, -1
	s_xor_b32 s37, exec_lo, -1
	s_and_b32 s0, s0, exec_lo
.LBB39_41:                              ;   in Loop: Header=BB39_3 Depth=1
	s_or_b32 exec_lo, exec_lo, s19
	s_delay_alu instid0(SALU_CYCLE_1)
	s_and_b32 s37, s37, exec_lo
	s_or_not1_b32 s0, s0, exec_lo
.LBB39_42:                              ;   in Loop: Header=BB39_3 Depth=1
	s_or_b32 exec_lo, exec_lo, s18
	s_mov_b32 s19, s2
	s_and_saveexec_b32 s18, s0
	s_cbranch_execz .LBB39_46
; %bb.43:                               ;   in Loop: Header=BB39_3 Depth=1
	v_cmp_le_f32_e32 vcc_lo, 0, v32
	v_cmp_ge_f32_e64 s0, 1.0, v32
	s_delay_alu instid0(VALU_DEP_1) | instskip(SKIP_2) | instid1(SALU_CYCLE_1)
	s_and_b32 s19, vcc_lo, s0
	s_mov_b32 s0, 0
	s_and_saveexec_b32 s36, s19
	s_xor_b32 s19, exec_lo, s36
	s_cbranch_execz .LBB39_45
; %bb.44:                               ;   in Loop: Header=BB39_3 Depth=1
	v_cvt_f32_u32_e32 v12, v14
	v_lshlrev_b64 v[8:9], 2, v[8:9]
	s_mov_b32 s0, exec_lo
	s_delay_alu instid0(VALU_DEP_2) | instskip(NEXT) | instid1(VALU_DEP_2)
	v_fmaak_f32 v12, 0x2f800000, v12, 0x2f800000
	v_add_co_u32 v8, vcc_lo, s12, v8
	s_delay_alu instid0(VALU_DEP_3) | instskip(NEXT) | instid1(VALU_DEP_3)
	v_add_co_ci_u32_e32 v9, vcc_lo, s13, v9, vcc_lo
	v_cmp_le_f32_e32 vcc_lo, v12, v32
	v_cndmask_b32_e64 v12, 0, 1, vcc_lo
	global_store_b32 v[8:9], v12, off
.LBB39_45:                              ;   in Loop: Header=BB39_3 Depth=1
	s_or_b32 exec_lo, exec_lo, s19
	s_delay_alu instid0(SALU_CYCLE_1)
	s_and_not1_b32 s19, s2, exec_lo
	s_or_b32 s2, s2, exec_lo
	s_and_not1_b32 s3, s3, exec_lo
	s_and_b32 s36, s0, exec_lo
.LBB39_46:                              ;   in Loop: Header=BB39_3 Depth=1
	s_or_b32 exec_lo, exec_lo, s18
	s_delay_alu instid0(SALU_CYCLE_1)
	s_and_b32 s19, s19, exec_lo
	s_and_b32 s18, s2, exec_lo
	s_and_b32 s3, s3, exec_lo
	s_and_b32 s2, s37, exec_lo
	s_and_b32 s36, s36, exec_lo
.LBB39_47:                              ;   in Loop: Header=BB39_3 Depth=1
	s_and_not1_saveexec_b32 s0, s35
; %bb.48:                               ;   in Loop: Header=BB39_3 Depth=1
	v_cmp_lt_i32_e32 vcc_lo, 1, v15
	s_and_not1_b32 s35, s36, exec_lo
	s_mov_b32 s1, exec_lo
	s_and_not1_b32 s19, s19, exec_lo
	s_and_not1_b32 s18, s18, exec_lo
	s_and_b32 s36, vcc_lo, exec_lo
	s_and_not1_b32 s3, s3, exec_lo
	s_or_b32 s36, s35, s36
; %bb.49:                               ;   in Loop: Header=BB39_3 Depth=1
	s_or_b32 exec_lo, exec_lo, s0
	s_mov_b32 s0, 0
	s_mov_b32 s35, s19
	s_and_saveexec_b32 s37, s36
	s_cbranch_execnz .LBB39_52
; %bb.50:                               ;   in Loop: Header=BB39_3 Depth=1
	s_or_b32 exec_lo, exec_lo, s37
	s_and_saveexec_b32 s36, s1
	s_cbranch_execnz .LBB39_55
.LBB39_51:                              ;   in Loop: Header=BB39_3 Depth=1
	s_or_b32 exec_lo, exec_lo, s36
	s_and_saveexec_b32 s1, s0
	s_cbranch_execnz .LBB39_56
	s_branch .LBB39_59
.LBB39_52:                              ;   in Loop: Header=BB39_3 Depth=1
	v_cmp_le_f32_e32 vcc_lo, 0, v3
	v_cmp_ge_f32_e64 s0, 1.0, v3
	s_delay_alu instid0(VALU_DEP_1) | instskip(SKIP_2) | instid1(SALU_CYCLE_1)
	s_and_b32 s35, vcc_lo, s0
	s_mov_b32 s0, 0
	s_and_saveexec_b32 s36, s35
	s_xor_b32 s35, exec_lo, s36
	s_cbranch_execz .LBB39_54
; %bb.53:                               ;   in Loop: Header=BB39_3 Depth=1
	v_cvt_f32_u32_e32 v8, v11
	v_lshlrev_b64 v[6:7], 2, v[6:7]
	s_mov_b32 s0, exec_lo
	s_delay_alu instid0(VALU_DEP_2) | instskip(NEXT) | instid1(VALU_DEP_2)
	v_fmaak_f32 v8, 0x2f800000, v8, 0x2f800000
	v_add_co_u32 v6, vcc_lo, s12, v6
	s_delay_alu instid0(VALU_DEP_3) | instskip(NEXT) | instid1(VALU_DEP_3)
	v_add_co_ci_u32_e32 v7, vcc_lo, s13, v7, vcc_lo
	v_cmp_le_f32_e32 vcc_lo, v8, v3
	v_cndmask_b32_e64 v3, 0, 1, vcc_lo
	global_store_b32 v[6:7], v3, off
.LBB39_54:                              ;   in Loop: Header=BB39_3 Depth=1
	s_or_b32 exec_lo, exec_lo, s35
	s_delay_alu instid0(SALU_CYCLE_1)
	s_and_not1_b32 s35, s19, exec_lo
	s_or_b32 s19, s19, exec_lo
	s_and_not1_b32 s18, s18, exec_lo
	s_and_not1_b32 s3, s3, exec_lo
	s_and_b32 s0, s0, exec_lo
	s_and_not1_b32 s1, s1, exec_lo
	s_or_b32 exec_lo, exec_lo, s37
	s_and_saveexec_b32 s36, s1
	s_cbranch_execz .LBB39_51
.LBB39_55:                              ;   in Loop: Header=BB39_3 Depth=1
	v_cmp_eq_u32_e32 vcc_lo, 1, v15
	s_and_not1_b32 s0, s0, exec_lo
	s_and_not1_b32 s35, s35, exec_lo
	;; [unrolled: 1-line block ×4, first 2 shown]
	s_and_b32 s1, vcc_lo, exec_lo
	s_and_not1_b32 s3, s3, exec_lo
	s_or_b32 s2, s2, exec_lo
	s_or_b32 s0, s0, s1
	s_or_b32 exec_lo, exec_lo, s36
	s_and_saveexec_b32 s1, s0
	s_cbranch_execz .LBB39_59
.LBB39_56:                              ;   in Loop: Header=BB39_3 Depth=1
	v_cmp_le_f32_e32 vcc_lo, 0, v0
	v_cmp_ge_f32_e64 s0, 1.0, v0
	s_delay_alu instid0(VALU_DEP_1)
	s_and_b32 s37, vcc_lo, s0
	s_mov_b32 s0, 0
	s_and_saveexec_b32 s36, s37
	s_cbranch_execz .LBB39_58
; %bb.57:                               ;   in Loop: Header=BB39_3 Depth=1
	v_cvt_f32_u32_e32 v3, v10
	v_mov_b32_e32 v6, v4
	s_mov_b32 s0, exec_lo
	s_delay_alu instid0(VALU_DEP_2) | instskip(NEXT) | instid1(VALU_DEP_2)
	v_fmaak_f32 v3, 0x2f800000, v3, 0x2f800000
	v_lshlrev_b64 v[5:6], 2, v[5:6]
	s_delay_alu instid0(VALU_DEP_1) | instskip(NEXT) | instid1(VALU_DEP_2)
	v_add_co_u32 v5, vcc_lo, s12, v5
	v_add_co_ci_u32_e32 v6, vcc_lo, s13, v6, vcc_lo
	s_delay_alu instid0(VALU_DEP_4)
	v_cmp_le_f32_e32 vcc_lo, v3, v0
	v_cndmask_b32_e64 v0, 0, 1, vcc_lo
	global_store_b32 v[5:6], v0, off
.LBB39_58:                              ;   in Loop: Header=BB39_3 Depth=1
	s_or_b32 exec_lo, exec_lo, s36
	s_delay_alu instid0(SALU_CYCLE_1)
	s_and_not1_b32 s2, s2, exec_lo
	s_and_b32 s0, s0, exec_lo
	s_or_b32 s35, s35, exec_lo
	s_and_not1_b32 s19, s19, exec_lo
	s_and_not1_b32 s18, s18, exec_lo
	;; [unrolled: 1-line block ×3, first 2 shown]
	s_or_b32 s2, s2, s0
.LBB39_59:                              ;   in Loop: Header=BB39_3 Depth=1
	s_or_b32 exec_lo, exec_lo, s1
	s_delay_alu instid0(SALU_CYCLE_1)
	s_and_not1_b32 s1, s34, exec_lo
	s_and_b32 s34, s35, exec_lo
	s_and_not1_b32 s31, s31, exec_lo
	s_and_b32 s19, s19, exec_lo
	s_or_b32 s34, s1, s34
	s_or_b32 s31, s31, s19
	s_and_not1_b32 s1, s33, exec_lo
	s_and_b32 s18, s18, exec_lo
	s_and_not1_b32 s19, s30, exec_lo
	s_and_b32 s3, s3, exec_lo
	s_mov_b32 s0, -1
	s_or_b32 s33, s1, s18
	s_or_b32 s30, s19, s3
	s_and_saveexec_b32 s1, s2
	s_cbranch_execz .LBB39_2
; %bb.60:                               ;   in Loop: Header=BB39_3 Depth=1
	v_add_nc_u32_e32 v29, s25, v29
	s_and_not1_b32 s34, s34, exec_lo
	s_and_not1_b32 s31, s31, exec_lo
	;; [unrolled: 1-line block ×4, first 2 shown]
	v_cmp_le_u32_e32 vcc_lo, s20, v29
	s_or_not1_b32 s0, vcc_lo, exec_lo
	s_branch .LBB39_2
.LBB39_61:
	s_or_b32 exec_lo, exec_lo, s15
	s_xor_b32 s3, s28, -1
	s_xor_b32 s4, s29, -1
	;; [unrolled: 1-line block ×3, first 2 shown]
	s_mov_b32 s1, 0
	s_and_saveexec_b32 s2, s0
	s_delay_alu instid0(SALU_CYCLE_1)
	s_xor_b32 s0, exec_lo, s2
	s_cbranch_execz .LBB39_70
; %bb.62:
	s_mov_b32 s2, 0
	s_and_saveexec_b32 s1, s4
	s_delay_alu instid0(SALU_CYCLE_1)
	s_xor_b32 s1, exec_lo, s1
	s_cbranch_execz .LBB39_68
; %bb.63:
	s_and_saveexec_b32 s4, s3
	s_delay_alu instid0(SALU_CYCLE_1)
	s_xor_b32 s3, exec_lo, s4
	s_cbranch_execz .LBB39_66
; %bb.64:
	s_and_saveexec_b32 s4, s14
	s_delay_alu instid0(SALU_CYCLE_1)
	s_xor_b32 s4, exec_lo, s4
	s_cbranch_execnz .LBB39_84
.LBB39_65:
	s_or_b32 exec_lo, exec_lo, s4
	s_delay_alu instid0(SALU_CYCLE_1)
	s_and_b32 s2, s2, exec_lo
.LBB39_66:
	s_and_not1_saveexec_b32 s3, s3
	s_cbranch_execnz .LBB39_80
.LBB39_67:
	s_or_b32 exec_lo, exec_lo, s3
	s_delay_alu instid0(SALU_CYCLE_1)
	s_and_b32 s2, s2, exec_lo
.LBB39_68:
	s_and_not1_saveexec_b32 s1, s1
	s_cbranch_execnz .LBB39_76
.LBB39_69:
	s_or_b32 exec_lo, exec_lo, s1
	s_delay_alu instid0(SALU_CYCLE_1)
	s_and_b32 s1, s2, exec_lo
.LBB39_70:
	s_and_not1_saveexec_b32 s0, s0
	s_cbranch_execnz .LBB39_74
; %bb.71:
	s_or_b32 exec_lo, exec_lo, s0
	s_delay_alu instid0(SALU_CYCLE_1)
	s_and_b32 exec_lo, exec_lo, s1
.LBB39_72:
	; divergent unreachable
.LBB39_73:
	s_nop 0
	s_sendmsg sendmsg(MSG_DEALLOC_VGPRS)
	s_endpgm
.LBB39_74:
	s_cbranch_execnz .LBB39_78
; %bb.75:
	s_or_b32 s1, s1, exec_lo
	s_or_b32 exec_lo, exec_lo, s0
	s_delay_alu instid0(SALU_CYCLE_1)
	s_and_b32 exec_lo, exec_lo, s1
	s_cbranch_execnz .LBB39_72
	s_branch .LBB39_73
.LBB39_76:
	s_cbranch_execnz .LBB39_82
; %bb.77:
	s_or_b32 s2, s2, exec_lo
	s_branch .LBB39_69
.LBB39_78:
	s_trap 2
	s_sendmsg_rtn_b32 s0, sendmsg(MSG_RTN_GET_DOORBELL)
	s_mov_b32 ttmp2, m0
	s_waitcnt lgkmcnt(0)
	s_and_b32 s0, s0, 0x3ff
	s_delay_alu instid0(SALU_CYCLE_1) | instskip(NEXT) | instid1(SALU_CYCLE_1)
	s_bitset1_b32 s0, 10
	s_mov_b32 m0, s0
	s_sendmsg sendmsg(MSG_INTERRUPT)
	s_mov_b32 m0, ttmp2
.LBB39_79:                              ; =>This Inner Loop Header: Depth=1
	s_sethalt 5
	s_branch .LBB39_79
.LBB39_80:
	s_cbranch_execnz .LBB39_86
; %bb.81:
	s_or_b32 s2, s2, exec_lo
	s_branch .LBB39_67
.LBB39_82:
	s_trap 2
	s_sendmsg_rtn_b32 s0, sendmsg(MSG_RTN_GET_DOORBELL)
	s_mov_b32 ttmp2, m0
	s_waitcnt lgkmcnt(0)
	s_and_b32 s0, s0, 0x3ff
	s_delay_alu instid0(SALU_CYCLE_1) | instskip(NEXT) | instid1(SALU_CYCLE_1)
	s_bitset1_b32 s0, 10
	s_mov_b32 m0, s0
	s_sendmsg sendmsg(MSG_INTERRUPT)
	s_mov_b32 m0, ttmp2
.LBB39_83:                              ; =>This Inner Loop Header: Depth=1
	s_sethalt 5
	s_branch .LBB39_83
.LBB39_84:
	s_cbranch_execnz .LBB39_88
; %bb.85:
	s_mov_b32 s2, exec_lo
	s_branch .LBB39_65
.LBB39_86:
	s_trap 2
	s_sendmsg_rtn_b32 s0, sendmsg(MSG_RTN_GET_DOORBELL)
	s_mov_b32 ttmp2, m0
	s_waitcnt lgkmcnt(0)
	s_and_b32 s0, s0, 0x3ff
	s_delay_alu instid0(SALU_CYCLE_1) | instskip(NEXT) | instid1(SALU_CYCLE_1)
	s_bitset1_b32 s0, 10
	s_mov_b32 m0, s0
	s_sendmsg sendmsg(MSG_INTERRUPT)
	s_mov_b32 m0, ttmp2
.LBB39_87:                              ; =>This Inner Loop Header: Depth=1
	s_sethalt 5
	s_branch .LBB39_87
.LBB39_88:
	s_trap 2
	s_sendmsg_rtn_b32 s0, sendmsg(MSG_RTN_GET_DOORBELL)
	s_mov_b32 ttmp2, m0
	s_waitcnt lgkmcnt(0)
	s_and_b32 s0, s0, 0x3ff
	s_delay_alu instid0(SALU_CYCLE_1) | instskip(NEXT) | instid1(SALU_CYCLE_1)
	s_bitset1_b32 s0, 10
	s_mov_b32 m0, s0
	s_sendmsg sendmsg(MSG_INTERRUPT)
	s_mov_b32 m0, ttmp2
.LBB39_89:                              ; =>This Inner Loop Header: Depth=1
	s_sethalt 5
	s_branch .LBB39_89
	.section	.rodata,"a",@progbits
	.p2align	6, 0x0
	.amdhsa_kernel _ZN2at4cuda12_GLOBAL__N_121kernelPointwiseApply2IZNS_6native9templates4cuda28bernoulli_tensor_cuda_kernelIifEEvRKNS_10TensorBaseES9_NS_15PhiloxCudaStateEEUliRiSB_SB_SB_RKfSD_SD_SD_E_iSC_jLin1ELi1ELi4ELi512ELi2EEEvNS0_6detail10TensorInfoIT0_T2_EENSG_IT1_SI_EESI_T_
		.amdhsa_group_segment_fixed_size 0
		.amdhsa_private_segment_fixed_size 0
		.amdhsa_kernarg_size 728
		.amdhsa_user_sgpr_count 15
		.amdhsa_user_sgpr_dispatch_ptr 0
		.amdhsa_user_sgpr_queue_ptr 0
		.amdhsa_user_sgpr_kernarg_segment_ptr 1
		.amdhsa_user_sgpr_dispatch_id 0
		.amdhsa_user_sgpr_private_segment_size 0
		.amdhsa_wavefront_size32 1
		.amdhsa_uses_dynamic_stack 0
		.amdhsa_enable_private_segment 0
		.amdhsa_system_sgpr_workgroup_id_x 1
		.amdhsa_system_sgpr_workgroup_id_y 0
		.amdhsa_system_sgpr_workgroup_id_z 0
		.amdhsa_system_sgpr_workgroup_info 0
		.amdhsa_system_vgpr_workitem_id 0
		.amdhsa_next_free_vgpr 41
		.amdhsa_next_free_sgpr 40
		.amdhsa_reserve_vcc 1
		.amdhsa_float_round_mode_32 0
		.amdhsa_float_round_mode_16_64 0
		.amdhsa_float_denorm_mode_32 3
		.amdhsa_float_denorm_mode_16_64 3
		.amdhsa_dx10_clamp 1
		.amdhsa_ieee_mode 1
		.amdhsa_fp16_overflow 0
		.amdhsa_workgroup_processor_mode 1
		.amdhsa_memory_ordered 1
		.amdhsa_forward_progress 0
		.amdhsa_shared_vgpr_count 0
		.amdhsa_exception_fp_ieee_invalid_op 0
		.amdhsa_exception_fp_denorm_src 0
		.amdhsa_exception_fp_ieee_div_zero 0
		.amdhsa_exception_fp_ieee_overflow 0
		.amdhsa_exception_fp_ieee_underflow 0
		.amdhsa_exception_fp_ieee_inexact 0
		.amdhsa_exception_int_div_zero 0
	.end_amdhsa_kernel
	.section	.text._ZN2at4cuda12_GLOBAL__N_121kernelPointwiseApply2IZNS_6native9templates4cuda28bernoulli_tensor_cuda_kernelIifEEvRKNS_10TensorBaseES9_NS_15PhiloxCudaStateEEUliRiSB_SB_SB_RKfSD_SD_SD_E_iSC_jLin1ELi1ELi4ELi512ELi2EEEvNS0_6detail10TensorInfoIT0_T2_EENSG_IT1_SI_EESI_T_,"axG",@progbits,_ZN2at4cuda12_GLOBAL__N_121kernelPointwiseApply2IZNS_6native9templates4cuda28bernoulli_tensor_cuda_kernelIifEEvRKNS_10TensorBaseES9_NS_15PhiloxCudaStateEEUliRiSB_SB_SB_RKfSD_SD_SD_E_iSC_jLin1ELi1ELi4ELi512ELi2EEEvNS0_6detail10TensorInfoIT0_T2_EENSG_IT1_SI_EESI_T_,comdat
.Lfunc_end39:
	.size	_ZN2at4cuda12_GLOBAL__N_121kernelPointwiseApply2IZNS_6native9templates4cuda28bernoulli_tensor_cuda_kernelIifEEvRKNS_10TensorBaseES9_NS_15PhiloxCudaStateEEUliRiSB_SB_SB_RKfSD_SD_SD_E_iSC_jLin1ELi1ELi4ELi512ELi2EEEvNS0_6detail10TensorInfoIT0_T2_EENSG_IT1_SI_EESI_T_, .Lfunc_end39-_ZN2at4cuda12_GLOBAL__N_121kernelPointwiseApply2IZNS_6native9templates4cuda28bernoulli_tensor_cuda_kernelIifEEvRKNS_10TensorBaseES9_NS_15PhiloxCudaStateEEUliRiSB_SB_SB_RKfSD_SD_SD_E_iSC_jLin1ELi1ELi4ELi512ELi2EEEvNS0_6detail10TensorInfoIT0_T2_EENSG_IT1_SI_EESI_T_
                                        ; -- End function
	.section	.AMDGPU.csdata,"",@progbits
; Kernel info:
; codeLenInByte = 4264
; NumSgprs: 42
; NumVgprs: 41
; ScratchSize: 0
; MemoryBound: 0
; FloatMode: 240
; IeeeMode: 1
; LDSByteSize: 0 bytes/workgroup (compile time only)
; SGPRBlocks: 5
; VGPRBlocks: 5
; NumSGPRsForWavesPerEU: 42
; NumVGPRsForWavesPerEU: 41
; Occupancy: 16
; WaveLimiterHint : 1
; COMPUTE_PGM_RSRC2:SCRATCH_EN: 0
; COMPUTE_PGM_RSRC2:USER_SGPR: 15
; COMPUTE_PGM_RSRC2:TRAP_HANDLER: 0
; COMPUTE_PGM_RSRC2:TGID_X_EN: 1
; COMPUTE_PGM_RSRC2:TGID_Y_EN: 0
; COMPUTE_PGM_RSRC2:TGID_Z_EN: 0
; COMPUTE_PGM_RSRC2:TIDIG_COMP_CNT: 0
	.section	.text._ZN2at4cuda12_GLOBAL__N_121kernelPointwiseApply2IZNS_6native9templates4cuda28bernoulli_tensor_cuda_kernelIifEEvRKNS_10TensorBaseES9_NS_15PhiloxCudaStateEEUliRiSB_SB_SB_RKfSD_SD_SD_E_iSC_jLin1ELi2ELi4ELi512ELi2EEEvNS0_6detail10TensorInfoIT0_T2_EENSG_IT1_SI_EESI_T_,"axG",@progbits,_ZN2at4cuda12_GLOBAL__N_121kernelPointwiseApply2IZNS_6native9templates4cuda28bernoulli_tensor_cuda_kernelIifEEvRKNS_10TensorBaseES9_NS_15PhiloxCudaStateEEUliRiSB_SB_SB_RKfSD_SD_SD_E_iSC_jLin1ELi2ELi4ELi512ELi2EEEvNS0_6detail10TensorInfoIT0_T2_EENSG_IT1_SI_EESI_T_,comdat
	.globl	_ZN2at4cuda12_GLOBAL__N_121kernelPointwiseApply2IZNS_6native9templates4cuda28bernoulli_tensor_cuda_kernelIifEEvRKNS_10TensorBaseES9_NS_15PhiloxCudaStateEEUliRiSB_SB_SB_RKfSD_SD_SD_E_iSC_jLin1ELi2ELi4ELi512ELi2EEEvNS0_6detail10TensorInfoIT0_T2_EENSG_IT1_SI_EESI_T_ ; -- Begin function _ZN2at4cuda12_GLOBAL__N_121kernelPointwiseApply2IZNS_6native9templates4cuda28bernoulli_tensor_cuda_kernelIifEEvRKNS_10TensorBaseES9_NS_15PhiloxCudaStateEEUliRiSB_SB_SB_RKfSD_SD_SD_E_iSC_jLin1ELi2ELi4ELi512ELi2EEEvNS0_6detail10TensorInfoIT0_T2_EENSG_IT1_SI_EESI_T_
	.p2align	8
	.type	_ZN2at4cuda12_GLOBAL__N_121kernelPointwiseApply2IZNS_6native9templates4cuda28bernoulli_tensor_cuda_kernelIifEEvRKNS_10TensorBaseES9_NS_15PhiloxCudaStateEEUliRiSB_SB_SB_RKfSD_SD_SD_E_iSC_jLin1ELi2ELi4ELi512ELi2EEEvNS0_6detail10TensorInfoIT0_T2_EENSG_IT1_SI_EESI_T_,@function
_ZN2at4cuda12_GLOBAL__N_121kernelPointwiseApply2IZNS_6native9templates4cuda28bernoulli_tensor_cuda_kernelIifEEvRKNS_10TensorBaseES9_NS_15PhiloxCudaStateEEUliRiSB_SB_SB_RKfSD_SD_SD_E_iSC_jLin1ELi2ELi4ELi512ELi2EEEvNS0_6detail10TensorInfoIT0_T2_EENSG_IT1_SI_EESI_T_: ; @_ZN2at4cuda12_GLOBAL__N_121kernelPointwiseApply2IZNS_6native9templates4cuda28bernoulli_tensor_cuda_kernelIifEEvRKNS_10TensorBaseES9_NS_15PhiloxCudaStateEEUliRiSB_SB_SB_RKfSD_SD_SD_E_iSC_jLin1ELi2ELi4ELi512ELi2EEEvNS0_6detail10TensorInfoIT0_T2_EENSG_IT1_SI_EESI_T_
; %bb.0:
	s_clause 0x1
	s_load_b32 s2, s[0:1], 0x1e4
	s_load_b32 s20, s[0:1], 0x1b0
	s_add_u32 s4, s0, 0x1d8
	s_addc_u32 s5, s1, 0
	s_waitcnt lgkmcnt(0)
	s_and_b32 s12, s2, 0xffff
	s_mov_b32 s2, exec_lo
	v_mad_u64_u32 v[1:2], null, s15, s12, v[0:1]
	s_delay_alu instid0(VALU_DEP_1) | instskip(NEXT) | instid1(VALU_DEP_1)
	v_lshlrev_b32_e32 v28, 2, v1
	v_cmpx_gt_u32_e64 s20, v28
	s_cbranch_execz .LBB40_81
; %bb.1:
	s_clause 0x3
	s_load_b32 s21, s[0:1], 0xe4
	s_load_b32 s18, s[0:1], 0xd0
	s_load_b64 s[2:3], s[0:1], 0x144
	s_load_b32 s6, s[0:1], 0x1d0
	v_mad_u64_u32 v[2:3], null, 0xcd9e8d57, v1, 0
	s_load_b32 s16, s[4:5], 0x0
	s_clause 0x2
	s_load_b32 s22, s[0:1], 0x6c
	s_load_b64 s[8:9], s[0:1], 0xd8
	s_load_b64 s[14:15], s[0:1], 0x0
	v_mov_b32_e32 v4, 0
                                        ; implicit-def: $sgpr26
                                        ; implicit-def: $sgpr28
                                        ; implicit-def: $sgpr27
                                        ; implicit-def: $sgpr29
                                        ; implicit-def: $sgpr31
                                        ; implicit-def: $sgpr30
                                        ; implicit-def: $sgpr33
	s_delay_alu instid0(VALU_DEP_2)
	v_mov_b32_e32 v29, v3
	s_waitcnt lgkmcnt(0)
	v_cvt_f32_u32_e32 v0, s21
	s_cmp_gt_i32 s18, 1
	s_cselect_b32 s23, -1, 0
	s_bitcmp1_b32 s6, 0
	s_delay_alu instid0(VALU_DEP_1)
	v_rcp_iflag_f32_e32 v0, v0
	s_cselect_b32 s24, -1, 0
	s_sub_i32 s13, 0, s21
	s_clause 0x1
	s_load_b64 s[10:11], s[0:1], 0x1c8
	s_load_b128 s[4:7], s[0:1], 0x1b8
	s_mul_i32 s16, s16, s12
	s_add_i32 s12, s18, -1
	s_lshl_b32 s25, s16, 2
	s_waitcnt_depctr 0xfff
	v_mul_f32_e32 v0, 0x4f7ffffe, v0
	s_delay_alu instid0(VALU_DEP_1) | instskip(NEXT) | instid1(VALU_DEP_1)
	v_cvt_u32_f32_e32 v0, v0
	v_mul_lo_u32 v5, s13, v0
	s_mov_b32 s13, 0
	s_delay_alu instid0(SALU_CYCLE_1) | instskip(SKIP_4) | instid1(VALU_DEP_1)
	s_lshl_b64 s[16:17], s[12:13], 2
	s_add_i32 s12, s18, 1
	s_add_u32 s0, s16, s0
	s_addc_u32 s1, s17, s1
	s_add_u32 s16, s0, 8
	v_mul_hi_u32 v5, v0, v5
	s_addc_u32 s17, s1, 0
                                        ; implicit-def: $sgpr1
	s_delay_alu instid0(VALU_DEP_1)
	v_add_nc_u32_e32 v30, v0, v5
	s_branch .LBB40_3
.LBB40_2:                               ;   in Loop: Header=BB40_3 Depth=1
	s_or_b32 exec_lo, exec_lo, s18
	s_delay_alu instid0(SALU_CYCLE_1) | instskip(NEXT) | instid1(SALU_CYCLE_1)
	s_and_b32 s0, exec_lo, s0
	s_or_b32 s13, s0, s13
	s_and_not1_b32 s0, s1, exec_lo
	s_and_b32 s1, s33, exec_lo
	s_and_not1_b32 s18, s27, exec_lo
	s_and_b32 s19, s30, exec_lo
	s_or_b32 s1, s0, s1
	s_or_b32 s27, s18, s19
	s_and_not1_b32 s0, s28, exec_lo
	s_and_b32 s18, s31, exec_lo
	s_and_not1_b32 s19, s26, exec_lo
	s_and_b32 s26, s29, exec_lo
	s_or_b32 s28, s0, s18
	s_or_b32 s26, s19, s26
	s_and_not1_b32 exec_lo, exec_lo, s13
	s_cbranch_execz .LBB40_69
.LBB40_3:                               ; =>This Loop Header: Depth=1
                                        ;     Child Loop BB40_6 Depth 2
                                        ;     Child Loop BB40_13 Depth 2
	;; [unrolled: 1-line block ×4, first 2 shown]
	v_sub_nc_u32_e32 v31, s20, v28
	v_mov_b32_e32 v5, 0
	s_delay_alu instid0(VALU_DEP_2) | instskip(NEXT) | instid1(VALU_DEP_1)
	v_cmp_lt_i32_e64 s0, 0, v31
	s_and_saveexec_b32 s34, s0
	s_cbranch_execz .LBB40_8
; %bb.4:                                ;   in Loop: Header=BB40_3 Depth=1
	v_dual_mov_b32 v0, 0 :: v_dual_mov_b32 v3, v28
	s_and_not1_b32 vcc_lo, exec_lo, s23
	s_cbranch_vccnz .LBB40_7
; %bb.5:                                ;   in Loop: Header=BB40_3 Depth=1
	v_dual_mov_b32 v0, 0 :: v_dual_mov_b32 v3, v28
	s_mov_b64 s[18:19], s[16:17]
	s_mov_b32 s35, s12
	s_set_inst_prefetch_distance 0x1
	.p2align	6
.LBB40_6:                               ;   Parent Loop BB40_3 Depth=1
                                        ; =>  This Inner Loop Header: Depth=2
	s_clause 0x1
	s_load_b32 s36, s[18:19], 0x0
	s_load_b32 s37, s[18:19], 0x64
	v_mov_b32_e32 v7, v3
	s_add_i32 s35, s35, -1
	s_waitcnt lgkmcnt(0)
	v_cvt_f32_u32_e32 v5, s36
	s_sub_i32 s38, 0, s36
	s_add_u32 s18, s18, -4
	s_addc_u32 s19, s19, -1
	s_cmp_gt_u32 s35, 2
	v_rcp_iflag_f32_e32 v5, v5
	s_waitcnt_depctr 0xfff
	v_mul_f32_e32 v5, 0x4f7ffffe, v5
	s_delay_alu instid0(VALU_DEP_1) | instskip(NEXT) | instid1(VALU_DEP_1)
	v_cvt_u32_f32_e32 v5, v5
	v_mul_lo_u32 v6, s38, v5
	s_delay_alu instid0(VALU_DEP_1) | instskip(NEXT) | instid1(VALU_DEP_1)
	v_mul_hi_u32 v6, v5, v6
	v_add_nc_u32_e32 v3, v5, v6
	s_delay_alu instid0(VALU_DEP_1) | instskip(NEXT) | instid1(VALU_DEP_1)
	v_mul_hi_u32 v3, v7, v3
	v_add_nc_u32_e32 v6, 1, v3
	v_mul_lo_u32 v5, v3, s36
	s_delay_alu instid0(VALU_DEP_1) | instskip(NEXT) | instid1(VALU_DEP_1)
	v_sub_nc_u32_e32 v5, v7, v5
	v_subrev_nc_u32_e32 v8, s36, v5
	v_cmp_le_u32_e32 vcc_lo, s36, v5
	v_cndmask_b32_e32 v3, v3, v6, vcc_lo
	s_delay_alu instid0(VALU_DEP_1) | instskip(NEXT) | instid1(VALU_DEP_1)
	v_dual_cndmask_b32 v5, v5, v8 :: v_dual_add_nc_u32 v6, 1, v3
	v_cmp_le_u32_e32 vcc_lo, s36, v5
	s_delay_alu instid0(VALU_DEP_2) | instskip(NEXT) | instid1(VALU_DEP_1)
	v_cndmask_b32_e32 v3, v3, v6, vcc_lo
	v_mul_lo_u32 v5, v3, s36
	s_delay_alu instid0(VALU_DEP_1) | instskip(NEXT) | instid1(VALU_DEP_1)
	v_sub_nc_u32_e32 v7, v7, v5
	v_mad_u64_u32 v[5:6], null, s37, v7, v[0:1]
	s_delay_alu instid0(VALU_DEP_1)
	v_mov_b32_e32 v0, v5
	s_cbranch_scc1 .LBB40_6
.LBB40_7:                               ;   in Loop: Header=BB40_3 Depth=1
	s_set_inst_prefetch_distance 0x2
	s_delay_alu instid0(VALU_DEP_1)
	v_mad_u64_u32 v[5:6], null, s22, v3, v[0:1]
.LBB40_8:                               ;   in Loop: Header=BB40_3 Depth=1
	s_or_b32 exec_lo, exec_lo, s34
	v_dual_mov_b32 v6, 0 :: v_dual_mov_b32 v3, 0
	s_and_saveexec_b32 s18, s0
	s_cbranch_execz .LBB40_10
; %bb.9:                                ;   in Loop: Header=BB40_3 Depth=1
	v_mul_hi_u32 v0, v28, v30
	s_delay_alu instid0(VALU_DEP_1) | instskip(SKIP_1) | instid1(VALU_DEP_2)
	v_mul_lo_u32 v3, v0, s21
	v_add_nc_u32_e32 v7, 1, v0
	v_sub_nc_u32_e32 v3, v28, v3
	s_delay_alu instid0(VALU_DEP_1) | instskip(SKIP_1) | instid1(VALU_DEP_2)
	v_subrev_nc_u32_e32 v8, s21, v3
	v_cmp_le_u32_e32 vcc_lo, s21, v3
	v_dual_cndmask_b32 v0, v0, v7 :: v_dual_cndmask_b32 v3, v3, v8
	s_delay_alu instid0(VALU_DEP_1) | instskip(NEXT) | instid1(VALU_DEP_2)
	v_add_nc_u32_e32 v7, 1, v0
	v_cmp_le_u32_e32 vcc_lo, s21, v3
	s_delay_alu instid0(VALU_DEP_2) | instskip(NEXT) | instid1(VALU_DEP_1)
	v_cndmask_b32_e32 v3, v0, v7, vcc_lo
	v_mul_lo_u32 v0, v3, s21
	s_delay_alu instid0(VALU_DEP_1) | instskip(NEXT) | instid1(VALU_DEP_1)
	v_sub_nc_u32_e32 v0, v28, v0
	v_mul_lo_u32 v0, v0, s3
	s_delay_alu instid0(VALU_DEP_1) | instskip(NEXT) | instid1(VALU_DEP_1)
	v_mad_u64_u32 v[7:8], null, v3, s2, v[0:1]
	v_mov_b32_e32 v3, v7
.LBB40_10:                              ;   in Loop: Header=BB40_3 Depth=1
	s_or_b32 exec_lo, exec_lo, s18
	v_or_b32_e32 v8, 1, v28
	v_cmp_lt_i32_e64 s0, 1, v31
	s_delay_alu instid0(VALU_DEP_1)
	s_and_saveexec_b32 s34, s0
	s_cbranch_execz .LBB40_15
; %bb.11:                               ;   in Loop: Header=BB40_3 Depth=1
	s_delay_alu instid0(VALU_DEP_2)
	v_dual_mov_b32 v0, 0 :: v_dual_mov_b32 v9, v8
	s_and_not1_b32 vcc_lo, exec_lo, s23
	s_cbranch_vccnz .LBB40_14
; %bb.12:                               ;   in Loop: Header=BB40_3 Depth=1
	v_dual_mov_b32 v0, 0 :: v_dual_mov_b32 v9, v8
	s_mov_b64 s[18:19], s[16:17]
	s_mov_b32 s35, s12
	s_set_inst_prefetch_distance 0x1
	.p2align	6
.LBB40_13:                              ;   Parent Loop BB40_3 Depth=1
                                        ; =>  This Inner Loop Header: Depth=2
	s_clause 0x1
	s_load_b32 s36, s[18:19], 0x0
	s_load_b32 s37, s[18:19], 0x64
	v_mov_b32_e32 v10, v9
	s_add_i32 s35, s35, -1
	s_waitcnt lgkmcnt(0)
	v_cvt_f32_u32_e32 v6, s36
	s_sub_i32 s38, 0, s36
	s_add_u32 s18, s18, -4
	s_addc_u32 s19, s19, -1
	s_cmp_gt_u32 s35, 2
	v_rcp_iflag_f32_e32 v6, v6
	s_waitcnt_depctr 0xfff
	v_mul_f32_e32 v6, 0x4f7ffffe, v6
	s_delay_alu instid0(VALU_DEP_1) | instskip(NEXT) | instid1(VALU_DEP_1)
	v_cvt_u32_f32_e32 v6, v6
	v_mul_lo_u32 v7, s38, v6
	s_delay_alu instid0(VALU_DEP_1) | instskip(NEXT) | instid1(VALU_DEP_1)
	v_mul_hi_u32 v7, v6, v7
	v_add_nc_u32_e32 v6, v6, v7
	s_delay_alu instid0(VALU_DEP_1) | instskip(NEXT) | instid1(VALU_DEP_1)
	v_mul_hi_u32 v6, v10, v6
	v_mul_lo_u32 v7, v6, s36
	v_add_nc_u32_e32 v9, 1, v6
	s_delay_alu instid0(VALU_DEP_2) | instskip(NEXT) | instid1(VALU_DEP_1)
	v_sub_nc_u32_e32 v7, v10, v7
	v_subrev_nc_u32_e32 v11, s36, v7
	v_cmp_le_u32_e32 vcc_lo, s36, v7
	s_delay_alu instid0(VALU_DEP_2) | instskip(NEXT) | instid1(VALU_DEP_1)
	v_dual_cndmask_b32 v7, v7, v11 :: v_dual_cndmask_b32 v6, v6, v9
	v_cmp_le_u32_e32 vcc_lo, s36, v7
	s_delay_alu instid0(VALU_DEP_2) | instskip(NEXT) | instid1(VALU_DEP_1)
	v_add_nc_u32_e32 v9, 1, v6
	v_cndmask_b32_e32 v9, v6, v9, vcc_lo
	s_delay_alu instid0(VALU_DEP_1) | instskip(NEXT) | instid1(VALU_DEP_1)
	v_mul_lo_u32 v6, v9, s36
	v_sub_nc_u32_e32 v10, v10, v6
	s_delay_alu instid0(VALU_DEP_1) | instskip(NEXT) | instid1(VALU_DEP_1)
	v_mad_u64_u32 v[6:7], null, s37, v10, v[0:1]
	v_mov_b32_e32 v0, v6
	s_cbranch_scc1 .LBB40_13
.LBB40_14:                              ;   in Loop: Header=BB40_3 Depth=1
	s_set_inst_prefetch_distance 0x2
	s_delay_alu instid0(VALU_DEP_1)
	v_mad_u64_u32 v[6:7], null, s22, v9, v[0:1]
.LBB40_15:                              ;   in Loop: Header=BB40_3 Depth=1
	s_or_b32 exec_lo, exec_lo, s34
	v_mov_b32_e32 v11, 0
	s_and_saveexec_b32 s18, s0
	s_cbranch_execz .LBB40_17
; %bb.16:                               ;   in Loop: Header=BB40_3 Depth=1
	v_mul_hi_u32 v0, v8, v30
	s_delay_alu instid0(VALU_DEP_1) | instskip(SKIP_1) | instid1(VALU_DEP_2)
	v_mul_lo_u32 v7, v0, s21
	v_add_nc_u32_e32 v9, 1, v0
	v_sub_nc_u32_e32 v7, v8, v7
	s_delay_alu instid0(VALU_DEP_1) | instskip(SKIP_1) | instid1(VALU_DEP_2)
	v_subrev_nc_u32_e32 v10, s21, v7
	v_cmp_le_u32_e32 vcc_lo, s21, v7
	v_dual_cndmask_b32 v0, v0, v9 :: v_dual_cndmask_b32 v7, v7, v10
	s_delay_alu instid0(VALU_DEP_1) | instskip(NEXT) | instid1(VALU_DEP_2)
	v_add_nc_u32_e32 v9, 1, v0
	v_cmp_le_u32_e32 vcc_lo, s21, v7
	s_delay_alu instid0(VALU_DEP_2) | instskip(NEXT) | instid1(VALU_DEP_1)
	v_cndmask_b32_e32 v7, v0, v9, vcc_lo
	v_mul_lo_u32 v0, v7, s21
	s_delay_alu instid0(VALU_DEP_1) | instskip(NEXT) | instid1(VALU_DEP_1)
	v_sub_nc_u32_e32 v0, v8, v0
	v_mul_lo_u32 v0, v0, s3
	s_delay_alu instid0(VALU_DEP_1)
	v_mad_u64_u32 v[11:12], null, v7, s2, v[0:1]
.LBB40_17:                              ;   in Loop: Header=BB40_3 Depth=1
	s_or_b32 exec_lo, exec_lo, s18
	v_mov_b32_e32 v7, 0
	v_or_b32_e32 v12, 2, v28
	v_mov_b32_e32 v8, 0
	v_cmp_lt_i32_e64 s0, 2, v31
	s_delay_alu instid0(VALU_DEP_1)
	s_and_saveexec_b32 s34, s0
	s_cbranch_execz .LBB40_22
; %bb.18:                               ;   in Loop: Header=BB40_3 Depth=1
	v_dual_mov_b32 v0, 0 :: v_dual_mov_b32 v9, v12
	s_and_not1_b32 vcc_lo, exec_lo, s23
	s_cbranch_vccnz .LBB40_21
; %bb.19:                               ;   in Loop: Header=BB40_3 Depth=1
	v_dual_mov_b32 v0, 0 :: v_dual_mov_b32 v9, v12
	s_mov_b64 s[18:19], s[16:17]
	s_mov_b32 s35, s12
	s_set_inst_prefetch_distance 0x1
	.p2align	6
.LBB40_20:                              ;   Parent Loop BB40_3 Depth=1
                                        ; =>  This Inner Loop Header: Depth=2
	s_clause 0x1
	s_load_b32 s36, s[18:19], 0x0
	s_load_b32 s37, s[18:19], 0x64
	s_add_i32 s35, s35, -1
	v_mov_b32_e32 v10, v9
	s_waitcnt lgkmcnt(0)
	v_cvt_f32_u32_e32 v7, s36
	s_sub_i32 s38, 0, s36
	s_add_u32 s18, s18, -4
	s_addc_u32 s19, s19, -1
	s_cmp_gt_u32 s35, 2
	v_rcp_iflag_f32_e32 v7, v7
	s_waitcnt_depctr 0xfff
	v_mul_f32_e32 v7, 0x4f7ffffe, v7
	s_delay_alu instid0(VALU_DEP_1) | instskip(NEXT) | instid1(VALU_DEP_1)
	v_cvt_u32_f32_e32 v7, v7
	v_mul_lo_u32 v8, s38, v7
	s_delay_alu instid0(VALU_DEP_1) | instskip(NEXT) | instid1(VALU_DEP_1)
	v_mul_hi_u32 v8, v7, v8
	v_add_nc_u32_e32 v7, v7, v8
	s_delay_alu instid0(VALU_DEP_1) | instskip(NEXT) | instid1(VALU_DEP_1)
	v_mul_hi_u32 v7, v10, v7
	v_mul_lo_u32 v8, v7, s36
	v_add_nc_u32_e32 v9, 1, v7
	s_delay_alu instid0(VALU_DEP_2) | instskip(NEXT) | instid1(VALU_DEP_1)
	v_sub_nc_u32_e32 v8, v10, v8
	v_subrev_nc_u32_e32 v13, s36, v8
	v_cmp_le_u32_e32 vcc_lo, s36, v8
	s_delay_alu instid0(VALU_DEP_4) | instskip(NEXT) | instid1(VALU_DEP_1)
	v_cndmask_b32_e32 v7, v7, v9, vcc_lo
	v_dual_cndmask_b32 v8, v8, v13 :: v_dual_add_nc_u32 v9, 1, v7
	s_delay_alu instid0(VALU_DEP_1) | instskip(NEXT) | instid1(VALU_DEP_2)
	v_cmp_le_u32_e32 vcc_lo, s36, v8
	v_cndmask_b32_e32 v9, v7, v9, vcc_lo
	s_delay_alu instid0(VALU_DEP_1) | instskip(NEXT) | instid1(VALU_DEP_1)
	v_mul_lo_u32 v7, v9, s36
	v_sub_nc_u32_e32 v10, v10, v7
	s_delay_alu instid0(VALU_DEP_1) | instskip(NEXT) | instid1(VALU_DEP_1)
	v_mad_u64_u32 v[7:8], null, s37, v10, v[0:1]
	v_mov_b32_e32 v0, v7
	s_cbranch_scc1 .LBB40_20
.LBB40_21:                              ;   in Loop: Header=BB40_3 Depth=1
	s_set_inst_prefetch_distance 0x2
	s_delay_alu instid0(VALU_DEP_1)
	v_mad_u64_u32 v[7:8], null, s22, v9, v[0:1]
	v_mov_b32_e32 v8, v4
.LBB40_22:                              ;   in Loop: Header=BB40_3 Depth=1
	s_or_b32 exec_lo, exec_lo, s34
	v_mov_b32_e32 v9, 0
	v_mov_b32_e32 v10, 0
	s_delay_alu instid0(VALU_DEP_1)
	v_dual_mov_b32 v14, v10 :: v_dual_mov_b32 v13, v9
	s_and_saveexec_b32 s18, s0
	s_cbranch_execz .LBB40_24
; %bb.23:                               ;   in Loop: Header=BB40_3 Depth=1
	v_mul_hi_u32 v0, v12, v30
	s_delay_alu instid0(VALU_DEP_1) | instskip(NEXT) | instid1(VALU_DEP_1)
	v_mul_lo_u32 v13, v0, s21
	v_sub_nc_u32_e32 v13, v12, v13
	s_delay_alu instid0(VALU_DEP_1) | instskip(SKIP_1) | instid1(VALU_DEP_2)
	v_subrev_nc_u32_e32 v15, s21, v13
	v_cmp_le_u32_e32 vcc_lo, s21, v13
	v_dual_cndmask_b32 v13, v13, v15 :: v_dual_add_nc_u32 v14, 1, v0
	s_delay_alu instid0(VALU_DEP_1) | instskip(NEXT) | instid1(VALU_DEP_2)
	v_cndmask_b32_e32 v0, v0, v14, vcc_lo
	v_cmp_le_u32_e32 vcc_lo, s21, v13
	s_delay_alu instid0(VALU_DEP_2) | instskip(NEXT) | instid1(VALU_DEP_1)
	v_add_nc_u32_e32 v14, 1, v0
	v_cndmask_b32_e32 v15, v0, v14, vcc_lo
	s_delay_alu instid0(VALU_DEP_1) | instskip(NEXT) | instid1(VALU_DEP_1)
	v_mul_lo_u32 v0, v15, s21
	v_sub_nc_u32_e32 v0, v12, v0
	s_delay_alu instid0(VALU_DEP_1) | instskip(NEXT) | instid1(VALU_DEP_1)
	v_mul_lo_u32 v0, v0, s3
	v_mad_u64_u32 v[13:14], null, v15, s2, v[0:1]
	v_mov_b32_e32 v14, v4
.LBB40_24:                              ;   in Loop: Header=BB40_3 Depth=1
	s_or_b32 exec_lo, exec_lo, s18
	v_or_b32_e32 v12, 3, v28
	v_cmp_lt_i32_e64 s0, 3, v31
	s_delay_alu instid0(VALU_DEP_1)
	s_and_saveexec_b32 s34, s0
	s_cbranch_execz .LBB40_29
; %bb.25:                               ;   in Loop: Header=BB40_3 Depth=1
	s_delay_alu instid0(VALU_DEP_2)
	v_dual_mov_b32 v0, 0 :: v_dual_mov_b32 v15, v12
	s_and_not1_b32 vcc_lo, exec_lo, s23
	s_cbranch_vccnz .LBB40_28
; %bb.26:                               ;   in Loop: Header=BB40_3 Depth=1
	v_dual_mov_b32 v0, 0 :: v_dual_mov_b32 v15, v12
	s_mov_b64 s[18:19], s[16:17]
	s_mov_b32 s35, s12
	s_set_inst_prefetch_distance 0x1
	.p2align	6
.LBB40_27:                              ;   Parent Loop BB40_3 Depth=1
                                        ; =>  This Inner Loop Header: Depth=2
	s_clause 0x1
	s_load_b32 s36, s[18:19], 0x0
	s_load_b32 s37, s[18:19], 0x64
	s_add_i32 s35, s35, -1
	v_mov_b32_e32 v16, v15
	s_waitcnt lgkmcnt(0)
	v_cvt_f32_u32_e32 v9, s36
	s_sub_i32 s38, 0, s36
	s_add_u32 s18, s18, -4
	s_addc_u32 s19, s19, -1
	s_cmp_gt_u32 s35, 2
	v_rcp_iflag_f32_e32 v9, v9
	s_waitcnt_depctr 0xfff
	v_mul_f32_e32 v9, 0x4f7ffffe, v9
	s_delay_alu instid0(VALU_DEP_1) | instskip(NEXT) | instid1(VALU_DEP_1)
	v_cvt_u32_f32_e32 v9, v9
	v_mul_lo_u32 v10, s38, v9
	s_delay_alu instid0(VALU_DEP_1) | instskip(NEXT) | instid1(VALU_DEP_1)
	v_mul_hi_u32 v10, v9, v10
	v_add_nc_u32_e32 v9, v9, v10
	s_delay_alu instid0(VALU_DEP_1) | instskip(NEXT) | instid1(VALU_DEP_1)
	v_mul_hi_u32 v9, v16, v9
	v_mul_lo_u32 v10, v9, s36
	v_add_nc_u32_e32 v15, 1, v9
	s_delay_alu instid0(VALU_DEP_2) | instskip(NEXT) | instid1(VALU_DEP_1)
	v_sub_nc_u32_e32 v10, v16, v10
	v_subrev_nc_u32_e32 v17, s36, v10
	v_cmp_le_u32_e32 vcc_lo, s36, v10
	s_delay_alu instid0(VALU_DEP_2) | instskip(NEXT) | instid1(VALU_DEP_1)
	v_dual_cndmask_b32 v9, v9, v15 :: v_dual_cndmask_b32 v10, v10, v17
	v_add_nc_u32_e32 v15, 1, v9
	s_delay_alu instid0(VALU_DEP_2) | instskip(NEXT) | instid1(VALU_DEP_2)
	v_cmp_le_u32_e32 vcc_lo, s36, v10
	v_cndmask_b32_e32 v15, v9, v15, vcc_lo
	s_delay_alu instid0(VALU_DEP_1) | instskip(NEXT) | instid1(VALU_DEP_1)
	v_mul_lo_u32 v9, v15, s36
	v_sub_nc_u32_e32 v16, v16, v9
	s_delay_alu instid0(VALU_DEP_1) | instskip(NEXT) | instid1(VALU_DEP_1)
	v_mad_u64_u32 v[9:10], null, s37, v16, v[0:1]
	v_mov_b32_e32 v0, v9
	s_cbranch_scc1 .LBB40_27
.LBB40_28:                              ;   in Loop: Header=BB40_3 Depth=1
	s_set_inst_prefetch_distance 0x2
	s_delay_alu instid0(VALU_DEP_1)
	v_mad_u64_u32 v[9:10], null, s22, v15, v[0:1]
	v_mov_b32_e32 v10, v4
.LBB40_29:                              ;   in Loop: Header=BB40_3 Depth=1
	s_or_b32 exec_lo, exec_lo, s34
	v_mov_b32_e32 v15, 0
	v_mov_b32_e32 v16, 0
	s_and_saveexec_b32 s18, s0
	s_cbranch_execz .LBB40_31
; %bb.30:                               ;   in Loop: Header=BB40_3 Depth=1
	v_mul_hi_u32 v0, v12, v30
	s_delay_alu instid0(VALU_DEP_1) | instskip(NEXT) | instid1(VALU_DEP_1)
	v_mul_lo_u32 v15, v0, s21
	v_sub_nc_u32_e32 v15, v12, v15
	s_delay_alu instid0(VALU_DEP_1) | instskip(SKIP_1) | instid1(VALU_DEP_2)
	v_subrev_nc_u32_e32 v17, s21, v15
	v_cmp_le_u32_e32 vcc_lo, s21, v15
	v_dual_cndmask_b32 v15, v15, v17 :: v_dual_add_nc_u32 v16, 1, v0
	s_delay_alu instid0(VALU_DEP_1) | instskip(NEXT) | instid1(VALU_DEP_2)
	v_cndmask_b32_e32 v0, v0, v16, vcc_lo
	v_cmp_le_u32_e32 vcc_lo, s21, v15
	s_delay_alu instid0(VALU_DEP_2) | instskip(NEXT) | instid1(VALU_DEP_1)
	v_add_nc_u32_e32 v16, 1, v0
	v_cndmask_b32_e32 v17, v0, v16, vcc_lo
	s_delay_alu instid0(VALU_DEP_1) | instskip(NEXT) | instid1(VALU_DEP_1)
	v_mul_lo_u32 v0, v17, s21
	v_sub_nc_u32_e32 v0, v12, v0
	s_delay_alu instid0(VALU_DEP_1) | instskip(NEXT) | instid1(VALU_DEP_1)
	v_mul_lo_u32 v0, v0, s3
	v_mad_u64_u32 v[15:16], null, v17, s2, v[0:1]
	v_mov_b32_e32 v16, v4
.LBB40_31:                              ;   in Loop: Header=BB40_3 Depth=1
	s_or_b32 exec_lo, exec_lo, s18
	v_mov_b32_e32 v12, v4
	v_lshlrev_b64 v[17:18], 2, v[3:4]
	v_lshlrev_b64 v[13:14], 2, v[13:14]
	;; [unrolled: 1-line block ×3, first 2 shown]
	s_delay_alu instid0(VALU_DEP_4) | instskip(NEXT) | instid1(VALU_DEP_4)
	v_lshlrev_b64 v[11:12], 2, v[11:12]
	v_add_co_u32 v17, vcc_lo, s8, v17
	v_add_co_ci_u32_e32 v18, vcc_lo, s9, v18, vcc_lo
	s_delay_alu instid0(VALU_DEP_3) | instskip(NEXT) | instid1(VALU_DEP_4)
	v_add_co_u32 v11, vcc_lo, s8, v11
	v_add_co_ci_u32_e32 v12, vcc_lo, s9, v12, vcc_lo
	v_add_co_u32 v13, vcc_lo, s8, v13
	v_add_co_ci_u32_e32 v14, vcc_lo, s9, v14, vcc_lo
	;; [unrolled: 2-line block ×3, first 2 shown]
	s_clause 0x3
	global_load_b32 v0, v[17:18], off
	global_load_b32 v3, v[11:12], off
	;; [unrolled: 1-line block ×4, first 2 shown]
	s_waitcnt lgkmcnt(0)
	v_mov_b32_e32 v16, s7
	v_dual_mov_b32 v18, s5 :: v_dual_mov_b32 v17, s4
	v_mov_b32_e32 v15, s6
	s_and_not1_b32 vcc_lo, exec_lo, s24
	s_cbranch_vccnz .LBB40_33
; %bb.32:                               ;   in Loop: Header=BB40_3 Depth=1
	v_dual_mov_b32 v12, s7 :: v_dual_mov_b32 v11, s6
	v_dual_mov_b32 v14, s5 :: v_dual_mov_b32 v13, s4
	flat_load_b64 v[11:12], v[11:12]
	flat_load_b64 v[17:18], v[13:14]
	s_waitcnt vmcnt(1) lgkmcnt(1)
	v_add_co_u32 v15, vcc_lo, v11, s10
	v_add_co_ci_u32_e32 v16, vcc_lo, s11, v12, vcc_lo
.LBB40_33:                              ;   in Loop: Header=BB40_3 Depth=1
	s_delay_alu instid0(VALU_DEP_1)
	v_alignbit_b32 v14, v16, v15, 2
	v_lshrrev_b32_e32 v13, 2, v16
	s_waitcnt vmcnt(0) lgkmcnt(0)
	v_add_nc_u32_e32 v35, 0xbb67ae85, v18
	v_add_nc_u32_e32 v36, 0x76cf5d0a, v18
	;; [unrolled: 1-line block ×3, first 2 shown]
	v_add_co_u32 v16, vcc_lo, v14, 1
	s_delay_alu instid0(VALU_DEP_1) | instskip(SKIP_4) | instid1(VALU_DEP_4)
	v_cndmask_b32_e64 v11, 0, 1, vcc_lo
	v_add_co_ci_u32_e32 v25, vcc_lo, 0, v13, vcc_lo
	v_xor3_b32 v21, v29, v17, v13
	v_add_nc_u32_e32 v38, 0x32370b8f, v18
	v_add_nc_u32_e32 v39, 0xed9eba14, v18
	v_cmp_eq_u32_e32 vcc_lo, 0, v25
	v_add_nc_u32_e32 v40, 0x1715609d, v17
	v_add_nc_u32_e32 v41, 0xa9066899, v18
	s_mov_b32 s0, exec_lo
	v_dual_cndmask_b32 v19, 0, v11 :: v_dual_add_nc_u32 v34, 0x9e3779b9, v17
	v_mad_u64_u32 v[11:12], null, 0xd2511f53, v16, 0
	s_delay_alu instid0(VALU_DEP_2) | instskip(NEXT) | instid1(VALU_DEP_2)
	v_add_nc_u32_e32 v16, v19, v1
	v_xor_b32_e32 v20, v12, v18
	s_delay_alu instid0(VALU_DEP_2) | instskip(SKIP_2) | instid1(VALU_DEP_1)
	v_cmp_eq_u32_e32 vcc_lo, 0, v16
	v_mad_u64_u32 v[12:13], null, 0xd2511f53, v14, 0
	v_cndmask_b32_e32 v19, 0, v19, vcc_lo
	v_xor_b32_e32 v14, v19, v20
	v_mad_u64_u32 v[19:20], null, 0xd2511f53, v21, 0
	v_mad_u64_u32 v[21:22], null, 0xcd9e8d57, v16, 0
	s_delay_alu instid0(VALU_DEP_3) | instskip(SKIP_3) | instid1(VALU_DEP_3)
	v_mad_u64_u32 v[23:24], null, 0xcd9e8d57, v14, 0
	v_xor_b32_e32 v14, v13, v18
	v_add_nc_u32_e32 v16, 0x3c6ef372, v17
	v_xor3_b32 v26, v35, v20, v12
	v_mad_u64_u32 v[12:13], null, 0xcd9e8d57, v14, 0
	v_xor3_b32 v14, v22, v17, v25
	v_xor3_b32 v22, v34, v24, v21
	s_delay_alu instid0(VALU_DEP_4) | instskip(NEXT) | instid1(VALU_DEP_3)
	v_mad_u64_u32 v[20:21], null, 0xcd9e8d57, v26, 0
	v_mad_u64_u32 v[24:25], null, 0xd2511f53, v14, 0
	s_delay_alu instid0(VALU_DEP_3) | instskip(SKIP_1) | instid1(VALU_DEP_4)
	v_mad_u64_u32 v[26:27], null, 0xd2511f53, v22, 0
	v_xor3_b32 v14, v2, v13, v34
	v_xor3_b32 v34, v16, v21, v12
	s_delay_alu instid0(VALU_DEP_4) | instskip(NEXT) | instid1(VALU_DEP_3)
	v_xor3_b32 v11, v35, v25, v11
	v_mad_u64_u32 v[12:13], null, 0xd2511f53, v14, 0
	v_xor3_b32 v14, v36, v27, v24
	s_delay_alu instid0(VALU_DEP_4) | instskip(NEXT) | instid1(VALU_DEP_4)
	v_mad_u64_u32 v[21:22], null, 0xd2511f53, v34, 0
	v_mad_u64_u32 v[24:25], null, 0xcd9e8d57, v11, 0
	s_delay_alu instid0(VALU_DEP_3) | instskip(SKIP_4) | instid1(VALU_DEP_4)
	v_mad_u64_u32 v[34:35], null, 0xcd9e8d57, v14, 0
	v_xor3_b32 v13, v36, v13, v19
	v_add_nc_u32_e32 v27, 0x78dde6e4, v17
	v_xor3_b32 v19, v38, v22, v12
	v_xor3_b32 v16, v16, v25, v23
	v_mad_u64_u32 v[11:12], null, 0xcd9e8d57, v13, 0
	v_xor3_b32 v35, v37, v35, v24
	s_delay_alu instid0(VALU_DEP_4) | instskip(NEXT) | instid1(VALU_DEP_4)
	v_mad_u64_u32 v[13:14], null, 0xcd9e8d57, v19, 0
	v_mad_u64_u32 v[22:23], null, 0xd2511f53, v16, 0
	s_delay_alu instid0(VALU_DEP_3) | instskip(SKIP_1) | instid1(VALU_DEP_4)
	v_mad_u64_u32 v[24:25], null, 0xd2511f53, v35, 0
	v_xor3_b32 v16, v37, v12, v20
	v_xor3_b32 v14, v27, v14, v11
	s_delay_alu instid0(VALU_DEP_2) | instskip(SKIP_2) | instid1(VALU_DEP_4)
	v_mad_u64_u32 v[11:12], null, 0xd2511f53, v16, 0
	v_xor3_b32 v16, v38, v23, v26
	v_xor3_b32 v22, v39, v25, v22
	v_mad_u64_u32 v[25:26], null, 0xd2511f53, v14, 0
	s_delay_alu instid0(VALU_DEP_3) | instskip(NEXT) | instid1(VALU_DEP_3)
	v_mad_u64_u32 v[19:20], null, 0xcd9e8d57, v16, 0
	v_mad_u64_u32 v[35:36], null, 0xcd9e8d57, v22, 0
	v_xor3_b32 v14, v39, v12, v21
	s_delay_alu instid0(VALU_DEP_4) | instskip(SKIP_2) | instid1(VALU_DEP_4)
	v_xor3_b32 v22, v41, v26, v11
	v_add_nc_u32_e32 v16, 0xb54cda56, v17
	v_add_nc_u32_e32 v21, 0x646e171e, v18
	v_mad_u64_u32 v[11:12], null, 0xcd9e8d57, v14, 0
	v_xor3_b32 v14, v27, v20, v34
	v_xor3_b32 v23, v40, v36, v19
	v_mad_u64_u32 v[36:37], null, 0xcd9e8d57, v22, 0
	v_add_nc_u32_e32 v27, 0x5384540f, v17
	s_delay_alu instid0(VALU_DEP_4) | instskip(NEXT) | instid1(VALU_DEP_4)
	v_mad_u64_u32 v[19:20], null, 0xd2511f53, v14, 0
	v_mad_u64_u32 v[38:39], null, 0xd2511f53, v23, 0
	v_xor3_b32 v13, v40, v12, v13
	v_xor3_b32 v14, v16, v37, v11
	v_add_nc_u32_e32 v40, 0x1fd5c5a3, v18
	v_add_co_u32 v34, null, 0xf1bbcdc8, v17
	v_xor3_b32 v22, v41, v20, v24
	v_xor3_b32 v24, v21, v39, v19
	v_mad_u64_u32 v[11:12], null, 0xd2511f53, v13, 0
	v_mad_u64_u32 v[19:20], null, 0xd2511f53, v14, 0
	s_delay_alu instid0(VALU_DEP_4) | instskip(NEXT) | instid1(VALU_DEP_4)
	v_mad_u64_u32 v[13:14], null, 0xcd9e8d57, v22, 0
	v_mad_u64_u32 v[22:23], null, 0xcd9e8d57, v24, 0
	s_delay_alu instid0(VALU_DEP_4) | instskip(NEXT) | instid1(VALU_DEP_4)
	v_xor3_b32 v21, v21, v12, v25
	v_xor3_b32 v24, v40, v20, v11
	s_delay_alu instid0(VALU_DEP_4) | instskip(NEXT) | instid1(VALU_DEP_3)
	v_xor3_b32 v16, v16, v14, v35
	v_mad_u64_u32 v[11:12], null, 0xcd9e8d57, v21, 0
	v_xor3_b32 v23, v27, v23, v13
	s_delay_alu instid0(VALU_DEP_4) | instskip(NEXT) | instid1(VALU_DEP_4)
	v_mad_u64_u32 v[20:21], null, 0xcd9e8d57, v24, 0
	v_mad_u64_u32 v[13:14], null, 0xd2511f53, v16, 0
	s_delay_alu instid0(VALU_DEP_3)
	v_mad_u64_u32 v[25:26], null, 0xd2511f53, v23, 0
	v_add_nc_u32_e32 v35, 0xdb3d7428, v18
	v_xor3_b32 v12, v27, v12, v36
	v_xor3_b32 v16, v34, v21, v11
	v_add_nc_u32_e32 v36, 0x96a522ad, v18
	v_xor3_b32 v14, v40, v14, v38
	v_and_b32_e32 v18, 3, v15
	v_xor3_b32 v21, v35, v26, v13
	v_mad_u64_u32 v[23:24], null, 0xd2511f53, v12, 0
	v_mad_u64_u32 v[11:12], null, 0xd2511f53, v16, 0
	;; [unrolled: 1-line block ×3, first 2 shown]
	s_delay_alu instid0(VALU_DEP_4) | instskip(SKIP_1) | instid1(VALU_DEP_4)
	v_mad_u64_u32 v[13:14], null, 0xcd9e8d57, v21, 0
	v_add_nc_u32_e32 v21, 0x8ff34781, v17
                                        ; implicit-def: $vgpr16
	v_xor3_b32 v17, v12, v23, v36
	s_delay_alu instid0(VALU_DEP_2)
	v_xor3_b32 v12, v14, v26, v21
	v_cmpx_lt_i32_e32 1, v18
	s_xor_b32 s0, exec_lo, s0
	s_cbranch_execz .LBB40_39
; %bb.34:                               ;   in Loop: Header=BB40_3 Depth=1
	s_mov_b32 s18, exec_lo
                                        ; implicit-def: $vgpr16
	v_cmpx_lt_i32_e32 2, v18
	s_xor_b32 s18, exec_lo, s18
; %bb.35:                               ;   in Loop: Header=BB40_3 Depth=1
	v_xor3_b32 v14, v34, v27, v22
                                        ; implicit-def: $vgpr17
	s_delay_alu instid0(VALU_DEP_1) | instskip(NEXT) | instid1(VALU_DEP_1)
	v_mul_hi_u32 v14, 0xd2511f53, v14
	v_xor3_b32 v16, v14, v25, v36
; %bb.36:                               ;   in Loop: Header=BB40_3 Depth=1
	s_and_not1_saveexec_b32 s18, s18
; %bb.37:                               ;   in Loop: Header=BB40_3 Depth=1
	v_dual_mov_b32 v16, v13 :: v_dual_mov_b32 v13, v12
	v_dual_mov_b32 v12, v11 :: v_dual_mov_b32 v11, v17
; %bb.38:                               ;   in Loop: Header=BB40_3 Depth=1
	s_or_b32 exec_lo, exec_lo, s18
                                        ; implicit-def: $vgpr19_vgpr20
                                        ; implicit-def: $vgpr18
                                        ; implicit-def: $vgpr17
                                        ; implicit-def: $vgpr35
                                        ; implicit-def: $vgpr23_vgpr24
                                        ; implicit-def: $vgpr20_vgpr21
                                        ; implicit-def: $vgpr21
.LBB40_39:                              ;   in Loop: Header=BB40_3 Depth=1
	s_and_not1_saveexec_b32 s0, s0
	s_cbranch_execz .LBB40_43
; %bb.40:                               ;   in Loop: Header=BB40_3 Depth=1
	v_xor3_b32 v13, v35, v24, v19
	v_cmp_eq_u32_e32 vcc_lo, 1, v18
	v_mov_b32_e32 v16, v11
	s_delay_alu instid0(VALU_DEP_3) | instskip(SKIP_1) | instid1(VALU_DEP_2)
	v_mad_u64_u32 v[14:15], null, 0xcd9e8d57, v13, 0
	v_mov_b32_e32 v13, v17
	v_xor3_b32 v18, v15, v20, v21
	s_delay_alu instid0(VALU_DEP_3)
	v_mov_b32_e32 v15, v14
	s_and_saveexec_b32 s18, vcc_lo
; %bb.41:                               ;   in Loop: Header=BB40_3 Depth=1
	v_dual_mov_b32 v16, v12 :: v_dual_mov_b32 v13, v11
	v_dual_mov_b32 v15, v17 :: v_dual_mov_b32 v18, v14
; %bb.42:                               ;   in Loop: Header=BB40_3 Depth=1
	s_or_b32 exec_lo, exec_lo, s18
	s_delay_alu instid0(VALU_DEP_1)
	v_dual_mov_b32 v11, v18 :: v_dual_mov_b32 v12, v15
.LBB40_43:                              ;   in Loop: Header=BB40_3 Depth=1
	s_or_b32 exec_lo, exec_lo, s0
	v_min_i32_e32 v14, 4, v31
	s_mov_b32 s18, 0
	s_mov_b32 s38, 0
	;; [unrolled: 1-line block ×3, first 2 shown]
                                        ; implicit-def: $sgpr34
                                        ; implicit-def: $sgpr35
                                        ; implicit-def: $sgpr36
	s_mov_b32 s0, exec_lo
	v_cmpx_lt_i32_e32 2, v14
	s_xor_b32 s37, exec_lo, s0
	s_cbranch_execz .LBB40_55
; %bb.44:                               ;   in Loop: Header=BB40_3 Depth=1
	s_mov_b32 s0, -1
	s_mov_b32 s39, 0
	s_mov_b32 s35, exec_lo
                                        ; implicit-def: $sgpr19
                                        ; implicit-def: $sgpr34
	v_cmpx_lt_i32_e32 3, v14
	s_cbranch_execz .LBB40_50
; %bb.45:                               ;   in Loop: Header=BB40_3 Depth=1
	s_mov_b32 s0, 0
	s_mov_b32 s39, -1
	s_mov_b32 s36, exec_lo
                                        ; implicit-def: $sgpr19
                                        ; implicit-def: $sgpr34
	v_cmpx_eq_u32_e32 4, v14
	s_cbranch_execz .LBB40_49
; %bb.46:                               ;   in Loop: Header=BB40_3 Depth=1
	v_cmp_le_f32_e32 vcc_lo, 0, v33
	v_cmp_ge_f32_e64 s0, 1.0, v33
	s_mov_b32 s19, 0
	s_delay_alu instid0(VALU_DEP_1)
	s_and_b32 s39, vcc_lo, s0
	s_mov_b32 s0, 0
	s_and_saveexec_b32 s34, s39
	s_cbranch_execz .LBB40_48
; %bb.47:                               ;   in Loop: Header=BB40_3 Depth=1
	v_cvt_f32_u32_e32 v15, v16
	v_lshlrev_b64 v[9:10], 2, v[9:10]
	s_mov_b32 s0, exec_lo
	s_delay_alu instid0(VALU_DEP_2) | instskip(NEXT) | instid1(VALU_DEP_2)
	v_fmaak_f32 v15, 0x2f800000, v15, 0x2f800000
	v_add_co_u32 v9, vcc_lo, s14, v9
	s_delay_alu instid0(VALU_DEP_3) | instskip(NEXT) | instid1(VALU_DEP_3)
	v_add_co_ci_u32_e32 v10, vcc_lo, s15, v10, vcc_lo
	v_cmp_le_f32_e32 vcc_lo, v15, v33
	v_cndmask_b32_e64 v15, 0, 1, vcc_lo
	global_store_b32 v[9:10], v15, off
.LBB40_48:                              ;   in Loop: Header=BB40_3 Depth=1
	s_or_b32 exec_lo, exec_lo, s34
	s_mov_b32 s34, -1
	s_xor_b32 s39, exec_lo, -1
	s_and_b32 s0, s0, exec_lo
.LBB40_49:                              ;   in Loop: Header=BB40_3 Depth=1
	s_or_b32 exec_lo, exec_lo, s36
	s_delay_alu instid0(SALU_CYCLE_1)
	s_and_b32 s39, s39, exec_lo
	s_or_not1_b32 s0, s0, exec_lo
.LBB40_50:                              ;   in Loop: Header=BB40_3 Depth=1
	s_or_b32 exec_lo, exec_lo, s35
	s_mov_b32 s36, s19
	s_and_saveexec_b32 s35, s0
	s_cbranch_execz .LBB40_54
; %bb.51:                               ;   in Loop: Header=BB40_3 Depth=1
	v_cmp_le_f32_e32 vcc_lo, 0, v32
	v_cmp_ge_f32_e64 s0, 1.0, v32
	s_delay_alu instid0(VALU_DEP_1) | instskip(SKIP_2) | instid1(SALU_CYCLE_1)
	s_and_b32 s36, vcc_lo, s0
	s_mov_b32 s0, 0
	s_and_saveexec_b32 s38, s36
	s_xor_b32 s36, exec_lo, s38
	s_cbranch_execz .LBB40_53
; %bb.52:                               ;   in Loop: Header=BB40_3 Depth=1
	v_cvt_f32_u32_e32 v9, v13
	v_lshlrev_b64 v[7:8], 2, v[7:8]
	s_mov_b32 s0, exec_lo
	s_delay_alu instid0(VALU_DEP_2) | instskip(NEXT) | instid1(VALU_DEP_2)
	v_fmaak_f32 v9, 0x2f800000, v9, 0x2f800000
	v_add_co_u32 v7, vcc_lo, s14, v7
	s_delay_alu instid0(VALU_DEP_3) | instskip(NEXT) | instid1(VALU_DEP_3)
	v_add_co_ci_u32_e32 v8, vcc_lo, s15, v8, vcc_lo
	v_cmp_le_f32_e32 vcc_lo, v9, v32
	v_cndmask_b32_e64 v9, 0, 1, vcc_lo
	global_store_b32 v[7:8], v9, off
.LBB40_53:                              ;   in Loop: Header=BB40_3 Depth=1
	s_or_b32 exec_lo, exec_lo, s36
	s_delay_alu instid0(SALU_CYCLE_1)
	s_and_not1_b32 s36, s19, exec_lo
	s_or_b32 s19, s19, exec_lo
	s_and_not1_b32 s34, s34, exec_lo
	s_and_b32 s38, s0, exec_lo
.LBB40_54:                              ;   in Loop: Header=BB40_3 Depth=1
	s_or_b32 exec_lo, exec_lo, s35
	s_delay_alu instid0(SALU_CYCLE_1)
	s_and_b32 s36, s36, exec_lo
	s_and_b32 s35, s19, exec_lo
	;; [unrolled: 1-line block ×5, first 2 shown]
.LBB40_55:                              ;   in Loop: Header=BB40_3 Depth=1
	s_and_not1_saveexec_b32 s0, s37
; %bb.56:                               ;   in Loop: Header=BB40_3 Depth=1
	v_cmp_lt_i32_e32 vcc_lo, 1, v14
	s_and_not1_b32 s37, s38, exec_lo
	s_mov_b32 s18, exec_lo
	s_and_not1_b32 s36, s36, exec_lo
	s_and_not1_b32 s35, s35, exec_lo
	s_and_b32 s38, vcc_lo, exec_lo
	s_and_not1_b32 s34, s34, exec_lo
	s_or_b32 s38, s37, s38
; %bb.57:                               ;   in Loop: Header=BB40_3 Depth=1
	s_or_b32 exec_lo, exec_lo, s0
	s_mov_b32 s0, 0
	s_mov_b32 s37, s36
	s_and_saveexec_b32 s39, s38
	s_cbranch_execnz .LBB40_60
; %bb.58:                               ;   in Loop: Header=BB40_3 Depth=1
	s_or_b32 exec_lo, exec_lo, s39
	s_and_saveexec_b32 s38, s18
	s_cbranch_execnz .LBB40_63
.LBB40_59:                              ;   in Loop: Header=BB40_3 Depth=1
	s_or_b32 exec_lo, exec_lo, s38
	s_and_saveexec_b32 s18, s0
	s_cbranch_execnz .LBB40_64
	s_branch .LBB40_67
.LBB40_60:                              ;   in Loop: Header=BB40_3 Depth=1
	v_cmp_le_f32_e32 vcc_lo, 0, v3
	v_cmp_ge_f32_e64 s0, 1.0, v3
	s_delay_alu instid0(VALU_DEP_1) | instskip(SKIP_2) | instid1(SALU_CYCLE_1)
	s_and_b32 s37, vcc_lo, s0
	s_mov_b32 s0, 0
	s_and_saveexec_b32 s38, s37
	s_xor_b32 s37, exec_lo, s38
	s_cbranch_execz .LBB40_62
; %bb.61:                               ;   in Loop: Header=BB40_3 Depth=1
	v_cvt_f32_u32_e32 v8, v12
	v_mov_b32_e32 v7, v4
	s_mov_b32 s0, exec_lo
	s_delay_alu instid0(VALU_DEP_2) | instskip(NEXT) | instid1(VALU_DEP_2)
	v_fmaak_f32 v8, 0x2f800000, v8, 0x2f800000
	v_lshlrev_b64 v[6:7], 2, v[6:7]
	s_delay_alu instid0(VALU_DEP_1) | instskip(NEXT) | instid1(VALU_DEP_2)
	v_add_co_u32 v6, vcc_lo, s14, v6
	v_add_co_ci_u32_e32 v7, vcc_lo, s15, v7, vcc_lo
	s_delay_alu instid0(VALU_DEP_4)
	v_cmp_le_f32_e32 vcc_lo, v8, v3
	v_cndmask_b32_e64 v3, 0, 1, vcc_lo
	global_store_b32 v[6:7], v3, off
.LBB40_62:                              ;   in Loop: Header=BB40_3 Depth=1
	s_or_b32 exec_lo, exec_lo, s37
	s_delay_alu instid0(SALU_CYCLE_1)
	s_and_not1_b32 s37, s36, exec_lo
	s_or_b32 s36, s36, exec_lo
	s_and_not1_b32 s35, s35, exec_lo
	s_and_not1_b32 s34, s34, exec_lo
	s_and_b32 s0, s0, exec_lo
	s_and_not1_b32 s18, s18, exec_lo
	s_or_b32 exec_lo, exec_lo, s39
	s_and_saveexec_b32 s38, s18
	s_cbranch_execz .LBB40_59
.LBB40_63:                              ;   in Loop: Header=BB40_3 Depth=1
	v_cmp_eq_u32_e32 vcc_lo, 1, v14
	s_and_not1_b32 s0, s0, exec_lo
	s_and_not1_b32 s37, s37, exec_lo
	s_and_not1_b32 s36, s36, exec_lo
	s_and_not1_b32 s35, s35, exec_lo
	s_and_b32 s18, vcc_lo, exec_lo
	s_and_not1_b32 s34, s34, exec_lo
	s_or_b32 s19, s19, exec_lo
	s_or_b32 s0, s0, s18
	s_or_b32 exec_lo, exec_lo, s38
	s_and_saveexec_b32 s18, s0
	s_cbranch_execz .LBB40_67
.LBB40_64:                              ;   in Loop: Header=BB40_3 Depth=1
	v_cmp_le_f32_e32 vcc_lo, 0, v0
	v_cmp_ge_f32_e64 s0, 1.0, v0
	s_delay_alu instid0(VALU_DEP_1)
	s_and_b32 s39, vcc_lo, s0
	s_mov_b32 s0, 0
	s_and_saveexec_b32 s38, s39
	s_cbranch_execz .LBB40_66
; %bb.65:                               ;   in Loop: Header=BB40_3 Depth=1
	v_cvt_f32_u32_e32 v3, v11
	v_mov_b32_e32 v6, v4
	s_mov_b32 s0, exec_lo
	s_delay_alu instid0(VALU_DEP_2) | instskip(NEXT) | instid1(VALU_DEP_2)
	v_fmaak_f32 v3, 0x2f800000, v3, 0x2f800000
	v_lshlrev_b64 v[5:6], 2, v[5:6]
	s_delay_alu instid0(VALU_DEP_1) | instskip(NEXT) | instid1(VALU_DEP_2)
	v_add_co_u32 v5, vcc_lo, s14, v5
	v_add_co_ci_u32_e32 v6, vcc_lo, s15, v6, vcc_lo
	s_delay_alu instid0(VALU_DEP_4)
	v_cmp_le_f32_e32 vcc_lo, v3, v0
	v_cndmask_b32_e64 v0, 0, 1, vcc_lo
	global_store_b32 v[5:6], v0, off
.LBB40_66:                              ;   in Loop: Header=BB40_3 Depth=1
	s_or_b32 exec_lo, exec_lo, s38
	s_delay_alu instid0(SALU_CYCLE_1)
	s_and_not1_b32 s19, s19, exec_lo
	s_and_b32 s0, s0, exec_lo
	s_or_b32 s37, s37, exec_lo
	s_and_not1_b32 s36, s36, exec_lo
	s_and_not1_b32 s35, s35, exec_lo
	;; [unrolled: 1-line block ×3, first 2 shown]
	s_or_b32 s19, s19, s0
.LBB40_67:                              ;   in Loop: Header=BB40_3 Depth=1
	s_or_b32 exec_lo, exec_lo, s18
	s_delay_alu instid0(SALU_CYCLE_1)
	s_and_not1_b32 s18, s33, exec_lo
	s_and_b32 s33, s37, exec_lo
	s_and_not1_b32 s30, s30, exec_lo
	s_and_b32 s36, s36, exec_lo
	s_or_b32 s33, s18, s33
	s_and_not1_b32 s18, s31, exec_lo
	s_and_b32 s31, s35, exec_lo
	s_and_not1_b32 s29, s29, exec_lo
	s_and_b32 s34, s34, exec_lo
	s_mov_b32 s0, -1
	s_or_b32 s30, s30, s36
	s_or_b32 s31, s18, s31
	;; [unrolled: 1-line block ×3, first 2 shown]
	s_and_saveexec_b32 s18, s19
	s_cbranch_execz .LBB40_2
; %bb.68:                               ;   in Loop: Header=BB40_3 Depth=1
	v_add_nc_u32_e32 v28, s25, v28
	s_and_not1_b32 s33, s33, exec_lo
	s_and_not1_b32 s30, s30, exec_lo
	;; [unrolled: 1-line block ×4, first 2 shown]
	v_cmp_le_u32_e32 vcc_lo, s20, v28
	s_or_not1_b32 s0, vcc_lo, exec_lo
	s_branch .LBB40_2
.LBB40_69:
	s_or_b32 exec_lo, exec_lo, s13
	s_xor_b32 s4, s27, -1
	s_xor_b32 s5, s28, -1
	;; [unrolled: 1-line block ×3, first 2 shown]
	s_mov_b32 s2, 0
	s_and_saveexec_b32 s3, s0
	s_delay_alu instid0(SALU_CYCLE_1)
	s_xor_b32 s0, exec_lo, s3
	s_cbranch_execz .LBB40_78
; %bb.70:
	s_mov_b32 s3, 0
	s_and_saveexec_b32 s2, s5
	s_delay_alu instid0(SALU_CYCLE_1)
	s_xor_b32 s2, exec_lo, s2
	s_cbranch_execz .LBB40_76
; %bb.71:
	s_and_saveexec_b32 s5, s4
	s_delay_alu instid0(SALU_CYCLE_1)
	s_xor_b32 s4, exec_lo, s5
	s_cbranch_execz .LBB40_74
; %bb.72:
	s_and_saveexec_b32 s5, s1
	s_delay_alu instid0(SALU_CYCLE_1)
	s_xor_b32 s1, exec_lo, s5
	s_cbranch_execnz .LBB40_92
.LBB40_73:
	s_or_b32 exec_lo, exec_lo, s1
	s_delay_alu instid0(SALU_CYCLE_1)
	s_and_b32 s3, s3, exec_lo
.LBB40_74:
	s_and_not1_saveexec_b32 s1, s4
	s_cbranch_execnz .LBB40_88
.LBB40_75:
	s_or_b32 exec_lo, exec_lo, s1
	s_delay_alu instid0(SALU_CYCLE_1)
	s_and_b32 s3, s3, exec_lo
.LBB40_76:
	s_and_not1_saveexec_b32 s1, s2
	s_cbranch_execnz .LBB40_84
.LBB40_77:
	s_or_b32 exec_lo, exec_lo, s1
	s_delay_alu instid0(SALU_CYCLE_1)
	s_and_b32 s2, s3, exec_lo
.LBB40_78:
	s_and_not1_saveexec_b32 s0, s0
	s_cbranch_execnz .LBB40_82
; %bb.79:
	s_or_b32 exec_lo, exec_lo, s0
	s_delay_alu instid0(SALU_CYCLE_1)
	s_and_b32 exec_lo, exec_lo, s2
.LBB40_80:
	; divergent unreachable
.LBB40_81:
	s_nop 0
	s_sendmsg sendmsg(MSG_DEALLOC_VGPRS)
	s_endpgm
.LBB40_82:
	s_cbranch_execnz .LBB40_86
; %bb.83:
	s_or_b32 s2, s2, exec_lo
	s_or_b32 exec_lo, exec_lo, s0
	s_delay_alu instid0(SALU_CYCLE_1)
	s_and_b32 exec_lo, exec_lo, s2
	s_cbranch_execnz .LBB40_80
	s_branch .LBB40_81
.LBB40_84:
	s_cbranch_execnz .LBB40_90
; %bb.85:
	s_or_b32 s3, s3, exec_lo
	s_branch .LBB40_77
.LBB40_86:
	s_trap 2
	s_sendmsg_rtn_b32 s0, sendmsg(MSG_RTN_GET_DOORBELL)
	s_mov_b32 ttmp2, m0
	s_waitcnt lgkmcnt(0)
	s_and_b32 s0, s0, 0x3ff
	s_delay_alu instid0(SALU_CYCLE_1) | instskip(NEXT) | instid1(SALU_CYCLE_1)
	s_bitset1_b32 s0, 10
	s_mov_b32 m0, s0
	s_sendmsg sendmsg(MSG_INTERRUPT)
	s_mov_b32 m0, ttmp2
.LBB40_87:                              ; =>This Inner Loop Header: Depth=1
	s_sethalt 5
	s_branch .LBB40_87
.LBB40_88:
	s_cbranch_execnz .LBB40_94
; %bb.89:
	s_or_b32 s3, s3, exec_lo
	s_branch .LBB40_75
.LBB40_90:
	s_trap 2
	s_sendmsg_rtn_b32 s0, sendmsg(MSG_RTN_GET_DOORBELL)
	s_mov_b32 ttmp2, m0
	s_waitcnt lgkmcnt(0)
	s_and_b32 s0, s0, 0x3ff
	s_delay_alu instid0(SALU_CYCLE_1) | instskip(NEXT) | instid1(SALU_CYCLE_1)
	s_bitset1_b32 s0, 10
	s_mov_b32 m0, s0
	s_sendmsg sendmsg(MSG_INTERRUPT)
	s_mov_b32 m0, ttmp2
.LBB40_91:                              ; =>This Inner Loop Header: Depth=1
	s_sethalt 5
	s_branch .LBB40_91
.LBB40_92:
	s_cbranch_execnz .LBB40_96
; %bb.93:
	s_mov_b32 s3, exec_lo
	s_branch .LBB40_73
.LBB40_94:
	s_trap 2
	s_sendmsg_rtn_b32 s0, sendmsg(MSG_RTN_GET_DOORBELL)
	s_mov_b32 ttmp2, m0
	s_waitcnt lgkmcnt(0)
	s_and_b32 s0, s0, 0x3ff
	s_delay_alu instid0(SALU_CYCLE_1) | instskip(NEXT) | instid1(SALU_CYCLE_1)
	s_bitset1_b32 s0, 10
	s_mov_b32 m0, s0
	s_sendmsg sendmsg(MSG_INTERRUPT)
	s_mov_b32 m0, ttmp2
.LBB40_95:                              ; =>This Inner Loop Header: Depth=1
	s_sethalt 5
	s_branch .LBB40_95
.LBB40_96:
	s_trap 2
	s_sendmsg_rtn_b32 s0, sendmsg(MSG_RTN_GET_DOORBELL)
	s_mov_b32 ttmp2, m0
	s_waitcnt lgkmcnt(0)
	s_and_b32 s0, s0, 0x3ff
	s_delay_alu instid0(SALU_CYCLE_1) | instskip(NEXT) | instid1(SALU_CYCLE_1)
	s_bitset1_b32 s0, 10
	s_mov_b32 m0, s0
	s_sendmsg sendmsg(MSG_INTERRUPT)
	s_mov_b32 m0, ttmp2
.LBB40_97:                              ; =>This Inner Loop Header: Depth=1
	s_sethalt 5
	s_branch .LBB40_97
	.section	.rodata,"a",@progbits
	.p2align	6, 0x0
	.amdhsa_kernel _ZN2at4cuda12_GLOBAL__N_121kernelPointwiseApply2IZNS_6native9templates4cuda28bernoulli_tensor_cuda_kernelIifEEvRKNS_10TensorBaseES9_NS_15PhiloxCudaStateEEUliRiSB_SB_SB_RKfSD_SD_SD_E_iSC_jLin1ELi2ELi4ELi512ELi2EEEvNS0_6detail10TensorInfoIT0_T2_EENSG_IT1_SI_EESI_T_
		.amdhsa_group_segment_fixed_size 0
		.amdhsa_private_segment_fixed_size 0
		.amdhsa_kernarg_size 728
		.amdhsa_user_sgpr_count 15
		.amdhsa_user_sgpr_dispatch_ptr 0
		.amdhsa_user_sgpr_queue_ptr 0
		.amdhsa_user_sgpr_kernarg_segment_ptr 1
		.amdhsa_user_sgpr_dispatch_id 0
		.amdhsa_user_sgpr_private_segment_size 0
		.amdhsa_wavefront_size32 1
		.amdhsa_uses_dynamic_stack 0
		.amdhsa_enable_private_segment 0
		.amdhsa_system_sgpr_workgroup_id_x 1
		.amdhsa_system_sgpr_workgroup_id_y 0
		.amdhsa_system_sgpr_workgroup_id_z 0
		.amdhsa_system_sgpr_workgroup_info 0
		.amdhsa_system_vgpr_workitem_id 0
		.amdhsa_next_free_vgpr 42
		.amdhsa_next_free_sgpr 40
		.amdhsa_reserve_vcc 1
		.amdhsa_float_round_mode_32 0
		.amdhsa_float_round_mode_16_64 0
		.amdhsa_float_denorm_mode_32 3
		.amdhsa_float_denorm_mode_16_64 3
		.amdhsa_dx10_clamp 1
		.amdhsa_ieee_mode 1
		.amdhsa_fp16_overflow 0
		.amdhsa_workgroup_processor_mode 1
		.amdhsa_memory_ordered 1
		.amdhsa_forward_progress 0
		.amdhsa_shared_vgpr_count 0
		.amdhsa_exception_fp_ieee_invalid_op 0
		.amdhsa_exception_fp_denorm_src 0
		.amdhsa_exception_fp_ieee_div_zero 0
		.amdhsa_exception_fp_ieee_overflow 0
		.amdhsa_exception_fp_ieee_underflow 0
		.amdhsa_exception_fp_ieee_inexact 0
		.amdhsa_exception_int_div_zero 0
	.end_amdhsa_kernel
	.section	.text._ZN2at4cuda12_GLOBAL__N_121kernelPointwiseApply2IZNS_6native9templates4cuda28bernoulli_tensor_cuda_kernelIifEEvRKNS_10TensorBaseES9_NS_15PhiloxCudaStateEEUliRiSB_SB_SB_RKfSD_SD_SD_E_iSC_jLin1ELi2ELi4ELi512ELi2EEEvNS0_6detail10TensorInfoIT0_T2_EENSG_IT1_SI_EESI_T_,"axG",@progbits,_ZN2at4cuda12_GLOBAL__N_121kernelPointwiseApply2IZNS_6native9templates4cuda28bernoulli_tensor_cuda_kernelIifEEvRKNS_10TensorBaseES9_NS_15PhiloxCudaStateEEUliRiSB_SB_SB_RKfSD_SD_SD_E_iSC_jLin1ELi2ELi4ELi512ELi2EEEvNS0_6detail10TensorInfoIT0_T2_EENSG_IT1_SI_EESI_T_,comdat
.Lfunc_end40:
	.size	_ZN2at4cuda12_GLOBAL__N_121kernelPointwiseApply2IZNS_6native9templates4cuda28bernoulli_tensor_cuda_kernelIifEEvRKNS_10TensorBaseES9_NS_15PhiloxCudaStateEEUliRiSB_SB_SB_RKfSD_SD_SD_E_iSC_jLin1ELi2ELi4ELi512ELi2EEEvNS0_6detail10TensorInfoIT0_T2_EENSG_IT1_SI_EESI_T_, .Lfunc_end40-_ZN2at4cuda12_GLOBAL__N_121kernelPointwiseApply2IZNS_6native9templates4cuda28bernoulli_tensor_cuda_kernelIifEEvRKNS_10TensorBaseES9_NS_15PhiloxCudaStateEEUliRiSB_SB_SB_RKfSD_SD_SD_E_iSC_jLin1ELi2ELi4ELi512ELi2EEEvNS0_6detail10TensorInfoIT0_T2_EENSG_IT1_SI_EESI_T_
                                        ; -- End function
	.section	.AMDGPU.csdata,"",@progbits
; Kernel info:
; codeLenInByte = 4828
; NumSgprs: 42
; NumVgprs: 42
; ScratchSize: 0
; MemoryBound: 0
; FloatMode: 240
; IeeeMode: 1
; LDSByteSize: 0 bytes/workgroup (compile time only)
; SGPRBlocks: 5
; VGPRBlocks: 5
; NumSGPRsForWavesPerEU: 42
; NumVGPRsForWavesPerEU: 42
; Occupancy: 16
; WaveLimiterHint : 1
; COMPUTE_PGM_RSRC2:SCRATCH_EN: 0
; COMPUTE_PGM_RSRC2:USER_SGPR: 15
; COMPUTE_PGM_RSRC2:TRAP_HANDLER: 0
; COMPUTE_PGM_RSRC2:TGID_X_EN: 1
; COMPUTE_PGM_RSRC2:TGID_Y_EN: 0
; COMPUTE_PGM_RSRC2:TGID_Z_EN: 0
; COMPUTE_PGM_RSRC2:TIDIG_COMP_CNT: 0
	.section	.text._ZN2at4cuda12_GLOBAL__N_121kernelPointwiseApply2IZNS_6native9templates4cuda28bernoulli_tensor_cuda_kernelIifEEvRKNS_10TensorBaseES9_NS_15PhiloxCudaStateEEUliRiSB_SB_SB_RKfSD_SD_SD_E_iSC_jLin1ELin1ELi4ELi512ELi2EEEvNS0_6detail10TensorInfoIT0_T2_EENSG_IT1_SI_EESI_T_,"axG",@progbits,_ZN2at4cuda12_GLOBAL__N_121kernelPointwiseApply2IZNS_6native9templates4cuda28bernoulli_tensor_cuda_kernelIifEEvRKNS_10TensorBaseES9_NS_15PhiloxCudaStateEEUliRiSB_SB_SB_RKfSD_SD_SD_E_iSC_jLin1ELin1ELi4ELi512ELi2EEEvNS0_6detail10TensorInfoIT0_T2_EENSG_IT1_SI_EESI_T_,comdat
	.globl	_ZN2at4cuda12_GLOBAL__N_121kernelPointwiseApply2IZNS_6native9templates4cuda28bernoulli_tensor_cuda_kernelIifEEvRKNS_10TensorBaseES9_NS_15PhiloxCudaStateEEUliRiSB_SB_SB_RKfSD_SD_SD_E_iSC_jLin1ELin1ELi4ELi512ELi2EEEvNS0_6detail10TensorInfoIT0_T2_EENSG_IT1_SI_EESI_T_ ; -- Begin function _ZN2at4cuda12_GLOBAL__N_121kernelPointwiseApply2IZNS_6native9templates4cuda28bernoulli_tensor_cuda_kernelIifEEvRKNS_10TensorBaseES9_NS_15PhiloxCudaStateEEUliRiSB_SB_SB_RKfSD_SD_SD_E_iSC_jLin1ELin1ELi4ELi512ELi2EEEvNS0_6detail10TensorInfoIT0_T2_EENSG_IT1_SI_EESI_T_
	.p2align	8
	.type	_ZN2at4cuda12_GLOBAL__N_121kernelPointwiseApply2IZNS_6native9templates4cuda28bernoulli_tensor_cuda_kernelIifEEvRKNS_10TensorBaseES9_NS_15PhiloxCudaStateEEUliRiSB_SB_SB_RKfSD_SD_SD_E_iSC_jLin1ELin1ELi4ELi512ELi2EEEvNS0_6detail10TensorInfoIT0_T2_EENSG_IT1_SI_EESI_T_,@function
_ZN2at4cuda12_GLOBAL__N_121kernelPointwiseApply2IZNS_6native9templates4cuda28bernoulli_tensor_cuda_kernelIifEEvRKNS_10TensorBaseES9_NS_15PhiloxCudaStateEEUliRiSB_SB_SB_RKfSD_SD_SD_E_iSC_jLin1ELin1ELi4ELi512ELi2EEEvNS0_6detail10TensorInfoIT0_T2_EENSG_IT1_SI_EESI_T_: ; @_ZN2at4cuda12_GLOBAL__N_121kernelPointwiseApply2IZNS_6native9templates4cuda28bernoulli_tensor_cuda_kernelIifEEvRKNS_10TensorBaseES9_NS_15PhiloxCudaStateEEUliRiSB_SB_SB_RKfSD_SD_SD_E_iSC_jLin1ELin1ELi4ELi512ELi2EEEvNS0_6detail10TensorInfoIT0_T2_EENSG_IT1_SI_EESI_T_
; %bb.0:
	s_clause 0x1
	s_load_b32 s4, s[0:1], 0x1e4
	s_load_b32 s20, s[0:1], 0x1b0
	s_add_u32 s2, s0, 0x1d8
	s_addc_u32 s3, s1, 0
	s_waitcnt lgkmcnt(0)
	s_and_b32 s12, s4, 0xffff
	s_mov_b32 s4, exec_lo
	v_mad_u64_u32 v[1:2], null, s15, s12, v[0:1]
	s_delay_alu instid0(VALU_DEP_1) | instskip(NEXT) | instid1(VALU_DEP_1)
	v_lshlrev_b32_e32 v27, 2, v1
	v_cmpx_gt_u32_e64 s20, v27
	s_cbranch_execz .LBB41_93
; %bb.1:
	s_clause 0x2
	s_load_b32 s16, s[0:1], 0xd0
	s_load_b32 s17, s[0:1], 0x1a8
	;; [unrolled: 1-line block ×4, first 2 shown]
	s_clause 0x1
	s_load_b64 s[2:3], s[0:1], 0x1c8
	s_load_b128 s[4:7], s[0:1], 0x1b8
	s_add_u32 s18, s0, 0xd8
	s_addc_u32 s19, s1, 0
	s_clause 0x3
	s_load_b32 s21, s[0:1], 0x144
	s_load_b64 s[8:9], s[0:1], 0xd8
	s_load_b32 s22, s[0:1], 0x6c
	s_load_b64 s[10:11], s[0:1], 0x0
	s_mov_b32 s13, 0
	v_mad_u64_u32 v[2:3], null, 0xcd9e8d57, v1, 0
	v_mov_b32_e32 v4, 0
                                        ; implicit-def: $sgpr29
                                        ; implicit-def: $sgpr31
                                        ; implicit-def: $sgpr30
                                        ; implicit-def: $sgpr33
                                        ; implicit-def: $sgpr35
                                        ; implicit-def: $sgpr34
                                        ; implicit-def: $sgpr36
	s_delay_alu instid0(VALU_DEP_2)
	v_mov_b32_e32 v28, v3
	s_waitcnt lgkmcnt(0)
	s_cmp_gt_i32 s16, 1
	s_cselect_b32 s23, -1, 0
	s_cmp_gt_i32 s17, 1
	s_mul_i32 s15, s15, s12
	s_cselect_b32 s24, -1, 0
	s_bitcmp1_b32 s14, 0
	s_cselect_b32 s25, -1, 0
	s_add_i32 s12, s16, -1
	s_lshl_b32 s26, s15, 2
	s_lshl_b64 s[14:15], s[12:13], 2
	s_add_i32 s27, s16, 1
	s_add_u32 s0, s14, s0
	s_addc_u32 s1, s15, s1
	s_add_u32 s14, s0, 8
	s_addc_u32 s15, s1, 0
	s_add_i32 s12, s17, -1
	s_add_i32 s28, s17, 1
	s_lshl_b64 s[0:1], s[12:13], 2
                                        ; implicit-def: $sgpr12
	s_delay_alu instid0(SALU_CYCLE_1)
	s_add_u32 s0, s0, s18
	s_addc_u32 s1, s1, s19
	s_add_u32 s16, s0, 8
	s_addc_u32 s17, s1, 0
	s_branch .LBB41_3
.LBB41_2:                               ;   in Loop: Header=BB41_3 Depth=1
	s_or_b32 exec_lo, exec_lo, s1
	s_delay_alu instid0(SALU_CYCLE_1) | instskip(NEXT) | instid1(SALU_CYCLE_1)
	s_and_b32 s0, exec_lo, s0
	s_or_b32 s13, s0, s13
	s_and_not1_b32 s0, s12, exec_lo
	s_and_b32 s1, s36, exec_lo
	s_and_not1_b32 s18, s30, exec_lo
	s_and_b32 s19, s34, exec_lo
	s_or_b32 s12, s0, s1
	s_or_b32 s30, s18, s19
	s_and_not1_b32 s0, s31, exec_lo
	s_and_b32 s1, s35, exec_lo
	s_and_not1_b32 s18, s29, exec_lo
	s_and_b32 s19, s33, exec_lo
	s_or_b32 s31, s0, s1
	s_or_b32 s29, s18, s19
	s_and_not1_b32 exec_lo, exec_lo, s13
	s_cbranch_execz .LBB41_81
.LBB41_3:                               ; =>This Loop Header: Depth=1
                                        ;     Child Loop BB41_6 Depth 2
                                        ;     Child Loop BB41_11 Depth 2
                                        ;     Child Loop BB41_16 Depth 2
                                        ;     Child Loop BB41_21 Depth 2
                                        ;     Child Loop BB41_26 Depth 2
                                        ;     Child Loop BB41_31 Depth 2
                                        ;     Child Loop BB41_36 Depth 2
                                        ;     Child Loop BB41_41 Depth 2
	v_sub_nc_u32_e32 v29, s20, v27
	v_mov_b32_e32 v5, 0
	s_delay_alu instid0(VALU_DEP_2) | instskip(NEXT) | instid1(VALU_DEP_1)
	v_cmp_lt_i32_e64 s0, 0, v29
	s_and_saveexec_b32 s1, s0
	s_cbranch_execz .LBB41_8
; %bb.4:                                ;   in Loop: Header=BB41_3 Depth=1
	v_dual_mov_b32 v0, 0 :: v_dual_mov_b32 v3, v27
	s_and_not1_b32 vcc_lo, exec_lo, s23
	s_cbranch_vccnz .LBB41_7
; %bb.5:                                ;   in Loop: Header=BB41_3 Depth=1
	v_dual_mov_b32 v0, 0 :: v_dual_mov_b32 v3, v27
	s_mov_b64 s[18:19], s[14:15]
	s_mov_b32 s37, s27
	s_set_inst_prefetch_distance 0x1
	.p2align	6
.LBB41_6:                               ;   Parent Loop BB41_3 Depth=1
                                        ; =>  This Inner Loop Header: Depth=2
	s_clause 0x1
	s_load_b32 s38, s[18:19], 0x0
	s_load_b32 s39, s[18:19], 0x64
	v_mov_b32_e32 v7, v3
	s_add_i32 s37, s37, -1
	s_waitcnt lgkmcnt(0)
	v_cvt_f32_u32_e32 v5, s38
	s_sub_i32 s40, 0, s38
	s_add_u32 s18, s18, -4
	s_addc_u32 s19, s19, -1
	s_cmp_gt_u32 s37, 2
	v_rcp_iflag_f32_e32 v5, v5
	s_waitcnt_depctr 0xfff
	v_mul_f32_e32 v5, 0x4f7ffffe, v5
	s_delay_alu instid0(VALU_DEP_1) | instskip(NEXT) | instid1(VALU_DEP_1)
	v_cvt_u32_f32_e32 v5, v5
	v_mul_lo_u32 v6, s40, v5
	s_delay_alu instid0(VALU_DEP_1) | instskip(NEXT) | instid1(VALU_DEP_1)
	v_mul_hi_u32 v6, v5, v6
	v_add_nc_u32_e32 v3, v5, v6
	s_delay_alu instid0(VALU_DEP_1) | instskip(NEXT) | instid1(VALU_DEP_1)
	v_mul_hi_u32 v3, v7, v3
	v_add_nc_u32_e32 v6, 1, v3
	v_mul_lo_u32 v5, v3, s38
	s_delay_alu instid0(VALU_DEP_1) | instskip(NEXT) | instid1(VALU_DEP_1)
	v_sub_nc_u32_e32 v5, v7, v5
	v_subrev_nc_u32_e32 v8, s38, v5
	v_cmp_le_u32_e32 vcc_lo, s38, v5
	v_cndmask_b32_e32 v3, v3, v6, vcc_lo
	s_delay_alu instid0(VALU_DEP_1) | instskip(NEXT) | instid1(VALU_DEP_1)
	v_dual_cndmask_b32 v5, v5, v8 :: v_dual_add_nc_u32 v6, 1, v3
	v_cmp_le_u32_e32 vcc_lo, s38, v5
	s_delay_alu instid0(VALU_DEP_2) | instskip(NEXT) | instid1(VALU_DEP_1)
	v_cndmask_b32_e32 v3, v3, v6, vcc_lo
	v_mul_lo_u32 v5, v3, s38
	s_delay_alu instid0(VALU_DEP_1) | instskip(NEXT) | instid1(VALU_DEP_1)
	v_sub_nc_u32_e32 v7, v7, v5
	v_mad_u64_u32 v[5:6], null, s39, v7, v[0:1]
	s_delay_alu instid0(VALU_DEP_1)
	v_mov_b32_e32 v0, v5
	s_cbranch_scc1 .LBB41_6
.LBB41_7:                               ;   in Loop: Header=BB41_3 Depth=1
	s_set_inst_prefetch_distance 0x2
	s_delay_alu instid0(VALU_DEP_1)
	v_mad_u64_u32 v[5:6], null, s22, v3, v[0:1]
.LBB41_8:                               ;   in Loop: Header=BB41_3 Depth=1
	s_or_b32 exec_lo, exec_lo, s1
	v_mov_b32_e32 v3, 0
	s_and_saveexec_b32 s18, s0
	s_cbranch_execz .LBB41_13
; %bb.9:                                ;   in Loop: Header=BB41_3 Depth=1
	v_dual_mov_b32 v0, 0 :: v_dual_mov_b32 v3, v27
	s_and_not1_b32 vcc_lo, exec_lo, s24
	s_cbranch_vccnz .LBB41_12
; %bb.10:                               ;   in Loop: Header=BB41_3 Depth=1
	v_dual_mov_b32 v0, 0 :: v_dual_mov_b32 v3, v27
	s_mov_b64 s[0:1], s[16:17]
	s_mov_b32 s19, s28
	s_set_inst_prefetch_distance 0x1
	.p2align	6
.LBB41_11:                              ;   Parent Loop BB41_3 Depth=1
                                        ; =>  This Inner Loop Header: Depth=2
	s_clause 0x1
	s_load_b32 s37, s[0:1], 0x0
	s_load_b32 s38, s[0:1], 0x64
	s_add_i32 s19, s19, -1
	s_waitcnt lgkmcnt(0)
	v_cvt_f32_u32_e32 v6, s37
	s_sub_i32 s39, 0, s37
	s_add_u32 s0, s0, -4
	s_addc_u32 s1, s1, -1
	s_cmp_gt_u32 s19, 2
	v_rcp_iflag_f32_e32 v6, v6
	s_waitcnt_depctr 0xfff
	v_mul_f32_e32 v6, 0x4f7ffffe, v6
	s_delay_alu instid0(VALU_DEP_1) | instskip(NEXT) | instid1(VALU_DEP_1)
	v_cvt_u32_f32_e32 v6, v6
	v_mul_lo_u32 v7, s39, v6
	s_delay_alu instid0(VALU_DEP_1) | instskip(NEXT) | instid1(VALU_DEP_1)
	v_mul_hi_u32 v7, v6, v7
	v_dual_mov_b32 v8, v3 :: v_dual_add_nc_u32 v3, v6, v7
	s_delay_alu instid0(VALU_DEP_1) | instskip(NEXT) | instid1(VALU_DEP_1)
	v_mul_hi_u32 v3, v8, v3
	v_mul_lo_u32 v6, v3, s37
	v_add_nc_u32_e32 v7, 1, v3
	s_delay_alu instid0(VALU_DEP_2) | instskip(NEXT) | instid1(VALU_DEP_1)
	v_sub_nc_u32_e32 v6, v8, v6
	v_subrev_nc_u32_e32 v9, s37, v6
	v_cmp_le_u32_e32 vcc_lo, s37, v6
	s_delay_alu instid0(VALU_DEP_2) | instskip(NEXT) | instid1(VALU_DEP_1)
	v_dual_cndmask_b32 v3, v3, v7 :: v_dual_cndmask_b32 v6, v6, v9
	v_add_nc_u32_e32 v7, 1, v3
	s_delay_alu instid0(VALU_DEP_2) | instskip(NEXT) | instid1(VALU_DEP_2)
	v_cmp_le_u32_e32 vcc_lo, s37, v6
	v_cndmask_b32_e32 v3, v3, v7, vcc_lo
	s_delay_alu instid0(VALU_DEP_1) | instskip(NEXT) | instid1(VALU_DEP_1)
	v_mul_lo_u32 v6, v3, s37
	v_sub_nc_u32_e32 v8, v8, v6
	s_delay_alu instid0(VALU_DEP_1) | instskip(NEXT) | instid1(VALU_DEP_1)
	v_mad_u64_u32 v[6:7], null, s38, v8, v[0:1]
	v_mov_b32_e32 v0, v6
	s_cbranch_scc1 .LBB41_11
.LBB41_12:                              ;   in Loop: Header=BB41_3 Depth=1
	s_set_inst_prefetch_distance 0x2
	s_delay_alu instid0(VALU_DEP_1) | instskip(NEXT) | instid1(VALU_DEP_1)
	v_mad_u64_u32 v[6:7], null, s21, v3, v[0:1]
	v_mov_b32_e32 v3, v6
.LBB41_13:                              ;   in Loop: Header=BB41_3 Depth=1
	s_or_b32 exec_lo, exec_lo, s18
	v_or_b32_e32 v8, 1, v27
	v_cmp_lt_i32_e64 s0, 1, v29
	v_mov_b32_e32 v6, 0
	s_delay_alu instid0(VALU_DEP_2)
	s_and_saveexec_b32 s1, s0
	s_cbranch_execz .LBB41_18
; %bb.14:                               ;   in Loop: Header=BB41_3 Depth=1
	v_dual_mov_b32 v0, 0 :: v_dual_mov_b32 v9, v8
	s_and_not1_b32 vcc_lo, exec_lo, s23
	s_cbranch_vccnz .LBB41_17
; %bb.15:                               ;   in Loop: Header=BB41_3 Depth=1
	v_dual_mov_b32 v0, 0 :: v_dual_mov_b32 v9, v8
	s_mov_b64 s[18:19], s[14:15]
	s_mov_b32 s37, s27
	s_set_inst_prefetch_distance 0x1
	.p2align	6
.LBB41_16:                              ;   Parent Loop BB41_3 Depth=1
                                        ; =>  This Inner Loop Header: Depth=2
	s_clause 0x1
	s_load_b32 s38, s[18:19], 0x0
	s_load_b32 s39, s[18:19], 0x64
	v_mov_b32_e32 v10, v9
	s_add_i32 s37, s37, -1
	s_waitcnt lgkmcnt(0)
	v_cvt_f32_u32_e32 v6, s38
	s_sub_i32 s40, 0, s38
	s_add_u32 s18, s18, -4
	s_addc_u32 s19, s19, -1
	s_cmp_gt_u32 s37, 2
	v_rcp_iflag_f32_e32 v6, v6
	s_waitcnt_depctr 0xfff
	v_mul_f32_e32 v6, 0x4f7ffffe, v6
	s_delay_alu instid0(VALU_DEP_1) | instskip(NEXT) | instid1(VALU_DEP_1)
	v_cvt_u32_f32_e32 v6, v6
	v_mul_lo_u32 v7, s40, v6
	s_delay_alu instid0(VALU_DEP_1) | instskip(NEXT) | instid1(VALU_DEP_1)
	v_mul_hi_u32 v7, v6, v7
	v_add_nc_u32_e32 v6, v6, v7
	s_delay_alu instid0(VALU_DEP_1) | instskip(NEXT) | instid1(VALU_DEP_1)
	v_mul_hi_u32 v6, v10, v6
	v_mul_lo_u32 v7, v6, s38
	v_add_nc_u32_e32 v9, 1, v6
	s_delay_alu instid0(VALU_DEP_2) | instskip(NEXT) | instid1(VALU_DEP_1)
	v_sub_nc_u32_e32 v7, v10, v7
	v_subrev_nc_u32_e32 v11, s38, v7
	v_cmp_le_u32_e32 vcc_lo, s38, v7
	s_delay_alu instid0(VALU_DEP_2) | instskip(NEXT) | instid1(VALU_DEP_1)
	v_dual_cndmask_b32 v7, v7, v11 :: v_dual_cndmask_b32 v6, v6, v9
	v_cmp_le_u32_e32 vcc_lo, s38, v7
	s_delay_alu instid0(VALU_DEP_2) | instskip(NEXT) | instid1(VALU_DEP_1)
	v_add_nc_u32_e32 v9, 1, v6
	v_cndmask_b32_e32 v9, v6, v9, vcc_lo
	s_delay_alu instid0(VALU_DEP_1) | instskip(NEXT) | instid1(VALU_DEP_1)
	v_mul_lo_u32 v6, v9, s38
	v_sub_nc_u32_e32 v10, v10, v6
	s_delay_alu instid0(VALU_DEP_1) | instskip(NEXT) | instid1(VALU_DEP_1)
	v_mad_u64_u32 v[6:7], null, s39, v10, v[0:1]
	v_mov_b32_e32 v0, v6
	s_cbranch_scc1 .LBB41_16
.LBB41_17:                              ;   in Loop: Header=BB41_3 Depth=1
	s_set_inst_prefetch_distance 0x2
	s_delay_alu instid0(VALU_DEP_1)
	v_mad_u64_u32 v[6:7], null, s22, v9, v[0:1]
.LBB41_18:                              ;   in Loop: Header=BB41_3 Depth=1
	s_or_b32 exec_lo, exec_lo, s1
	v_mov_b32_e32 v10, 0
	s_and_saveexec_b32 s18, s0
	s_cbranch_execz .LBB41_23
; %bb.19:                               ;   in Loop: Header=BB41_3 Depth=1
	v_mov_b32_e32 v0, 0
	s_and_not1_b32 vcc_lo, exec_lo, s24
	s_cbranch_vccnz .LBB41_22
; %bb.20:                               ;   in Loop: Header=BB41_3 Depth=1
	v_mov_b32_e32 v0, 0
	s_mov_b64 s[0:1], s[16:17]
	s_mov_b32 s19, s28
	s_set_inst_prefetch_distance 0x1
	.p2align	6
.LBB41_21:                              ;   Parent Loop BB41_3 Depth=1
                                        ; =>  This Inner Loop Header: Depth=2
	s_clause 0x1
	s_load_b32 s37, s[0:1], 0x0
	s_load_b32 s38, s[0:1], 0x64
	s_add_i32 s19, s19, -1
	v_mov_b32_e32 v10, v8
	s_waitcnt lgkmcnt(0)
	v_cvt_f32_u32_e32 v7, s37
	s_sub_i32 s39, 0, s37
	s_add_u32 s0, s0, -4
	s_addc_u32 s1, s1, -1
	s_cmp_gt_u32 s19, 2
	v_rcp_iflag_f32_e32 v7, v7
	s_waitcnt_depctr 0xfff
	v_mul_f32_e32 v7, 0x4f7ffffe, v7
	s_delay_alu instid0(VALU_DEP_1) | instskip(NEXT) | instid1(VALU_DEP_1)
	v_cvt_u32_f32_e32 v7, v7
	v_mul_lo_u32 v9, s39, v7
	s_delay_alu instid0(VALU_DEP_1) | instskip(NEXT) | instid1(VALU_DEP_1)
	v_mul_hi_u32 v9, v7, v9
	v_add_nc_u32_e32 v7, v7, v9
	s_delay_alu instid0(VALU_DEP_1) | instskip(NEXT) | instid1(VALU_DEP_1)
	v_mul_hi_u32 v7, v10, v7
	v_mul_lo_u32 v8, v7, s37
	v_add_nc_u32_e32 v9, 1, v7
	s_delay_alu instid0(VALU_DEP_2) | instskip(NEXT) | instid1(VALU_DEP_1)
	v_sub_nc_u32_e32 v8, v10, v8
	v_subrev_nc_u32_e32 v11, s37, v8
	v_cmp_le_u32_e32 vcc_lo, s37, v8
	s_delay_alu instid0(VALU_DEP_2) | instskip(NEXT) | instid1(VALU_DEP_1)
	v_dual_cndmask_b32 v8, v8, v11 :: v_dual_cndmask_b32 v7, v7, v9
	v_cmp_le_u32_e32 vcc_lo, s37, v8
	s_delay_alu instid0(VALU_DEP_2) | instskip(NEXT) | instid1(VALU_DEP_1)
	v_add_nc_u32_e32 v9, 1, v7
	v_cndmask_b32_e32 v8, v7, v9, vcc_lo
	s_delay_alu instid0(VALU_DEP_1) | instskip(NEXT) | instid1(VALU_DEP_1)
	v_mul_lo_u32 v7, v8, s37
	v_sub_nc_u32_e32 v7, v10, v7
	s_delay_alu instid0(VALU_DEP_1) | instskip(NEXT) | instid1(VALU_DEP_1)
	v_mad_u64_u32 v[9:10], null, s38, v7, v[0:1]
	v_mov_b32_e32 v0, v9
	s_cbranch_scc1 .LBB41_21
.LBB41_22:                              ;   in Loop: Header=BB41_3 Depth=1
	s_set_inst_prefetch_distance 0x2
	s_delay_alu instid0(VALU_DEP_1)
	v_mad_u64_u32 v[10:11], null, s21, v8, v[0:1]
.LBB41_23:                              ;   in Loop: Header=BB41_3 Depth=1
	s_or_b32 exec_lo, exec_lo, s18
	v_or_b32_e32 v9, 2, v27
	v_cmp_lt_i32_e64 s0, 2, v29
	v_mov_b32_e32 v7, 0
	s_delay_alu instid0(VALU_DEP_2)
	s_and_saveexec_b32 s1, s0
	s_cbranch_execz .LBB41_28
; %bb.24:                               ;   in Loop: Header=BB41_3 Depth=1
	v_dual_mov_b32 v0, 0 :: v_dual_mov_b32 v11, v9
	s_and_not1_b32 vcc_lo, exec_lo, s23
	s_cbranch_vccnz .LBB41_27
; %bb.25:                               ;   in Loop: Header=BB41_3 Depth=1
	v_dual_mov_b32 v0, 0 :: v_dual_mov_b32 v11, v9
	s_mov_b64 s[18:19], s[14:15]
	s_mov_b32 s37, s27
	s_set_inst_prefetch_distance 0x1
	.p2align	6
.LBB41_26:                              ;   Parent Loop BB41_3 Depth=1
                                        ; =>  This Inner Loop Header: Depth=2
	s_clause 0x1
	s_load_b32 s38, s[18:19], 0x0
	s_load_b32 s39, s[18:19], 0x64
	s_add_i32 s37, s37, -1
	v_mov_b32_e32 v12, v11
	s_waitcnt lgkmcnt(0)
	v_cvt_f32_u32_e32 v7, s38
	s_sub_i32 s40, 0, s38
	s_add_u32 s18, s18, -4
	s_addc_u32 s19, s19, -1
	s_cmp_gt_u32 s37, 2
	v_rcp_iflag_f32_e32 v7, v7
	s_waitcnt_depctr 0xfff
	v_mul_f32_e32 v7, 0x4f7ffffe, v7
	s_delay_alu instid0(VALU_DEP_1) | instskip(NEXT) | instid1(VALU_DEP_1)
	v_cvt_u32_f32_e32 v7, v7
	v_mul_lo_u32 v8, s40, v7
	s_delay_alu instid0(VALU_DEP_1) | instskip(NEXT) | instid1(VALU_DEP_1)
	v_mul_hi_u32 v8, v7, v8
	v_add_nc_u32_e32 v7, v7, v8
	s_delay_alu instid0(VALU_DEP_1) | instskip(NEXT) | instid1(VALU_DEP_1)
	v_mul_hi_u32 v7, v12, v7
	v_mul_lo_u32 v8, v7, s38
	v_add_nc_u32_e32 v11, 1, v7
	s_delay_alu instid0(VALU_DEP_2) | instskip(NEXT) | instid1(VALU_DEP_1)
	v_sub_nc_u32_e32 v8, v12, v8
	v_subrev_nc_u32_e32 v13, s38, v8
	v_cmp_le_u32_e32 vcc_lo, s38, v8
	s_delay_alu instid0(VALU_DEP_2) | instskip(NEXT) | instid1(VALU_DEP_1)
	v_dual_cndmask_b32 v7, v7, v11 :: v_dual_cndmask_b32 v8, v8, v13
	v_add_nc_u32_e32 v11, 1, v7
	s_delay_alu instid0(VALU_DEP_2) | instskip(NEXT) | instid1(VALU_DEP_2)
	v_cmp_le_u32_e32 vcc_lo, s38, v8
	v_cndmask_b32_e32 v11, v7, v11, vcc_lo
	s_delay_alu instid0(VALU_DEP_1) | instskip(NEXT) | instid1(VALU_DEP_1)
	v_mul_lo_u32 v7, v11, s38
	v_sub_nc_u32_e32 v12, v12, v7
	s_delay_alu instid0(VALU_DEP_1) | instskip(NEXT) | instid1(VALU_DEP_1)
	v_mad_u64_u32 v[7:8], null, s39, v12, v[0:1]
	v_mov_b32_e32 v0, v7
	s_cbranch_scc1 .LBB41_26
.LBB41_27:                              ;   in Loop: Header=BB41_3 Depth=1
	s_set_inst_prefetch_distance 0x2
	s_delay_alu instid0(VALU_DEP_1)
	v_mad_u64_u32 v[7:8], null, s22, v11, v[0:1]
.LBB41_28:                              ;   in Loop: Header=BB41_3 Depth=1
	s_or_b32 exec_lo, exec_lo, s1
	v_mov_b32_e32 v12, 0
	v_mov_b32_e32 v13, 0
	s_and_saveexec_b32 s18, s0
	s_cbranch_execz .LBB41_33
; %bb.29:                               ;   in Loop: Header=BB41_3 Depth=1
	v_mov_b32_e32 v0, 0
	s_and_not1_b32 vcc_lo, exec_lo, s24
	s_cbranch_vccnz .LBB41_32
; %bb.30:                               ;   in Loop: Header=BB41_3 Depth=1
	v_mov_b32_e32 v0, 0
	s_mov_b64 s[0:1], s[16:17]
	s_mov_b32 s19, s28
	s_set_inst_prefetch_distance 0x1
	.p2align	6
.LBB41_31:                              ;   Parent Loop BB41_3 Depth=1
                                        ; =>  This Inner Loop Header: Depth=2
	s_clause 0x1
	s_load_b32 s37, s[0:1], 0x0
	s_load_b32 s38, s[0:1], 0x64
	v_mov_b32_e32 v12, v9
	s_add_i32 s19, s19, -1
	s_waitcnt lgkmcnt(0)
	v_cvt_f32_u32_e32 v8, s37
	s_sub_i32 s39, 0, s37
	s_add_u32 s0, s0, -4
	s_addc_u32 s1, s1, -1
	s_cmp_gt_u32 s19, 2
	v_rcp_iflag_f32_e32 v8, v8
	s_waitcnt_depctr 0xfff
	v_mul_f32_e32 v8, 0x4f7ffffe, v8
	s_delay_alu instid0(VALU_DEP_1) | instskip(NEXT) | instid1(VALU_DEP_1)
	v_cvt_u32_f32_e32 v8, v8
	v_mul_lo_u32 v11, s39, v8
	s_delay_alu instid0(VALU_DEP_1) | instskip(NEXT) | instid1(VALU_DEP_1)
	v_mul_hi_u32 v11, v8, v11
	v_add_nc_u32_e32 v8, v8, v11
	s_delay_alu instid0(VALU_DEP_1) | instskip(NEXT) | instid1(VALU_DEP_1)
	v_mul_hi_u32 v8, v12, v8
	v_mul_lo_u32 v9, v8, s37
	v_add_nc_u32_e32 v11, 1, v8
	s_delay_alu instid0(VALU_DEP_2) | instskip(NEXT) | instid1(VALU_DEP_1)
	v_sub_nc_u32_e32 v9, v12, v9
	v_subrev_nc_u32_e32 v13, s37, v9
	v_cmp_le_u32_e32 vcc_lo, s37, v9
	s_delay_alu instid0(VALU_DEP_2) | instskip(NEXT) | instid1(VALU_DEP_1)
	v_dual_cndmask_b32 v9, v9, v13 :: v_dual_cndmask_b32 v8, v8, v11
	v_cmp_le_u32_e32 vcc_lo, s37, v9
	s_delay_alu instid0(VALU_DEP_2) | instskip(NEXT) | instid1(VALU_DEP_1)
	v_add_nc_u32_e32 v11, 1, v8
	v_cndmask_b32_e32 v9, v8, v11, vcc_lo
	s_delay_alu instid0(VALU_DEP_1) | instskip(NEXT) | instid1(VALU_DEP_1)
	v_mul_lo_u32 v8, v9, s37
	v_sub_nc_u32_e32 v8, v12, v8
	s_delay_alu instid0(VALU_DEP_1) | instskip(NEXT) | instid1(VALU_DEP_1)
	v_mad_u64_u32 v[11:12], null, s38, v8, v[0:1]
	v_mov_b32_e32 v0, v11
	s_cbranch_scc1 .LBB41_31
.LBB41_32:                              ;   in Loop: Header=BB41_3 Depth=1
	s_set_inst_prefetch_distance 0x2
	s_delay_alu instid0(VALU_DEP_1)
	v_mad_u64_u32 v[12:13], null, s21, v9, v[0:1]
	v_mov_b32_e32 v13, v4
.LBB41_33:                              ;   in Loop: Header=BB41_3 Depth=1
	s_or_b32 exec_lo, exec_lo, s18
	v_mov_b32_e32 v8, 0
	v_or_b32_e32 v11, 3, v27
	v_mov_b32_e32 v9, 0
	v_cmp_lt_i32_e64 s0, 3, v29
	s_delay_alu instid0(VALU_DEP_1)
	s_and_saveexec_b32 s1, s0
	s_cbranch_execz .LBB41_38
; %bb.34:                               ;   in Loop: Header=BB41_3 Depth=1
	v_mov_b32_e32 v0, 0
	v_mov_b32_e32 v14, v11
	s_and_not1_b32 vcc_lo, exec_lo, s23
	s_cbranch_vccnz .LBB41_37
; %bb.35:                               ;   in Loop: Header=BB41_3 Depth=1
	v_mov_b32_e32 v0, 0
	v_mov_b32_e32 v14, v11
	s_mov_b64 s[18:19], s[14:15]
	s_mov_b32 s37, s27
	s_set_inst_prefetch_distance 0x1
	.p2align	6
.LBB41_36:                              ;   Parent Loop BB41_3 Depth=1
                                        ; =>  This Inner Loop Header: Depth=2
	s_clause 0x1
	s_load_b32 s38, s[18:19], 0x0
	s_load_b32 s39, s[18:19], 0x64
	s_add_i32 s37, s37, -1
	v_mov_b32_e32 v15, v14
	s_waitcnt lgkmcnt(0)
	v_cvt_f32_u32_e32 v8, s38
	s_sub_i32 s40, 0, s38
	s_add_u32 s18, s18, -4
	s_addc_u32 s19, s19, -1
	s_cmp_gt_u32 s37, 2
	v_rcp_iflag_f32_e32 v8, v8
	s_waitcnt_depctr 0xfff
	v_mul_f32_e32 v8, 0x4f7ffffe, v8
	s_delay_alu instid0(VALU_DEP_1) | instskip(NEXT) | instid1(VALU_DEP_1)
	v_cvt_u32_f32_e32 v8, v8
	v_mul_lo_u32 v9, s40, v8
	s_delay_alu instid0(VALU_DEP_1) | instskip(NEXT) | instid1(VALU_DEP_1)
	v_mul_hi_u32 v9, v8, v9
	v_add_nc_u32_e32 v8, v8, v9
	s_delay_alu instid0(VALU_DEP_1) | instskip(NEXT) | instid1(VALU_DEP_1)
	v_mul_hi_u32 v8, v15, v8
	v_mul_lo_u32 v9, v8, s38
	v_add_nc_u32_e32 v14, 1, v8
	s_delay_alu instid0(VALU_DEP_2) | instskip(NEXT) | instid1(VALU_DEP_1)
	v_sub_nc_u32_e32 v9, v15, v9
	v_subrev_nc_u32_e32 v16, s38, v9
	v_cmp_le_u32_e32 vcc_lo, s38, v9
	s_delay_alu instid0(VALU_DEP_2) | instskip(NEXT) | instid1(VALU_DEP_1)
	v_dual_cndmask_b32 v9, v9, v16 :: v_dual_cndmask_b32 v8, v8, v14
	v_cmp_le_u32_e32 vcc_lo, s38, v9
	s_delay_alu instid0(VALU_DEP_2) | instskip(NEXT) | instid1(VALU_DEP_1)
	v_add_nc_u32_e32 v14, 1, v8
	v_cndmask_b32_e32 v14, v8, v14, vcc_lo
	s_delay_alu instid0(VALU_DEP_1) | instskip(NEXT) | instid1(VALU_DEP_1)
	v_mul_lo_u32 v8, v14, s38
	v_sub_nc_u32_e32 v15, v15, v8
	s_delay_alu instid0(VALU_DEP_1) | instskip(NEXT) | instid1(VALU_DEP_1)
	v_mad_u64_u32 v[8:9], null, s39, v15, v[0:1]
	v_mov_b32_e32 v0, v8
	s_cbranch_scc1 .LBB41_36
.LBB41_37:                              ;   in Loop: Header=BB41_3 Depth=1
	s_set_inst_prefetch_distance 0x2
	s_delay_alu instid0(VALU_DEP_1)
	v_mad_u64_u32 v[8:9], null, s22, v14, v[0:1]
	v_mov_b32_e32 v9, v4
.LBB41_38:                              ;   in Loop: Header=BB41_3 Depth=1
	s_or_b32 exec_lo, exec_lo, s1
	v_mov_b32_e32 v14, 0
	v_mov_b32_e32 v15, 0
	s_and_saveexec_b32 s18, s0
	s_cbranch_execz .LBB41_43
; %bb.39:                               ;   in Loop: Header=BB41_3 Depth=1
	v_mov_b32_e32 v0, 0
	s_and_not1_b32 vcc_lo, exec_lo, s24
	s_cbranch_vccnz .LBB41_42
; %bb.40:                               ;   in Loop: Header=BB41_3 Depth=1
	v_mov_b32_e32 v0, 0
	s_mov_b64 s[0:1], s[16:17]
	s_mov_b32 s19, s28
	s_set_inst_prefetch_distance 0x1
	.p2align	6
.LBB41_41:                              ;   Parent Loop BB41_3 Depth=1
                                        ; =>  This Inner Loop Header: Depth=2
	s_clause 0x1
	s_load_b32 s37, s[0:1], 0x0
	s_load_b32 s38, s[0:1], 0x64
	s_add_i32 s19, s19, -1
	s_waitcnt lgkmcnt(0)
	v_cvt_f32_u32_e32 v14, s37
	s_sub_i32 s39, 0, s37
	s_add_u32 s0, s0, -4
	s_addc_u32 s1, s1, -1
	s_cmp_gt_u32 s19, 2
	v_rcp_iflag_f32_e32 v14, v14
	s_waitcnt_depctr 0xfff
	v_mul_f32_e32 v14, 0x4f7ffffe, v14
	s_delay_alu instid0(VALU_DEP_1) | instskip(NEXT) | instid1(VALU_DEP_1)
	v_cvt_u32_f32_e32 v14, v14
	v_mul_lo_u32 v15, s39, v14
	s_delay_alu instid0(VALU_DEP_1) | instskip(NEXT) | instid1(VALU_DEP_1)
	v_mul_hi_u32 v15, v14, v15
	v_dual_mov_b32 v16, v11 :: v_dual_add_nc_u32 v11, v14, v15
	s_delay_alu instid0(VALU_DEP_1) | instskip(NEXT) | instid1(VALU_DEP_1)
	v_mul_hi_u32 v11, v16, v11
	v_mul_lo_u32 v14, v11, s37
	v_add_nc_u32_e32 v15, 1, v11
	s_delay_alu instid0(VALU_DEP_2) | instskip(NEXT) | instid1(VALU_DEP_1)
	v_sub_nc_u32_e32 v14, v16, v14
	v_subrev_nc_u32_e32 v17, s37, v14
	v_cmp_le_u32_e32 vcc_lo, s37, v14
	s_delay_alu instid0(VALU_DEP_2) | instskip(NEXT) | instid1(VALU_DEP_1)
	v_dual_cndmask_b32 v11, v11, v15 :: v_dual_cndmask_b32 v14, v14, v17
	v_add_nc_u32_e32 v15, 1, v11
	s_delay_alu instid0(VALU_DEP_2) | instskip(NEXT) | instid1(VALU_DEP_2)
	v_cmp_le_u32_e32 vcc_lo, s37, v14
	v_cndmask_b32_e32 v11, v11, v15, vcc_lo
	s_delay_alu instid0(VALU_DEP_1) | instskip(NEXT) | instid1(VALU_DEP_1)
	v_mul_lo_u32 v14, v11, s37
	v_sub_nc_u32_e32 v16, v16, v14
	s_delay_alu instid0(VALU_DEP_1) | instskip(NEXT) | instid1(VALU_DEP_1)
	v_mad_u64_u32 v[14:15], null, s38, v16, v[0:1]
	v_mov_b32_e32 v0, v14
	s_cbranch_scc1 .LBB41_41
.LBB41_42:                              ;   in Loop: Header=BB41_3 Depth=1
	s_set_inst_prefetch_distance 0x2
	s_delay_alu instid0(VALU_DEP_1)
	v_mad_u64_u32 v[14:15], null, s21, v11, v[0:1]
	v_mov_b32_e32 v15, v4
.LBB41_43:                              ;   in Loop: Header=BB41_3 Depth=1
	s_or_b32 exec_lo, exec_lo, s18
	v_mov_b32_e32 v11, v4
	v_lshlrev_b64 v[16:17], 2, v[3:4]
	v_lshlrev_b64 v[12:13], 2, v[12:13]
	;; [unrolled: 1-line block ×3, first 2 shown]
	s_delay_alu instid0(VALU_DEP_4) | instskip(NEXT) | instid1(VALU_DEP_4)
	v_lshlrev_b64 v[10:11], 2, v[10:11]
	v_add_co_u32 v16, vcc_lo, s8, v16
	v_add_co_ci_u32_e32 v17, vcc_lo, s9, v17, vcc_lo
	s_delay_alu instid0(VALU_DEP_3) | instskip(NEXT) | instid1(VALU_DEP_4)
	v_add_co_u32 v10, vcc_lo, s8, v10
	v_add_co_ci_u32_e32 v11, vcc_lo, s9, v11, vcc_lo
	v_add_co_u32 v12, vcc_lo, s8, v12
	v_add_co_ci_u32_e32 v13, vcc_lo, s9, v13, vcc_lo
	;; [unrolled: 2-line block ×3, first 2 shown]
	s_clause 0x3
	global_load_b32 v0, v[16:17], off
	global_load_b32 v3, v[10:11], off
	;; [unrolled: 1-line block ×4, first 2 shown]
	v_mov_b32_e32 v15, s7
	v_dual_mov_b32 v17, s5 :: v_dual_mov_b32 v16, s4
	v_mov_b32_e32 v14, s6
	s_and_not1_b32 vcc_lo, exec_lo, s25
	s_cbranch_vccnz .LBB41_45
; %bb.44:                               ;   in Loop: Header=BB41_3 Depth=1
	v_dual_mov_b32 v11, s7 :: v_dual_mov_b32 v10, s6
	v_dual_mov_b32 v13, s5 :: v_dual_mov_b32 v12, s4
	flat_load_b64 v[10:11], v[10:11]
	flat_load_b64 v[16:17], v[12:13]
	s_waitcnt vmcnt(1) lgkmcnt(1)
	v_add_co_u32 v14, vcc_lo, v10, s2
	v_add_co_ci_u32_e32 v15, vcc_lo, s3, v11, vcc_lo
.LBB41_45:                              ;   in Loop: Header=BB41_3 Depth=1
	s_delay_alu instid0(VALU_DEP_1)
	v_alignbit_b32 v13, v15, v14, 2
	v_lshrrev_b32_e32 v12, 2, v15
	s_waitcnt vmcnt(0) lgkmcnt(0)
	v_add_nc_u32_e32 v32, 0x9e3779b9, v16
	v_add_nc_u32_e32 v34, 0x76cf5d0a, v17
	;; [unrolled: 1-line block ×3, first 2 shown]
	v_add_co_u32 v15, vcc_lo, v13, 1
	s_delay_alu instid0(VALU_DEP_1) | instskip(SKIP_4) | instid1(VALU_DEP_4)
	v_cndmask_b32_e64 v10, 0, 1, vcc_lo
	v_add_co_ci_u32_e32 v24, vcc_lo, 0, v12, vcc_lo
	v_xor3_b32 v20, v28, v16, v12
	v_add_nc_u32_e32 v36, 0x32370b8f, v17
	v_add_nc_u32_e32 v37, 0xed9eba14, v17
	v_cmp_eq_u32_e32 vcc_lo, 0, v24
	v_add_nc_u32_e32 v38, 0x1715609d, v16
	v_add_nc_u32_e32 v39, 0xa9066899, v17
	s_mov_b32 s0, exec_lo
	v_dual_cndmask_b32 v18, 0, v10 :: v_dual_add_nc_u32 v33, 0xbb67ae85, v17
	v_mad_u64_u32 v[10:11], null, 0xd2511f53, v15, 0
	s_delay_alu instid0(VALU_DEP_2) | instskip(NEXT) | instid1(VALU_DEP_2)
	v_add_nc_u32_e32 v15, v18, v1
	v_xor_b32_e32 v19, v11, v17
	s_delay_alu instid0(VALU_DEP_2) | instskip(SKIP_2) | instid1(VALU_DEP_1)
	v_cmp_eq_u32_e32 vcc_lo, 0, v15
	v_mad_u64_u32 v[11:12], null, 0xd2511f53, v13, 0
	v_cndmask_b32_e32 v18, 0, v18, vcc_lo
	v_xor_b32_e32 v13, v18, v19
	v_mad_u64_u32 v[18:19], null, 0xd2511f53, v20, 0
	v_mad_u64_u32 v[20:21], null, 0xcd9e8d57, v15, 0
	s_delay_alu instid0(VALU_DEP_3) | instskip(SKIP_3) | instid1(VALU_DEP_3)
	v_mad_u64_u32 v[22:23], null, 0xcd9e8d57, v13, 0
	v_xor_b32_e32 v13, v12, v17
	v_add_nc_u32_e32 v15, 0x3c6ef372, v16
	v_xor3_b32 v25, v33, v19, v11
	v_mad_u64_u32 v[11:12], null, 0xcd9e8d57, v13, 0
	v_xor3_b32 v13, v21, v16, v24
	v_xor3_b32 v21, v32, v23, v20
	s_delay_alu instid0(VALU_DEP_4) | instskip(NEXT) | instid1(VALU_DEP_3)
	v_mad_u64_u32 v[19:20], null, 0xcd9e8d57, v25, 0
	v_mad_u64_u32 v[23:24], null, 0xd2511f53, v13, 0
	s_delay_alu instid0(VALU_DEP_3) | instskip(SKIP_1) | instid1(VALU_DEP_4)
	v_mad_u64_u32 v[25:26], null, 0xd2511f53, v21, 0
	v_xor3_b32 v13, v2, v12, v32
	v_xor3_b32 v32, v15, v20, v11
	s_delay_alu instid0(VALU_DEP_4) | instskip(NEXT) | instid1(VALU_DEP_3)
	v_xor3_b32 v10, v33, v24, v10
	v_mad_u64_u32 v[11:12], null, 0xd2511f53, v13, 0
	v_xor3_b32 v13, v34, v26, v23
	s_delay_alu instid0(VALU_DEP_4) | instskip(NEXT) | instid1(VALU_DEP_4)
	v_mad_u64_u32 v[20:21], null, 0xd2511f53, v32, 0
	v_mad_u64_u32 v[23:24], null, 0xcd9e8d57, v10, 0
	s_delay_alu instid0(VALU_DEP_3) | instskip(SKIP_4) | instid1(VALU_DEP_4)
	v_mad_u64_u32 v[32:33], null, 0xcd9e8d57, v13, 0
	v_xor3_b32 v12, v34, v12, v18
	v_add_nc_u32_e32 v26, 0x78dde6e4, v16
	v_xor3_b32 v18, v36, v21, v11
	v_xor3_b32 v15, v15, v24, v22
	v_mad_u64_u32 v[10:11], null, 0xcd9e8d57, v12, 0
	v_xor3_b32 v33, v35, v33, v23
	s_delay_alu instid0(VALU_DEP_4) | instskip(NEXT) | instid1(VALU_DEP_4)
	v_mad_u64_u32 v[12:13], null, 0xcd9e8d57, v18, 0
	v_mad_u64_u32 v[21:22], null, 0xd2511f53, v15, 0
	s_delay_alu instid0(VALU_DEP_3) | instskip(SKIP_1) | instid1(VALU_DEP_4)
	v_mad_u64_u32 v[23:24], null, 0xd2511f53, v33, 0
	v_xor3_b32 v15, v35, v11, v19
	v_xor3_b32 v13, v26, v13, v10
	s_delay_alu instid0(VALU_DEP_2) | instskip(SKIP_2) | instid1(VALU_DEP_4)
	v_mad_u64_u32 v[10:11], null, 0xd2511f53, v15, 0
	v_xor3_b32 v15, v36, v22, v25
	v_xor3_b32 v21, v37, v24, v21
	v_mad_u64_u32 v[24:25], null, 0xd2511f53, v13, 0
	s_delay_alu instid0(VALU_DEP_3) | instskip(NEXT) | instid1(VALU_DEP_3)
	v_mad_u64_u32 v[18:19], null, 0xcd9e8d57, v15, 0
	v_mad_u64_u32 v[33:34], null, 0xcd9e8d57, v21, 0
	v_xor3_b32 v13, v37, v11, v20
	s_delay_alu instid0(VALU_DEP_4) | instskip(SKIP_2) | instid1(VALU_DEP_4)
	v_xor3_b32 v21, v39, v25, v10
	v_add_nc_u32_e32 v15, 0xb54cda56, v16
	v_add_nc_u32_e32 v20, 0x646e171e, v17
	v_mad_u64_u32 v[10:11], null, 0xcd9e8d57, v13, 0
	v_xor3_b32 v13, v26, v19, v32
	v_xor3_b32 v22, v38, v34, v18
	v_mad_u64_u32 v[34:35], null, 0xcd9e8d57, v21, 0
	v_add_nc_u32_e32 v26, 0x5384540f, v16
	s_delay_alu instid0(VALU_DEP_4) | instskip(NEXT) | instid1(VALU_DEP_4)
	v_mad_u64_u32 v[18:19], null, 0xd2511f53, v13, 0
	v_mad_u64_u32 v[36:37], null, 0xd2511f53, v22, 0
	v_xor3_b32 v12, v38, v11, v12
	v_xor3_b32 v13, v15, v35, v10
	v_add_nc_u32_e32 v38, 0x1fd5c5a3, v17
	v_add_co_u32 v32, null, 0xf1bbcdc8, v16
	v_xor3_b32 v21, v39, v19, v23
	v_xor3_b32 v23, v20, v37, v18
	v_mad_u64_u32 v[10:11], null, 0xd2511f53, v12, 0
	v_mad_u64_u32 v[18:19], null, 0xd2511f53, v13, 0
	s_delay_alu instid0(VALU_DEP_4) | instskip(NEXT) | instid1(VALU_DEP_4)
	v_mad_u64_u32 v[12:13], null, 0xcd9e8d57, v21, 0
	v_mad_u64_u32 v[21:22], null, 0xcd9e8d57, v23, 0
	s_delay_alu instid0(VALU_DEP_4) | instskip(NEXT) | instid1(VALU_DEP_4)
	v_xor3_b32 v20, v20, v11, v24
	v_xor3_b32 v23, v38, v19, v10
	s_delay_alu instid0(VALU_DEP_4) | instskip(NEXT) | instid1(VALU_DEP_3)
	v_xor3_b32 v15, v15, v13, v33
	v_mad_u64_u32 v[10:11], null, 0xcd9e8d57, v20, 0
	v_xor3_b32 v22, v26, v22, v12
	s_delay_alu instid0(VALU_DEP_4) | instskip(NEXT) | instid1(VALU_DEP_4)
	v_mad_u64_u32 v[19:20], null, 0xcd9e8d57, v23, 0
	v_mad_u64_u32 v[12:13], null, 0xd2511f53, v15, 0
	s_delay_alu instid0(VALU_DEP_3)
	v_mad_u64_u32 v[24:25], null, 0xd2511f53, v22, 0
	v_add_nc_u32_e32 v33, 0xdb3d7428, v17
	v_xor3_b32 v11, v26, v11, v34
	v_xor3_b32 v15, v32, v20, v10
	v_add_nc_u32_e32 v34, 0x96a522ad, v17
	v_xor3_b32 v13, v38, v13, v36
	v_and_b32_e32 v17, 3, v14
	v_xor3_b32 v20, v33, v25, v12
	v_mad_u64_u32 v[22:23], null, 0xd2511f53, v11, 0
	v_mad_u64_u32 v[10:11], null, 0xd2511f53, v15, 0
	;; [unrolled: 1-line block ×3, first 2 shown]
	s_delay_alu instid0(VALU_DEP_4) | instskip(SKIP_1) | instid1(VALU_DEP_4)
	v_mad_u64_u32 v[12:13], null, 0xcd9e8d57, v20, 0
	v_add_nc_u32_e32 v20, 0x8ff34781, v16
                                        ; implicit-def: $vgpr15
	v_xor3_b32 v16, v11, v22, v34
	s_delay_alu instid0(VALU_DEP_2)
	v_xor3_b32 v11, v13, v25, v20
	v_cmpx_lt_i32_e32 1, v17
	s_xor_b32 s0, exec_lo, s0
	s_cbranch_execz .LBB41_51
; %bb.46:                               ;   in Loop: Header=BB41_3 Depth=1
	s_mov_b32 s1, exec_lo
                                        ; implicit-def: $vgpr15
	v_cmpx_lt_i32_e32 2, v17
	s_xor_b32 s1, exec_lo, s1
; %bb.47:                               ;   in Loop: Header=BB41_3 Depth=1
	v_xor3_b32 v13, v32, v26, v21
                                        ; implicit-def: $vgpr16
	s_delay_alu instid0(VALU_DEP_1) | instskip(NEXT) | instid1(VALU_DEP_1)
	v_mul_hi_u32 v13, 0xd2511f53, v13
	v_xor3_b32 v15, v13, v24, v34
; %bb.48:                               ;   in Loop: Header=BB41_3 Depth=1
	s_and_not1_saveexec_b32 s1, s1
; %bb.49:                               ;   in Loop: Header=BB41_3 Depth=1
	v_dual_mov_b32 v15, v12 :: v_dual_mov_b32 v12, v11
	v_dual_mov_b32 v11, v10 :: v_dual_mov_b32 v10, v16
; %bb.50:                               ;   in Loop: Header=BB41_3 Depth=1
	s_or_b32 exec_lo, exec_lo, s1
                                        ; implicit-def: $vgpr18_vgpr19
                                        ; implicit-def: $vgpr17
                                        ; implicit-def: $vgpr16
                                        ; implicit-def: $vgpr33
                                        ; implicit-def: $vgpr22_vgpr23
                                        ; implicit-def: $vgpr19_vgpr20
                                        ; implicit-def: $vgpr20
.LBB41_51:                              ;   in Loop: Header=BB41_3 Depth=1
	s_and_not1_saveexec_b32 s0, s0
	s_cbranch_execz .LBB41_55
; %bb.52:                               ;   in Loop: Header=BB41_3 Depth=1
	v_xor3_b32 v12, v33, v23, v18
	v_cmp_eq_u32_e32 vcc_lo, 1, v17
	v_mov_b32_e32 v15, v10
	s_delay_alu instid0(VALU_DEP_3) | instskip(SKIP_1) | instid1(VALU_DEP_2)
	v_mad_u64_u32 v[13:14], null, 0xcd9e8d57, v12, 0
	v_mov_b32_e32 v12, v16
	v_xor3_b32 v17, v14, v19, v20
	s_delay_alu instid0(VALU_DEP_3)
	v_mov_b32_e32 v14, v13
	s_and_saveexec_b32 s1, vcc_lo
; %bb.53:                               ;   in Loop: Header=BB41_3 Depth=1
	v_dual_mov_b32 v15, v11 :: v_dual_mov_b32 v12, v10
	v_dual_mov_b32 v14, v16 :: v_dual_mov_b32 v17, v13
; %bb.54:                               ;   in Loop: Header=BB41_3 Depth=1
	s_or_b32 exec_lo, exec_lo, s1
	s_delay_alu instid0(VALU_DEP_1)
	v_dual_mov_b32 v10, v17 :: v_dual_mov_b32 v11, v14
.LBB41_55:                              ;   in Loop: Header=BB41_3 Depth=1
	s_or_b32 exec_lo, exec_lo, s0
	v_min_i32_e32 v13, 4, v29
	s_mov_b32 s1, 0
	s_mov_b32 s40, 0
	;; [unrolled: 1-line block ×3, first 2 shown]
                                        ; implicit-def: $sgpr19
                                        ; implicit-def: $sgpr37
                                        ; implicit-def: $sgpr38
	s_mov_b32 s0, exec_lo
	v_cmpx_lt_i32_e32 2, v13
	s_xor_b32 s39, exec_lo, s0
	s_cbranch_execz .LBB41_67
; %bb.56:                               ;   in Loop: Header=BB41_3 Depth=1
	s_mov_b32 s0, -1
	s_mov_b32 s41, 0
	s_mov_b32 s37, exec_lo
                                        ; implicit-def: $sgpr18
                                        ; implicit-def: $sgpr19
	v_cmpx_lt_i32_e32 3, v13
	s_cbranch_execz .LBB41_62
; %bb.57:                               ;   in Loop: Header=BB41_3 Depth=1
	s_mov_b32 s0, 0
	s_mov_b32 s41, -1
	s_mov_b32 s38, exec_lo
                                        ; implicit-def: $sgpr18
                                        ; implicit-def: $sgpr19
	v_cmpx_eq_u32_e32 4, v13
	s_cbranch_execz .LBB41_61
; %bb.58:                               ;   in Loop: Header=BB41_3 Depth=1
	v_cmp_le_f32_e32 vcc_lo, 0, v31
	v_cmp_ge_f32_e64 s0, 1.0, v31
	s_mov_b32 s18, 0
	s_delay_alu instid0(VALU_DEP_1)
	s_and_b32 s41, vcc_lo, s0
	s_mov_b32 s0, 0
	s_and_saveexec_b32 s19, s41
	s_cbranch_execz .LBB41_60
; %bb.59:                               ;   in Loop: Header=BB41_3 Depth=1
	v_cvt_f32_u32_e32 v14, v15
	v_lshlrev_b64 v[8:9], 2, v[8:9]
	s_mov_b32 s0, exec_lo
	s_delay_alu instid0(VALU_DEP_2) | instskip(NEXT) | instid1(VALU_DEP_2)
	v_fmaak_f32 v14, 0x2f800000, v14, 0x2f800000
	v_add_co_u32 v8, vcc_lo, s10, v8
	s_delay_alu instid0(VALU_DEP_3) | instskip(NEXT) | instid1(VALU_DEP_3)
	v_add_co_ci_u32_e32 v9, vcc_lo, s11, v9, vcc_lo
	v_cmp_le_f32_e32 vcc_lo, v14, v31
	v_cndmask_b32_e64 v14, 0, 1, vcc_lo
	global_store_b32 v[8:9], v14, off
.LBB41_60:                              ;   in Loop: Header=BB41_3 Depth=1
	s_or_b32 exec_lo, exec_lo, s19
	s_mov_b32 s19, -1
	s_xor_b32 s41, exec_lo, -1
	s_and_b32 s0, s0, exec_lo
.LBB41_61:                              ;   in Loop: Header=BB41_3 Depth=1
	s_or_b32 exec_lo, exec_lo, s38
	s_delay_alu instid0(SALU_CYCLE_1)
	s_and_b32 s41, s41, exec_lo
	s_or_not1_b32 s0, s0, exec_lo
.LBB41_62:                              ;   in Loop: Header=BB41_3 Depth=1
	s_or_b32 exec_lo, exec_lo, s37
	s_mov_b32 s38, s18
	s_and_saveexec_b32 s37, s0
	s_cbranch_execz .LBB41_66
; %bb.63:                               ;   in Loop: Header=BB41_3 Depth=1
	v_cmp_le_f32_e32 vcc_lo, 0, v30
	v_cmp_ge_f32_e64 s0, 1.0, v30
	s_delay_alu instid0(VALU_DEP_1) | instskip(SKIP_2) | instid1(SALU_CYCLE_1)
	s_and_b32 s38, vcc_lo, s0
	s_mov_b32 s0, 0
	s_and_saveexec_b32 s40, s38
	s_xor_b32 s38, exec_lo, s40
	s_cbranch_execz .LBB41_65
; %bb.64:                               ;   in Loop: Header=BB41_3 Depth=1
	v_cvt_f32_u32_e32 v9, v12
	v_mov_b32_e32 v8, v4
	s_mov_b32 s0, exec_lo
	s_delay_alu instid0(VALU_DEP_2) | instskip(NEXT) | instid1(VALU_DEP_2)
	v_fmaak_f32 v9, 0x2f800000, v9, 0x2f800000
	v_lshlrev_b64 v[7:8], 2, v[7:8]
	s_delay_alu instid0(VALU_DEP_1) | instskip(NEXT) | instid1(VALU_DEP_2)
	v_add_co_u32 v7, vcc_lo, s10, v7
	v_add_co_ci_u32_e32 v8, vcc_lo, s11, v8, vcc_lo
	s_delay_alu instid0(VALU_DEP_4)
	v_cmp_le_f32_e32 vcc_lo, v9, v30
	v_cndmask_b32_e64 v9, 0, 1, vcc_lo
	global_store_b32 v[7:8], v9, off
.LBB41_65:                              ;   in Loop: Header=BB41_3 Depth=1
	s_or_b32 exec_lo, exec_lo, s38
	s_delay_alu instid0(SALU_CYCLE_1)
	s_and_not1_b32 s38, s18, exec_lo
	s_or_b32 s18, s18, exec_lo
	s_and_not1_b32 s19, s19, exec_lo
	s_and_b32 s40, s0, exec_lo
.LBB41_66:                              ;   in Loop: Header=BB41_3 Depth=1
	s_or_b32 exec_lo, exec_lo, s37
	s_delay_alu instid0(SALU_CYCLE_1)
	s_and_b32 s38, s38, exec_lo
	s_and_b32 s37, s18, exec_lo
	;; [unrolled: 1-line block ×5, first 2 shown]
.LBB41_67:                              ;   in Loop: Header=BB41_3 Depth=1
	s_and_not1_saveexec_b32 s0, s39
; %bb.68:                               ;   in Loop: Header=BB41_3 Depth=1
	v_cmp_lt_i32_e32 vcc_lo, 1, v13
	s_and_not1_b32 s39, s40, exec_lo
	s_mov_b32 s1, exec_lo
	s_and_not1_b32 s38, s38, exec_lo
	s_and_not1_b32 s37, s37, exec_lo
	s_and_b32 s40, vcc_lo, exec_lo
	s_and_not1_b32 s19, s19, exec_lo
	s_or_b32 s40, s39, s40
; %bb.69:                               ;   in Loop: Header=BB41_3 Depth=1
	s_or_b32 exec_lo, exec_lo, s0
	s_mov_b32 s0, 0
	s_mov_b32 s39, s38
	s_and_saveexec_b32 s41, s40
	s_cbranch_execnz .LBB41_72
; %bb.70:                               ;   in Loop: Header=BB41_3 Depth=1
	s_or_b32 exec_lo, exec_lo, s41
	s_and_saveexec_b32 s40, s1
	s_cbranch_execnz .LBB41_75
.LBB41_71:                              ;   in Loop: Header=BB41_3 Depth=1
	s_or_b32 exec_lo, exec_lo, s40
	s_and_saveexec_b32 s1, s0
	s_cbranch_execnz .LBB41_76
	s_branch .LBB41_79
.LBB41_72:                              ;   in Loop: Header=BB41_3 Depth=1
	v_cmp_le_f32_e32 vcc_lo, 0, v3
	v_cmp_ge_f32_e64 s0, 1.0, v3
	s_delay_alu instid0(VALU_DEP_1) | instskip(SKIP_2) | instid1(SALU_CYCLE_1)
	s_and_b32 s39, vcc_lo, s0
	s_mov_b32 s0, 0
	s_and_saveexec_b32 s40, s39
	s_xor_b32 s39, exec_lo, s40
	s_cbranch_execz .LBB41_74
; %bb.73:                               ;   in Loop: Header=BB41_3 Depth=1
	v_cvt_f32_u32_e32 v8, v11
	v_mov_b32_e32 v7, v4
	s_mov_b32 s0, exec_lo
	s_delay_alu instid0(VALU_DEP_2) | instskip(NEXT) | instid1(VALU_DEP_2)
	v_fmaak_f32 v8, 0x2f800000, v8, 0x2f800000
	v_lshlrev_b64 v[6:7], 2, v[6:7]
	s_delay_alu instid0(VALU_DEP_1) | instskip(NEXT) | instid1(VALU_DEP_2)
	v_add_co_u32 v6, vcc_lo, s10, v6
	v_add_co_ci_u32_e32 v7, vcc_lo, s11, v7, vcc_lo
	s_delay_alu instid0(VALU_DEP_4)
	v_cmp_le_f32_e32 vcc_lo, v8, v3
	v_cndmask_b32_e64 v3, 0, 1, vcc_lo
	global_store_b32 v[6:7], v3, off
.LBB41_74:                              ;   in Loop: Header=BB41_3 Depth=1
	s_or_b32 exec_lo, exec_lo, s39
	s_delay_alu instid0(SALU_CYCLE_1)
	s_and_not1_b32 s39, s38, exec_lo
	s_or_b32 s38, s38, exec_lo
	s_and_not1_b32 s37, s37, exec_lo
	s_and_not1_b32 s19, s19, exec_lo
	s_and_b32 s0, s0, exec_lo
	s_and_not1_b32 s1, s1, exec_lo
	s_or_b32 exec_lo, exec_lo, s41
	s_and_saveexec_b32 s40, s1
	s_cbranch_execz .LBB41_71
.LBB41_75:                              ;   in Loop: Header=BB41_3 Depth=1
	v_cmp_eq_u32_e32 vcc_lo, 1, v13
	s_and_not1_b32 s0, s0, exec_lo
	s_and_not1_b32 s39, s39, exec_lo
	;; [unrolled: 1-line block ×4, first 2 shown]
	s_and_b32 s1, vcc_lo, exec_lo
	s_and_not1_b32 s19, s19, exec_lo
	s_or_b32 s18, s18, exec_lo
	s_or_b32 s0, s0, s1
	s_or_b32 exec_lo, exec_lo, s40
	s_and_saveexec_b32 s1, s0
	s_cbranch_execz .LBB41_79
.LBB41_76:                              ;   in Loop: Header=BB41_3 Depth=1
	v_cmp_le_f32_e32 vcc_lo, 0, v0
	v_cmp_ge_f32_e64 s0, 1.0, v0
	s_delay_alu instid0(VALU_DEP_1)
	s_and_b32 s41, vcc_lo, s0
	s_mov_b32 s0, 0
	s_and_saveexec_b32 s40, s41
	s_cbranch_execz .LBB41_78
; %bb.77:                               ;   in Loop: Header=BB41_3 Depth=1
	v_cvt_f32_u32_e32 v3, v10
	v_mov_b32_e32 v6, v4
	s_mov_b32 s0, exec_lo
	s_delay_alu instid0(VALU_DEP_2) | instskip(NEXT) | instid1(VALU_DEP_2)
	v_fmaak_f32 v3, 0x2f800000, v3, 0x2f800000
	v_lshlrev_b64 v[5:6], 2, v[5:6]
	s_delay_alu instid0(VALU_DEP_1) | instskip(NEXT) | instid1(VALU_DEP_2)
	v_add_co_u32 v5, vcc_lo, s10, v5
	v_add_co_ci_u32_e32 v6, vcc_lo, s11, v6, vcc_lo
	s_delay_alu instid0(VALU_DEP_4)
	v_cmp_le_f32_e32 vcc_lo, v3, v0
	v_cndmask_b32_e64 v0, 0, 1, vcc_lo
	global_store_b32 v[5:6], v0, off
.LBB41_78:                              ;   in Loop: Header=BB41_3 Depth=1
	s_or_b32 exec_lo, exec_lo, s40
	s_delay_alu instid0(SALU_CYCLE_1)
	s_and_not1_b32 s18, s18, exec_lo
	s_and_b32 s0, s0, exec_lo
	s_or_b32 s39, s39, exec_lo
	s_and_not1_b32 s38, s38, exec_lo
	s_and_not1_b32 s37, s37, exec_lo
	;; [unrolled: 1-line block ×3, first 2 shown]
	s_or_b32 s18, s18, s0
.LBB41_79:                              ;   in Loop: Header=BB41_3 Depth=1
	s_or_b32 exec_lo, exec_lo, s1
	s_delay_alu instid0(SALU_CYCLE_1)
	s_and_not1_b32 s1, s36, exec_lo
	s_and_b32 s36, s39, exec_lo
	s_and_not1_b32 s34, s34, exec_lo
	s_and_b32 s38, s38, exec_lo
	s_or_b32 s36, s1, s36
	s_and_not1_b32 s1, s35, exec_lo
	s_and_b32 s35, s37, exec_lo
	s_and_not1_b32 s33, s33, exec_lo
	s_and_b32 s19, s19, exec_lo
	s_mov_b32 s0, -1
	s_or_b32 s34, s34, s38
	s_or_b32 s35, s1, s35
	;; [unrolled: 1-line block ×3, first 2 shown]
	s_and_saveexec_b32 s1, s18
	s_cbranch_execz .LBB41_2
; %bb.80:                               ;   in Loop: Header=BB41_3 Depth=1
	v_add_nc_u32_e32 v27, s26, v27
	s_and_not1_b32 s36, s36, exec_lo
	s_and_not1_b32 s34, s34, exec_lo
	;; [unrolled: 1-line block ×4, first 2 shown]
	v_cmp_le_u32_e32 vcc_lo, s20, v27
	s_or_not1_b32 s0, vcc_lo, exec_lo
	s_branch .LBB41_2
.LBB41_81:
	s_or_b32 exec_lo, exec_lo, s13
	s_xor_b32 s3, s30, -1
	s_xor_b32 s4, s31, -1
	s_xor_b32 s0, s29, -1
	s_mov_b32 s1, 0
	s_and_saveexec_b32 s2, s0
	s_delay_alu instid0(SALU_CYCLE_1)
	s_xor_b32 s0, exec_lo, s2
	s_cbranch_execz .LBB41_90
; %bb.82:
	s_mov_b32 s2, 0
	s_and_saveexec_b32 s1, s4
	s_delay_alu instid0(SALU_CYCLE_1)
	s_xor_b32 s1, exec_lo, s1
	s_cbranch_execz .LBB41_88
; %bb.83:
	s_and_saveexec_b32 s4, s3
	s_delay_alu instid0(SALU_CYCLE_1)
	s_xor_b32 s3, exec_lo, s4
	s_cbranch_execz .LBB41_86
; %bb.84:
	s_and_saveexec_b32 s4, s12
	s_delay_alu instid0(SALU_CYCLE_1)
	s_xor_b32 s4, exec_lo, s4
	s_cbranch_execnz .LBB41_104
.LBB41_85:
	s_or_b32 exec_lo, exec_lo, s4
	s_delay_alu instid0(SALU_CYCLE_1)
	s_and_b32 s2, s2, exec_lo
.LBB41_86:
	s_and_not1_saveexec_b32 s3, s3
	s_cbranch_execnz .LBB41_100
.LBB41_87:
	s_or_b32 exec_lo, exec_lo, s3
	s_delay_alu instid0(SALU_CYCLE_1)
	s_and_b32 s2, s2, exec_lo
.LBB41_88:
	s_and_not1_saveexec_b32 s1, s1
	s_cbranch_execnz .LBB41_96
.LBB41_89:
	s_or_b32 exec_lo, exec_lo, s1
	s_delay_alu instid0(SALU_CYCLE_1)
	s_and_b32 s1, s2, exec_lo
.LBB41_90:
	s_and_not1_saveexec_b32 s0, s0
	s_cbranch_execnz .LBB41_94
; %bb.91:
	s_or_b32 exec_lo, exec_lo, s0
	s_delay_alu instid0(SALU_CYCLE_1)
	s_and_b32 exec_lo, exec_lo, s1
.LBB41_92:
	; divergent unreachable
.LBB41_93:
	s_nop 0
	s_sendmsg sendmsg(MSG_DEALLOC_VGPRS)
	s_endpgm
.LBB41_94:
	s_cbranch_execnz .LBB41_98
; %bb.95:
	s_or_b32 s1, s1, exec_lo
	s_or_b32 exec_lo, exec_lo, s0
	s_delay_alu instid0(SALU_CYCLE_1)
	s_and_b32 exec_lo, exec_lo, s1
	s_cbranch_execnz .LBB41_92
	s_branch .LBB41_93
.LBB41_96:
	s_cbranch_execnz .LBB41_102
; %bb.97:
	s_or_b32 s2, s2, exec_lo
	s_branch .LBB41_89
.LBB41_98:
	s_trap 2
	s_sendmsg_rtn_b32 s0, sendmsg(MSG_RTN_GET_DOORBELL)
	s_mov_b32 ttmp2, m0
	s_waitcnt lgkmcnt(0)
	s_and_b32 s0, s0, 0x3ff
	s_delay_alu instid0(SALU_CYCLE_1) | instskip(NEXT) | instid1(SALU_CYCLE_1)
	s_bitset1_b32 s0, 10
	s_mov_b32 m0, s0
	s_sendmsg sendmsg(MSG_INTERRUPT)
	s_mov_b32 m0, ttmp2
.LBB41_99:                              ; =>This Inner Loop Header: Depth=1
	s_sethalt 5
	s_branch .LBB41_99
.LBB41_100:
	s_cbranch_execnz .LBB41_106
; %bb.101:
	s_or_b32 s2, s2, exec_lo
	s_branch .LBB41_87
.LBB41_102:
	s_trap 2
	s_sendmsg_rtn_b32 s0, sendmsg(MSG_RTN_GET_DOORBELL)
	s_mov_b32 ttmp2, m0
	s_waitcnt lgkmcnt(0)
	s_and_b32 s0, s0, 0x3ff
	s_delay_alu instid0(SALU_CYCLE_1) | instskip(NEXT) | instid1(SALU_CYCLE_1)
	s_bitset1_b32 s0, 10
	s_mov_b32 m0, s0
	s_sendmsg sendmsg(MSG_INTERRUPT)
	s_mov_b32 m0, ttmp2
.LBB41_103:                             ; =>This Inner Loop Header: Depth=1
	s_sethalt 5
	s_branch .LBB41_103
.LBB41_104:
	s_cbranch_execnz .LBB41_108
; %bb.105:
	s_mov_b32 s2, exec_lo
	s_branch .LBB41_85
.LBB41_106:
	s_trap 2
	s_sendmsg_rtn_b32 s0, sendmsg(MSG_RTN_GET_DOORBELL)
	s_mov_b32 ttmp2, m0
	s_waitcnt lgkmcnt(0)
	s_and_b32 s0, s0, 0x3ff
	s_delay_alu instid0(SALU_CYCLE_1) | instskip(NEXT) | instid1(SALU_CYCLE_1)
	s_bitset1_b32 s0, 10
	s_mov_b32 m0, s0
	s_sendmsg sendmsg(MSG_INTERRUPT)
	s_mov_b32 m0, ttmp2
.LBB41_107:                             ; =>This Inner Loop Header: Depth=1
	s_sethalt 5
	s_branch .LBB41_107
.LBB41_108:
	s_trap 2
	s_sendmsg_rtn_b32 s0, sendmsg(MSG_RTN_GET_DOORBELL)
	s_mov_b32 ttmp2, m0
	s_waitcnt lgkmcnt(0)
	s_and_b32 s0, s0, 0x3ff
	s_delay_alu instid0(SALU_CYCLE_1) | instskip(NEXT) | instid1(SALU_CYCLE_1)
	s_bitset1_b32 s0, 10
	s_mov_b32 m0, s0
	s_sendmsg sendmsg(MSG_INTERRUPT)
	s_mov_b32 m0, ttmp2
.LBB41_109:                             ; =>This Inner Loop Header: Depth=1
	s_sethalt 5
	s_branch .LBB41_109
	.section	.rodata,"a",@progbits
	.p2align	6, 0x0
	.amdhsa_kernel _ZN2at4cuda12_GLOBAL__N_121kernelPointwiseApply2IZNS_6native9templates4cuda28bernoulli_tensor_cuda_kernelIifEEvRKNS_10TensorBaseES9_NS_15PhiloxCudaStateEEUliRiSB_SB_SB_RKfSD_SD_SD_E_iSC_jLin1ELin1ELi4ELi512ELi2EEEvNS0_6detail10TensorInfoIT0_T2_EENSG_IT1_SI_EESI_T_
		.amdhsa_group_segment_fixed_size 0
		.amdhsa_private_segment_fixed_size 0
		.amdhsa_kernarg_size 728
		.amdhsa_user_sgpr_count 15
		.amdhsa_user_sgpr_dispatch_ptr 0
		.amdhsa_user_sgpr_queue_ptr 0
		.amdhsa_user_sgpr_kernarg_segment_ptr 1
		.amdhsa_user_sgpr_dispatch_id 0
		.amdhsa_user_sgpr_private_segment_size 0
		.amdhsa_wavefront_size32 1
		.amdhsa_uses_dynamic_stack 0
		.amdhsa_enable_private_segment 0
		.amdhsa_system_sgpr_workgroup_id_x 1
		.amdhsa_system_sgpr_workgroup_id_y 0
		.amdhsa_system_sgpr_workgroup_id_z 0
		.amdhsa_system_sgpr_workgroup_info 0
		.amdhsa_system_vgpr_workitem_id 0
		.amdhsa_next_free_vgpr 40
		.amdhsa_next_free_sgpr 42
		.amdhsa_reserve_vcc 1
		.amdhsa_float_round_mode_32 0
		.amdhsa_float_round_mode_16_64 0
		.amdhsa_float_denorm_mode_32 3
		.amdhsa_float_denorm_mode_16_64 3
		.amdhsa_dx10_clamp 1
		.amdhsa_ieee_mode 1
		.amdhsa_fp16_overflow 0
		.amdhsa_workgroup_processor_mode 1
		.amdhsa_memory_ordered 1
		.amdhsa_forward_progress 0
		.amdhsa_shared_vgpr_count 0
		.amdhsa_exception_fp_ieee_invalid_op 0
		.amdhsa_exception_fp_denorm_src 0
		.amdhsa_exception_fp_ieee_div_zero 0
		.amdhsa_exception_fp_ieee_overflow 0
		.amdhsa_exception_fp_ieee_underflow 0
		.amdhsa_exception_fp_ieee_inexact 0
		.amdhsa_exception_int_div_zero 0
	.end_amdhsa_kernel
	.section	.text._ZN2at4cuda12_GLOBAL__N_121kernelPointwiseApply2IZNS_6native9templates4cuda28bernoulli_tensor_cuda_kernelIifEEvRKNS_10TensorBaseES9_NS_15PhiloxCudaStateEEUliRiSB_SB_SB_RKfSD_SD_SD_E_iSC_jLin1ELin1ELi4ELi512ELi2EEEvNS0_6detail10TensorInfoIT0_T2_EENSG_IT1_SI_EESI_T_,"axG",@progbits,_ZN2at4cuda12_GLOBAL__N_121kernelPointwiseApply2IZNS_6native9templates4cuda28bernoulli_tensor_cuda_kernelIifEEvRKNS_10TensorBaseES9_NS_15PhiloxCudaStateEEUliRiSB_SB_SB_RKfSD_SD_SD_E_iSC_jLin1ELin1ELi4ELi512ELi2EEEvNS0_6detail10TensorInfoIT0_T2_EENSG_IT1_SI_EESI_T_,comdat
.Lfunc_end41:
	.size	_ZN2at4cuda12_GLOBAL__N_121kernelPointwiseApply2IZNS_6native9templates4cuda28bernoulli_tensor_cuda_kernelIifEEvRKNS_10TensorBaseES9_NS_15PhiloxCudaStateEEUliRiSB_SB_SB_RKfSD_SD_SD_E_iSC_jLin1ELin1ELi4ELi512ELi2EEEvNS0_6detail10TensorInfoIT0_T2_EENSG_IT1_SI_EESI_T_, .Lfunc_end41-_ZN2at4cuda12_GLOBAL__N_121kernelPointwiseApply2IZNS_6native9templates4cuda28bernoulli_tensor_cuda_kernelIifEEvRKNS_10TensorBaseES9_NS_15PhiloxCudaStateEEUliRiSB_SB_SB_RKfSD_SD_SD_E_iSC_jLin1ELin1ELi4ELi512ELi2EEEvNS0_6detail10TensorInfoIT0_T2_EENSG_IT1_SI_EESI_T_
                                        ; -- End function
	.section	.AMDGPU.csdata,"",@progbits
; Kernel info:
; codeLenInByte = 5384
; NumSgprs: 44
; NumVgprs: 40
; ScratchSize: 0
; MemoryBound: 0
; FloatMode: 240
; IeeeMode: 1
; LDSByteSize: 0 bytes/workgroup (compile time only)
; SGPRBlocks: 5
; VGPRBlocks: 4
; NumSGPRsForWavesPerEU: 44
; NumVGPRsForWavesPerEU: 40
; Occupancy: 16
; WaveLimiterHint : 1
; COMPUTE_PGM_RSRC2:SCRATCH_EN: 0
; COMPUTE_PGM_RSRC2:USER_SGPR: 15
; COMPUTE_PGM_RSRC2:TRAP_HANDLER: 0
; COMPUTE_PGM_RSRC2:TGID_X_EN: 1
; COMPUTE_PGM_RSRC2:TGID_Y_EN: 0
; COMPUTE_PGM_RSRC2:TGID_Z_EN: 0
; COMPUTE_PGM_RSRC2:TIDIG_COMP_CNT: 0
	.section	.text._ZN2at4cuda12_GLOBAL__N_121kernelPointwiseApply2IZNS_6native9templates4cuda28bernoulli_tensor_cuda_kernelIifEEvRKNS_10TensorBaseES9_NS_15PhiloxCudaStateEEUliRiSB_SB_SB_RKfSD_SD_SD_E_iSC_mLi1ELi1ELi4ELi512ELi2EEEvNS0_6detail10TensorInfoIT0_T2_EENSG_IT1_SI_EESI_T_,"axG",@progbits,_ZN2at4cuda12_GLOBAL__N_121kernelPointwiseApply2IZNS_6native9templates4cuda28bernoulli_tensor_cuda_kernelIifEEvRKNS_10TensorBaseES9_NS_15PhiloxCudaStateEEUliRiSB_SB_SB_RKfSD_SD_SD_E_iSC_mLi1ELi1ELi4ELi512ELi2EEEvNS0_6detail10TensorInfoIT0_T2_EENSG_IT1_SI_EESI_T_,comdat
	.globl	_ZN2at4cuda12_GLOBAL__N_121kernelPointwiseApply2IZNS_6native9templates4cuda28bernoulli_tensor_cuda_kernelIifEEvRKNS_10TensorBaseES9_NS_15PhiloxCudaStateEEUliRiSB_SB_SB_RKfSD_SD_SD_E_iSC_mLi1ELi1ELi4ELi512ELi2EEEvNS0_6detail10TensorInfoIT0_T2_EENSG_IT1_SI_EESI_T_ ; -- Begin function _ZN2at4cuda12_GLOBAL__N_121kernelPointwiseApply2IZNS_6native9templates4cuda28bernoulli_tensor_cuda_kernelIifEEvRKNS_10TensorBaseES9_NS_15PhiloxCudaStateEEUliRiSB_SB_SB_RKfSD_SD_SD_E_iSC_mLi1ELi1ELi4ELi512ELi2EEEvNS0_6detail10TensorInfoIT0_T2_EENSG_IT1_SI_EESI_T_
	.p2align	8
	.type	_ZN2at4cuda12_GLOBAL__N_121kernelPointwiseApply2IZNS_6native9templates4cuda28bernoulli_tensor_cuda_kernelIifEEvRKNS_10TensorBaseES9_NS_15PhiloxCudaStateEEUliRiSB_SB_SB_RKfSD_SD_SD_E_iSC_mLi1ELi1ELi4ELi512ELi2EEEvNS0_6detail10TensorInfoIT0_T2_EENSG_IT1_SI_EESI_T_,@function
_ZN2at4cuda12_GLOBAL__N_121kernelPointwiseApply2IZNS_6native9templates4cuda28bernoulli_tensor_cuda_kernelIifEEvRKNS_10TensorBaseES9_NS_15PhiloxCudaStateEEUliRiSB_SB_SB_RKfSD_SD_SD_E_iSC_mLi1ELi1ELi4ELi512ELi2EEEvNS0_6detail10TensorInfoIT0_T2_EENSG_IT1_SI_EESI_T_: ; @_ZN2at4cuda12_GLOBAL__N_121kernelPointwiseApply2IZNS_6native9templates4cuda28bernoulli_tensor_cuda_kernelIifEEvRKNS_10TensorBaseES9_NS_15PhiloxCudaStateEEUliRiSB_SB_SB_RKfSD_SD_SD_E_iSC_mLi1ELi1ELi4ELi512ELi2EEEvNS0_6detail10TensorInfoIT0_T2_EENSG_IT1_SI_EESI_T_
; %bb.0:
	s_clause 0x1
	s_load_b32 s4, s[0:1], 0x374
	s_load_b256 s[16:23], s[0:1], 0x340
	s_add_u32 s2, s0, 0x368
	s_addc_u32 s3, s1, 0
	s_mov_b32 s5, exec_lo
	v_mov_b32_e32 v3, 0
	s_waitcnt lgkmcnt(0)
	s_and_b32 s4, s4, 0xffff
	s_delay_alu instid0(SALU_CYCLE_1) | instskip(NEXT) | instid1(VALU_DEP_1)
	v_mad_u64_u32 v[1:2], null, s15, s4, v[0:1]
	v_lshlrev_b32_e32 v2, 2, v1
	s_delay_alu instid0(VALU_DEP_1)
	v_cmpx_gt_u64_e64 s[16:17], v[2:3]
	s_cbranch_execz .LBB42_51
; %bb.1:
	s_load_b64 s[10:11], s[0:1], 0xd0
	s_load_b32 s2, s[2:3], 0x0
	s_clause 0x3
	s_load_b32 s3, s[0:1], 0x360
	s_load_b64 s[6:7], s[0:1], 0x0
	s_load_b64 s[8:9], s[0:1], 0x1a0
	;; [unrolled: 1-line block ×3, first 2 shown]
	v_mad_u64_u32 v[4:5], null, 0xcd9e8d57, v1, 0
	v_add_co_u32 v15, s12, v2, 2
	s_delay_alu instid0(VALU_DEP_1) | instskip(SKIP_1) | instid1(VALU_DEP_4)
	v_add_co_ci_u32_e64 v16, null, 0, 0, s12
	v_add_co_u32 v17, s12, v2, 3
	v_mov_b32_e32 v34, v5
	v_add_co_ci_u32_e64 v18, null, 0, 0, s12
	v_sub_nc_u32_e32 v0, s16, v2
	s_mov_b32 s5, 0
	s_mov_b64 s[12:13], 0
	s_waitcnt lgkmcnt(0)
	v_mad_u64_u32 v[5:6], null, s10, v2, 0
	v_mad_u64_u32 v[7:8], null, s10, v15, 0
	;; [unrolled: 1-line block ×4, first 2 shown]
	v_mul_lo_u32 v19, s11, v15
	v_mul_lo_u32 v20, s10, v16
	v_mad_u64_u32 v[13:14], null, s11, v2, v[6:7]
	v_mul_lo_u32 v21, s11, v17
	v_mul_lo_u32 v22, s10, v18
	;; [unrolled: 1-line block ×3, first 2 shown]
	s_mul_i32 s2, s2, s4
	s_bitcmp1_b32 s3, 0
	v_add3_u32 v8, v8, v20, v19
	v_mov_b32_e32 v6, v13
	v_mad_u64_u32 v[13:14], null, s1, v2, v[10:11]
	v_add3_u32 v12, v12, v22, v21
	v_mul_lo_u32 v19, s1, v15
	v_mul_lo_u32 v20, s0, v16
	v_mul_lo_u32 v21, s1, v17
	v_add_co_u32 v10, vcc_lo, v5, s10
	v_mov_b32_e32 v36, v13
	v_mad_u64_u32 v[13:14], null, s0, v15, 0
	v_mad_u64_u32 v[15:16], null, s0, v17, 0
	s_cselect_b32 s14, -1, 0
	s_lshl_b32 s15, s2, 2
	v_add_co_ci_u32_e32 v35, vcc_lo, s11, v6, vcc_lo
	v_add_co_u32 v37, vcc_lo, v9, s0
	s_mul_i32 s2, s11, s15
	s_mul_hi_u32 s3, s10, s15
	v_add_co_ci_u32_e32 v38, vcc_lo, s1, v36, vcc_lo
	v_add3_u32 v14, v14, v20, v19
	v_add3_u32 v16, v16, v18, v21
	s_add_i32 s24, s3, s2
	s_mul_i32 s2, s1, s15
	s_mul_hi_u32 s3, s0, s15
	s_mul_i32 s25, s10, s15
	s_add_i32 s27, s3, s2
	s_mul_i32 s28, s0, s15
	s_mov_b64 s[10:11], 0
                                        ; implicit-def: $sgpr29
                                        ; implicit-def: $sgpr31
                                        ; implicit-def: $sgpr30
                                        ; implicit-def: $sgpr26
                                        ; implicit-def: $sgpr33
                                        ; implicit-def: $sgpr35
                                        ; implicit-def: $sgpr34
                                        ; implicit-def: $sgpr36
	s_branch .LBB42_3
.LBB42_2:                               ;   in Loop: Header=BB42_3 Depth=1
	s_or_b32 exec_lo, exec_lo, s1
	s_delay_alu instid0(SALU_CYCLE_1) | instskip(NEXT) | instid1(SALU_CYCLE_1)
	s_and_b32 s0, exec_lo, s0
	s_or_b32 s5, s0, s5
	s_and_not1_b32 s0, s26, exec_lo
	s_and_b32 s1, s36, exec_lo
	s_and_not1_b32 s2, s30, exec_lo
	s_and_b32 s3, s34, exec_lo
	s_or_b32 s26, s0, s1
	s_or_b32 s30, s2, s3
	s_and_not1_b32 s0, s31, exec_lo
	s_and_b32 s1, s35, exec_lo
	s_and_not1_b32 s2, s29, exec_lo
	s_and_b32 s3, s33, exec_lo
	s_or_b32 s31, s0, s1
	s_or_b32 s29, s2, s3
	s_and_not1_b32 exec_lo, exec_lo, s5
	s_cbranch_execz .LBB42_39
.LBB42_3:                               ; =>This Inner Loop Header: Depth=1
	v_add_co_u32 v17, vcc_lo, v9, s10
	v_add_co_ci_u32_e32 v18, vcc_lo, s11, v36, vcc_lo
	v_cmp_lt_i32_e64 s0, 0, v0
	v_add_co_u32 v19, vcc_lo, v37, s10
	v_add_co_ci_u32_e32 v20, vcc_lo, s11, v38, vcc_lo
	v_cmp_lt_i32_e64 s1, 1, v0
	v_add_co_u32 v21, vcc_lo, v13, s10
	v_cndmask_b32_e64 v18, 0, v18, s0
	v_cndmask_b32_e64 v17, 0, v17, s0
	v_add_co_ci_u32_e32 v22, vcc_lo, s11, v14, vcc_lo
	v_cmp_lt_i32_e64 s2, 2, v0
	v_add_co_u32 v23, vcc_lo, v15, s10
	v_cndmask_b32_e64 v20, 0, v20, s1
	v_cndmask_b32_e64 v19, 0, v19, s1
	v_add_co_ci_u32_e32 v24, vcc_lo, s11, v16, vcc_lo
	v_cmp_lt_i32_e64 s3, 3, v0
	v_lshlrev_b64 v[17:18], 2, v[17:18]
	v_cndmask_b32_e64 v22, 0, v22, s2
	v_cndmask_b32_e64 v21, 0, v21, s2
	v_lshlrev_b64 v[19:20], 2, v[19:20]
	v_cndmask_b32_e64 v24, 0, v24, s3
	v_cndmask_b32_e64 v23, 0, v23, s3
	v_add_co_u32 v17, vcc_lo, s8, v17
	v_lshlrev_b64 v[21:22], 2, v[21:22]
	v_add_co_ci_u32_e32 v18, vcc_lo, s9, v18, vcc_lo
	v_add_co_u32 v19, vcc_lo, s8, v19
	v_lshlrev_b64 v[23:24], 2, v[23:24]
	v_add_co_ci_u32_e32 v20, vcc_lo, s9, v20, vcc_lo
	v_add_co_u32 v21, vcc_lo, s8, v21
	v_add_co_ci_u32_e32 v22, vcc_lo, s9, v22, vcc_lo
	s_delay_alu instid0(VALU_DEP_4)
	v_add_co_u32 v23, vcc_lo, s8, v23
	v_add_co_ci_u32_e32 v24, vcc_lo, s9, v24, vcc_lo
	s_clause 0x3
	global_load_b32 v39, v[17:18], off
	global_load_b32 v40, v[19:20], off
	;; [unrolled: 1-line block ×4, first 2 shown]
	v_dual_mov_b32 v22, s21 :: v_dual_mov_b32 v21, s20
	v_dual_mov_b32 v24, s19 :: v_dual_mov_b32 v23, s18
	s_and_not1_b32 vcc_lo, exec_lo, s14
	s_cbranch_vccnz .LBB42_5
; %bb.4:                                ;   in Loop: Header=BB42_3 Depth=1
	v_dual_mov_b32 v17, s20 :: v_dual_mov_b32 v18, s21
	v_dual_mov_b32 v20, s19 :: v_dual_mov_b32 v19, s18
	flat_load_b64 v[17:18], v[17:18]
	flat_load_b64 v[23:24], v[19:20]
	s_waitcnt vmcnt(1) lgkmcnt(1)
	v_add_co_u32 v21, vcc_lo, v17, s22
	v_add_co_ci_u32_e32 v22, vcc_lo, s23, v18, vcc_lo
.LBB42_5:                               ;   in Loop: Header=BB42_3 Depth=1
	s_delay_alu instid0(VALU_DEP_1)
	v_alignbit_b32 v20, v22, v21, 2
	v_lshrrev_b32_e32 v19, 2, v22
	s_waitcnt vmcnt(0) lgkmcnt(0)
	v_add_nc_u32_e32 v43, 0x9e3779b9, v23
	v_add_nc_u32_e32 v45, 0x76cf5d0a, v24
	;; [unrolled: 1-line block ×3, first 2 shown]
	v_add_co_u32 v22, vcc_lo, v20, 1
	s_delay_alu instid0(VALU_DEP_1) | instskip(SKIP_4) | instid1(VALU_DEP_4)
	v_cndmask_b32_e64 v17, 0, 1, vcc_lo
	v_add_co_ci_u32_e32 v31, vcc_lo, 0, v19, vcc_lo
	v_xor3_b32 v27, v34, v23, v19
	v_add_nc_u32_e32 v47, 0x32370b8f, v24
	v_add_nc_u32_e32 v48, 0xed9eba14, v24
	v_cmp_eq_u32_e32 vcc_lo, 0, v31
	v_add_nc_u32_e32 v49, 0x1715609d, v23
	v_add_nc_u32_e32 v50, 0xa9066899, v24
	s_mov_b32 s4, exec_lo
	v_dual_cndmask_b32 v25, 0, v17 :: v_dual_add_nc_u32 v44, 0xbb67ae85, v24
	v_mad_u64_u32 v[17:18], null, 0xd2511f53, v22, 0
	s_delay_alu instid0(VALU_DEP_2) | instskip(NEXT) | instid1(VALU_DEP_2)
	v_add_nc_u32_e32 v22, v25, v1
	v_xor_b32_e32 v26, v18, v24
	s_delay_alu instid0(VALU_DEP_2) | instskip(SKIP_2) | instid1(VALU_DEP_1)
	v_cmp_eq_u32_e32 vcc_lo, 0, v22
	v_mad_u64_u32 v[18:19], null, 0xd2511f53, v20, 0
	v_cndmask_b32_e32 v25, 0, v25, vcc_lo
	v_xor_b32_e32 v20, v25, v26
	v_mad_u64_u32 v[25:26], null, 0xd2511f53, v27, 0
	v_mad_u64_u32 v[27:28], null, 0xcd9e8d57, v22, 0
	v_add_nc_u32_e32 v22, 0x3c6ef372, v23
	s_delay_alu instid0(VALU_DEP_4) | instskip(SKIP_2) | instid1(VALU_DEP_2)
	v_mad_u64_u32 v[29:30], null, 0xcd9e8d57, v20, 0
	v_xor_b32_e32 v20, v19, v24
	v_xor3_b32 v32, v44, v26, v18
	v_mad_u64_u32 v[18:19], null, 0xcd9e8d57, v20, 0
	v_xor3_b32 v20, v28, v23, v31
	v_xor3_b32 v28, v43, v30, v27
	s_delay_alu instid0(VALU_DEP_4) | instskip(NEXT) | instid1(VALU_DEP_3)
	v_mad_u64_u32 v[26:27], null, 0xcd9e8d57, v32, 0
	v_mad_u64_u32 v[30:31], null, 0xd2511f53, v20, 0
	s_delay_alu instid0(VALU_DEP_3) | instskip(SKIP_1) | instid1(VALU_DEP_4)
	v_mad_u64_u32 v[32:33], null, 0xd2511f53, v28, 0
	v_xor3_b32 v20, v4, v19, v43
	v_xor3_b32 v43, v22, v27, v18
	s_delay_alu instid0(VALU_DEP_4) | instskip(NEXT) | instid1(VALU_DEP_3)
	v_xor3_b32 v17, v44, v31, v17
	v_mad_u64_u32 v[18:19], null, 0xd2511f53, v20, 0
	v_xor3_b32 v20, v45, v33, v30
	s_delay_alu instid0(VALU_DEP_4) | instskip(NEXT) | instid1(VALU_DEP_4)
	v_mad_u64_u32 v[27:28], null, 0xd2511f53, v43, 0
	v_mad_u64_u32 v[30:31], null, 0xcd9e8d57, v17, 0
	s_delay_alu instid0(VALU_DEP_3) | instskip(SKIP_4) | instid1(VALU_DEP_4)
	v_mad_u64_u32 v[43:44], null, 0xcd9e8d57, v20, 0
	v_xor3_b32 v19, v45, v19, v25
	v_add_nc_u32_e32 v33, 0x78dde6e4, v23
	v_xor3_b32 v25, v47, v28, v18
	v_xor3_b32 v22, v22, v31, v29
	v_mad_u64_u32 v[17:18], null, 0xcd9e8d57, v19, 0
	v_xor3_b32 v44, v46, v44, v30
	s_delay_alu instid0(VALU_DEP_4) | instskip(NEXT) | instid1(VALU_DEP_4)
	v_mad_u64_u32 v[19:20], null, 0xcd9e8d57, v25, 0
	v_mad_u64_u32 v[28:29], null, 0xd2511f53, v22, 0
	s_delay_alu instid0(VALU_DEP_3) | instskip(SKIP_1) | instid1(VALU_DEP_4)
	v_mad_u64_u32 v[30:31], null, 0xd2511f53, v44, 0
	v_xor3_b32 v22, v46, v18, v26
	v_xor3_b32 v20, v33, v20, v17
	s_delay_alu instid0(VALU_DEP_2) | instskip(SKIP_2) | instid1(VALU_DEP_4)
	v_mad_u64_u32 v[17:18], null, 0xd2511f53, v22, 0
	v_xor3_b32 v22, v47, v29, v32
	v_xor3_b32 v28, v48, v31, v28
	v_mad_u64_u32 v[31:32], null, 0xd2511f53, v20, 0
	s_delay_alu instid0(VALU_DEP_3) | instskip(NEXT) | instid1(VALU_DEP_3)
	v_mad_u64_u32 v[25:26], null, 0xcd9e8d57, v22, 0
	v_mad_u64_u32 v[44:45], null, 0xcd9e8d57, v28, 0
	v_xor3_b32 v20, v48, v18, v27
	s_delay_alu instid0(VALU_DEP_4) | instskip(SKIP_2) | instid1(VALU_DEP_4)
	v_xor3_b32 v28, v50, v32, v17
	v_add_nc_u32_e32 v22, 0xb54cda56, v23
	v_add_nc_u32_e32 v27, 0x646e171e, v24
	v_mad_u64_u32 v[17:18], null, 0xcd9e8d57, v20, 0
	v_xor3_b32 v20, v33, v26, v43
	v_xor3_b32 v29, v49, v45, v25
	v_mad_u64_u32 v[45:46], null, 0xcd9e8d57, v28, 0
	v_add_nc_u32_e32 v33, 0x5384540f, v23
	s_delay_alu instid0(VALU_DEP_4) | instskip(NEXT) | instid1(VALU_DEP_4)
	v_mad_u64_u32 v[25:26], null, 0xd2511f53, v20, 0
	v_mad_u64_u32 v[47:48], null, 0xd2511f53, v29, 0
	v_xor3_b32 v19, v49, v18, v19
	v_xor3_b32 v20, v22, v46, v17
	v_add_nc_u32_e32 v49, 0x1fd5c5a3, v24
	v_add_co_u32 v43, null, 0xf1bbcdc8, v23
	v_xor3_b32 v28, v50, v26, v30
	v_xor3_b32 v30, v27, v48, v25
	v_mad_u64_u32 v[17:18], null, 0xd2511f53, v19, 0
	v_mad_u64_u32 v[25:26], null, 0xd2511f53, v20, 0
	s_delay_alu instid0(VALU_DEP_4) | instskip(NEXT) | instid1(VALU_DEP_4)
	v_mad_u64_u32 v[19:20], null, 0xcd9e8d57, v28, 0
	v_mad_u64_u32 v[28:29], null, 0xcd9e8d57, v30, 0
	s_delay_alu instid0(VALU_DEP_4) | instskip(NEXT) | instid1(VALU_DEP_4)
	v_xor3_b32 v27, v27, v18, v31
	v_xor3_b32 v30, v49, v26, v17
	s_delay_alu instid0(VALU_DEP_4) | instskip(NEXT) | instid1(VALU_DEP_3)
	v_xor3_b32 v22, v22, v20, v44
	v_mad_u64_u32 v[17:18], null, 0xcd9e8d57, v27, 0
	v_xor3_b32 v29, v33, v29, v19
	s_delay_alu instid0(VALU_DEP_4) | instskip(NEXT) | instid1(VALU_DEP_4)
	v_mad_u64_u32 v[26:27], null, 0xcd9e8d57, v30, 0
	v_mad_u64_u32 v[19:20], null, 0xd2511f53, v22, 0
	s_delay_alu instid0(VALU_DEP_3)
	v_mad_u64_u32 v[31:32], null, 0xd2511f53, v29, 0
	v_add_nc_u32_e32 v44, 0xdb3d7428, v24
	v_xor3_b32 v18, v33, v18, v45
	v_xor3_b32 v22, v43, v27, v17
	v_add_nc_u32_e32 v45, 0x96a522ad, v24
	v_xor3_b32 v20, v49, v20, v47
	v_and_b32_e32 v24, 3, v21
	v_xor3_b32 v27, v44, v32, v19
	v_mad_u64_u32 v[29:30], null, 0xd2511f53, v18, 0
	v_mad_u64_u32 v[17:18], null, 0xd2511f53, v22, 0
	;; [unrolled: 1-line block ×3, first 2 shown]
	s_delay_alu instid0(VALU_DEP_4) | instskip(SKIP_1) | instid1(VALU_DEP_4)
	v_mad_u64_u32 v[19:20], null, 0xcd9e8d57, v27, 0
	v_add_nc_u32_e32 v27, 0x8ff34781, v23
                                        ; implicit-def: $vgpr22
	v_xor3_b32 v23, v18, v29, v45
	s_delay_alu instid0(VALU_DEP_2)
	v_xor3_b32 v18, v20, v32, v27
	v_cmpx_lt_i32_e32 1, v24
	s_xor_b32 s4, exec_lo, s4
	s_cbranch_execz .LBB42_11
; %bb.6:                                ;   in Loop: Header=BB42_3 Depth=1
	s_mov_b32 s37, exec_lo
                                        ; implicit-def: $vgpr22
	v_cmpx_lt_i32_e32 2, v24
	s_xor_b32 s37, exec_lo, s37
; %bb.7:                                ;   in Loop: Header=BB42_3 Depth=1
	v_xor3_b32 v20, v43, v33, v28
                                        ; implicit-def: $vgpr23
	s_delay_alu instid0(VALU_DEP_1) | instskip(NEXT) | instid1(VALU_DEP_1)
	v_mul_hi_u32 v20, 0xd2511f53, v20
	v_xor3_b32 v22, v20, v31, v45
; %bb.8:                                ;   in Loop: Header=BB42_3 Depth=1
	s_and_not1_saveexec_b32 s37, s37
; %bb.9:                                ;   in Loop: Header=BB42_3 Depth=1
	v_dual_mov_b32 v22, v19 :: v_dual_mov_b32 v19, v18
	v_dual_mov_b32 v18, v17 :: v_dual_mov_b32 v17, v23
; %bb.10:                               ;   in Loop: Header=BB42_3 Depth=1
	s_or_b32 exec_lo, exec_lo, s37
                                        ; implicit-def: $vgpr25_vgpr26
                                        ; implicit-def: $vgpr24
                                        ; implicit-def: $vgpr23
                                        ; implicit-def: $vgpr44
                                        ; implicit-def: $vgpr29_vgpr30
                                        ; implicit-def: $vgpr26_vgpr27
                                        ; implicit-def: $vgpr27
.LBB42_11:                              ;   in Loop: Header=BB42_3 Depth=1
	s_and_not1_saveexec_b32 s4, s4
	s_cbranch_execz .LBB42_15
; %bb.12:                               ;   in Loop: Header=BB42_3 Depth=1
	v_xor3_b32 v19, v44, v30, v25
	v_cmp_eq_u32_e32 vcc_lo, 1, v24
	v_mov_b32_e32 v22, v17
	s_delay_alu instid0(VALU_DEP_3) | instskip(SKIP_1) | instid1(VALU_DEP_2)
	v_mad_u64_u32 v[20:21], null, 0xcd9e8d57, v19, 0
	v_mov_b32_e32 v19, v23
	v_xor3_b32 v24, v21, v26, v27
	s_delay_alu instid0(VALU_DEP_3)
	v_mov_b32_e32 v21, v20
	s_and_saveexec_b32 s37, vcc_lo
; %bb.13:                               ;   in Loop: Header=BB42_3 Depth=1
	v_dual_mov_b32 v22, v18 :: v_dual_mov_b32 v19, v17
	v_dual_mov_b32 v21, v23 :: v_dual_mov_b32 v24, v20
; %bb.14:                               ;   in Loop: Header=BB42_3 Depth=1
	s_or_b32 exec_lo, exec_lo, s37
	s_delay_alu instid0(VALU_DEP_1)
	v_dual_mov_b32 v17, v24 :: v_dual_mov_b32 v18, v21
.LBB42_15:                              ;   in Loop: Header=BB42_3 Depth=1
	s_or_b32 exec_lo, exec_lo, s4
	v_min_i32_e32 v20, 4, v0
	s_mov_b32 s37, 0
	s_mov_b32 s41, 0
	s_mov_b32 s40, exec_lo
                                        ; implicit-def: $sgpr4
                                        ; implicit-def: $sgpr38
                                        ; implicit-def: $sgpr39
	s_delay_alu instid0(VALU_DEP_1)
	v_cmpx_lt_i32_e32 2, v20
	s_xor_b32 s40, exec_lo, s40
	s_cbranch_execz .LBB42_25
; %bb.16:                               ;   in Loop: Header=BB42_3 Depth=1
	s_mov_b32 s41, -1
	s_mov_b32 s39, exec_lo
                                        ; implicit-def: $sgpr38
                                        ; implicit-def: $sgpr4
	v_cmpx_lt_i32_e32 3, v20
	s_cbranch_execz .LBB42_20
; %bb.17:                               ;   in Loop: Header=BB42_3 Depth=1
	v_cmp_le_f32_e32 vcc_lo, 0, v42
	v_cmp_ge_f32_e64 s4, 1.0, v42
	s_mov_b32 s38, 0
	s_mov_b32 s41, 0
	s_delay_alu instid0(VALU_DEP_1) | instskip(NEXT) | instid1(SALU_CYCLE_1)
	s_and_b32 s42, vcc_lo, s4
	s_and_saveexec_b32 s4, s42
	s_cbranch_execz .LBB42_19
; %bb.18:                               ;   in Loop: Header=BB42_3 Depth=1
	v_add_co_u32 v21, vcc_lo, v11, s12
	v_add_co_ci_u32_e32 v23, vcc_lo, s13, v12, vcc_lo
	v_cvt_f32_u32_e32 v25, v22
	s_mov_b32 s41, exec_lo
	s_delay_alu instid0(VALU_DEP_2) | instskip(SKIP_1) | instid1(VALU_DEP_1)
	v_cndmask_b32_e64 v24, 0, v23, s3
	v_cndmask_b32_e64 v23, 0, v21, s3
	v_lshlrev_b64 v[21:22], 2, v[23:24]
	v_fmaak_f32 v23, 0x2f800000, v25, 0x2f800000
	s_delay_alu instid0(VALU_DEP_2) | instskip(NEXT) | instid1(VALU_DEP_3)
	v_add_co_u32 v21, vcc_lo, s6, v21
	v_add_co_ci_u32_e32 v22, vcc_lo, s7, v22, vcc_lo
	s_delay_alu instid0(VALU_DEP_3)
	v_cmp_le_f32_e32 vcc_lo, v23, v42
	v_cndmask_b32_e64 v23, 0, 1, vcc_lo
	global_store_b32 v[21:22], v23, off
.LBB42_19:                              ;   in Loop: Header=BB42_3 Depth=1
	s_or_b32 exec_lo, exec_lo, s4
	s_mov_b32 s4, -1
	s_or_not1_b32 s41, s41, exec_lo
.LBB42_20:                              ;   in Loop: Header=BB42_3 Depth=1
	s_or_b32 exec_lo, exec_lo, s39
	s_mov_b32 s3, 0
	s_mov_b32 s42, s38
	s_and_saveexec_b32 s39, s41
	s_cbranch_execz .LBB42_24
; %bb.21:                               ;   in Loop: Header=BB42_3 Depth=1
	v_cmp_le_f32_e32 vcc_lo, 0, v41
	v_cmp_ge_f32_e64 s3, 1.0, v41
	s_delay_alu instid0(VALU_DEP_1) | instskip(SKIP_2) | instid1(SALU_CYCLE_1)
	s_and_b32 s41, vcc_lo, s3
	s_mov_b32 s3, 0
	s_and_saveexec_b32 s42, s41
	s_xor_b32 s41, exec_lo, s42
	s_cbranch_execz .LBB42_23
; %bb.22:                               ;   in Loop: Header=BB42_3 Depth=1
	v_add_co_u32 v21, vcc_lo, v7, s12
	v_add_co_ci_u32_e32 v22, vcc_lo, s13, v8, vcc_lo
	v_cvt_f32_u32_e32 v19, v19
	s_delay_alu instid0(VALU_DEP_3) | instskip(SKIP_1) | instid1(VALU_DEP_3)
	v_cndmask_b32_e64 v21, 0, v21, s2
	s_mov_b32 s3, exec_lo
	v_cndmask_b32_e64 v22, 0, v22, s2
	s_delay_alu instid0(VALU_DEP_3) | instskip(NEXT) | instid1(VALU_DEP_2)
	v_fmaak_f32 v19, 0x2f800000, v19, 0x2f800000
	v_lshlrev_b64 v[21:22], 2, v[21:22]
	s_delay_alu instid0(VALU_DEP_1) | instskip(NEXT) | instid1(VALU_DEP_2)
	v_add_co_u32 v21, vcc_lo, s6, v21
	v_add_co_ci_u32_e32 v22, vcc_lo, s7, v22, vcc_lo
	s_delay_alu instid0(VALU_DEP_4)
	v_cmp_le_f32_e32 vcc_lo, v19, v41
	v_cndmask_b32_e64 v19, 0, 1, vcc_lo
	global_store_b32 v[21:22], v19, off
.LBB42_23:                              ;   in Loop: Header=BB42_3 Depth=1
	s_or_b32 exec_lo, exec_lo, s41
	s_delay_alu instid0(SALU_CYCLE_1)
	s_and_not1_b32 s42, s38, exec_lo
	s_or_b32 s38, s38, exec_lo
	s_and_not1_b32 s4, s4, exec_lo
	s_and_b32 s3, s3, exec_lo
.LBB42_24:                              ;   in Loop: Header=BB42_3 Depth=1
	s_or_b32 exec_lo, exec_lo, s39
	s_delay_alu instid0(SALU_CYCLE_1)
	s_and_b32 s39, s42, exec_lo
	s_and_b32 s38, s38, exec_lo
	;; [unrolled: 1-line block ×4, first 2 shown]
.LBB42_25:                              ;   in Loop: Header=BB42_3 Depth=1
	s_and_not1_saveexec_b32 s2, s40
; %bb.26:                               ;   in Loop: Header=BB42_3 Depth=1
	v_cmp_lt_i32_e32 vcc_lo, 1, v20
	s_and_not1_b32 s3, s41, exec_lo
	s_mov_b32 s37, exec_lo
	s_and_not1_b32 s39, s39, exec_lo
	s_and_not1_b32 s38, s38, exec_lo
	s_and_b32 s40, vcc_lo, exec_lo
	s_and_not1_b32 s4, s4, exec_lo
	s_or_b32 s41, s3, s40
; %bb.27:                               ;   in Loop: Header=BB42_3 Depth=1
	s_or_b32 exec_lo, exec_lo, s2
	s_mov_b32 s3, 0
	s_mov_b32 s40, 0
	;; [unrolled: 1-line block ×3, first 2 shown]
	s_and_saveexec_b32 s42, s41
	s_cbranch_execnz .LBB42_30
; %bb.28:                               ;   in Loop: Header=BB42_3 Depth=1
	s_or_b32 exec_lo, exec_lo, s42
	s_and_saveexec_b32 s1, s37
	s_cbranch_execnz .LBB42_33
.LBB42_29:                              ;   in Loop: Header=BB42_3 Depth=1
	s_or_b32 exec_lo, exec_lo, s1
	s_and_saveexec_b32 s37, s40
	s_cbranch_execnz .LBB42_34
	s_branch .LBB42_37
.LBB42_30:                              ;   in Loop: Header=BB42_3 Depth=1
	v_cmp_le_f32_e32 vcc_lo, 0, v40
	v_cmp_ge_f32_e64 s2, 1.0, v40
	s_delay_alu instid0(VALU_DEP_1) | instskip(NEXT) | instid1(SALU_CYCLE_1)
	s_and_b32 s2, vcc_lo, s2
	s_and_saveexec_b32 s41, s2
	s_delay_alu instid0(SALU_CYCLE_1)
	s_xor_b32 s2, exec_lo, s41
	s_cbranch_execz .LBB42_32
; %bb.31:                               ;   in Loop: Header=BB42_3 Depth=1
	v_add_co_u32 v19, vcc_lo, v10, s12
	v_add_co_ci_u32_e32 v21, vcc_lo, s13, v35, vcc_lo
	v_cvt_f32_u32_e32 v23, v18
	s_mov_b32 s40, exec_lo
	s_delay_alu instid0(VALU_DEP_2) | instskip(SKIP_1) | instid1(VALU_DEP_1)
	v_cndmask_b32_e64 v22, 0, v21, s1
	v_cndmask_b32_e64 v21, 0, v19, s1
	v_lshlrev_b64 v[18:19], 2, v[21:22]
	v_fmaak_f32 v21, 0x2f800000, v23, 0x2f800000
	s_delay_alu instid0(VALU_DEP_2) | instskip(NEXT) | instid1(VALU_DEP_3)
	v_add_co_u32 v18, vcc_lo, s6, v18
	v_add_co_ci_u32_e32 v19, vcc_lo, s7, v19, vcc_lo
	s_delay_alu instid0(VALU_DEP_3)
	v_cmp_le_f32_e32 vcc_lo, v21, v40
	v_cndmask_b32_e64 v21, 0, 1, vcc_lo
	global_store_b32 v[18:19], v21, off
.LBB42_32:                              ;   in Loop: Header=BB42_3 Depth=1
	s_or_b32 exec_lo, exec_lo, s2
	s_delay_alu instid0(SALU_CYCLE_1)
	s_and_not1_b32 s2, s39, exec_lo
	s_or_b32 s39, s39, exec_lo
	s_and_not1_b32 s38, s38, exec_lo
	s_and_not1_b32 s4, s4, exec_lo
	s_and_b32 s40, s40, exec_lo
	s_and_not1_b32 s37, s37, exec_lo
	s_or_b32 exec_lo, exec_lo, s42
	s_and_saveexec_b32 s1, s37
	s_cbranch_execz .LBB42_29
.LBB42_33:                              ;   in Loop: Header=BB42_3 Depth=1
	v_cmp_eq_u32_e32 vcc_lo, 1, v20
	s_and_not1_b32 s37, s40, exec_lo
	s_mov_b32 s3, exec_lo
	s_and_not1_b32 s2, s2, exec_lo
	s_and_not1_b32 s39, s39, exec_lo
	s_and_b32 s40, vcc_lo, exec_lo
	s_and_not1_b32 s38, s38, exec_lo
	s_and_not1_b32 s4, s4, exec_lo
	s_or_b32 s40, s37, s40
	s_or_b32 exec_lo, exec_lo, s1
	s_and_saveexec_b32 s37, s40
	s_cbranch_execz .LBB42_37
.LBB42_34:                              ;   in Loop: Header=BB42_3 Depth=1
	v_cmp_le_f32_e32 vcc_lo, 0, v39
	v_cmp_ge_f32_e64 s1, 1.0, v39
	s_delay_alu instid0(VALU_DEP_1)
	s_and_b32 s41, vcc_lo, s1
	s_mov_b32 s1, 0
	s_and_saveexec_b32 s40, s41
	s_cbranch_execz .LBB42_36
; %bb.35:                               ;   in Loop: Header=BB42_3 Depth=1
	v_add_co_u32 v18, vcc_lo, v5, s12
	v_add_co_ci_u32_e32 v19, vcc_lo, s13, v6, vcc_lo
	v_cvt_f32_u32_e32 v20, v17
	s_delay_alu instid0(VALU_DEP_3) | instskip(SKIP_1) | instid1(VALU_DEP_3)
	v_cndmask_b32_e64 v18, 0, v18, s0
	s_mov_b32 s1, exec_lo
	v_cndmask_b32_e64 v19, 0, v19, s0
	s_delay_alu instid0(VALU_DEP_1) | instskip(SKIP_1) | instid1(VALU_DEP_2)
	v_lshlrev_b64 v[17:18], 2, v[18:19]
	v_fmaak_f32 v19, 0x2f800000, v20, 0x2f800000
	v_add_co_u32 v17, vcc_lo, s6, v17
	s_delay_alu instid0(VALU_DEP_3) | instskip(NEXT) | instid1(VALU_DEP_3)
	v_add_co_ci_u32_e32 v18, vcc_lo, s7, v18, vcc_lo
	v_cmp_le_f32_e32 vcc_lo, v19, v39
	v_cndmask_b32_e64 v19, 0, 1, vcc_lo
	global_store_b32 v[17:18], v19, off
.LBB42_36:                              ;   in Loop: Header=BB42_3 Depth=1
	s_or_b32 exec_lo, exec_lo, s40
	s_delay_alu instid0(SALU_CYCLE_1)
	s_and_not1_b32 s0, s3, exec_lo
	s_and_b32 s1, s1, exec_lo
	s_or_b32 s2, s2, exec_lo
	s_and_not1_b32 s39, s39, exec_lo
	s_and_not1_b32 s38, s38, exec_lo
	;; [unrolled: 1-line block ×3, first 2 shown]
	s_or_b32 s3, s0, s1
.LBB42_37:                              ;   in Loop: Header=BB42_3 Depth=1
	s_or_b32 exec_lo, exec_lo, s37
	s_delay_alu instid0(SALU_CYCLE_1)
	s_and_not1_b32 s1, s36, exec_lo
	s_and_b32 s2, s2, exec_lo
	s_and_not1_b32 s34, s34, exec_lo
	s_and_b32 s37, s39, exec_lo
	s_or_b32 s36, s1, s2
	s_and_not1_b32 s1, s35, exec_lo
	s_and_b32 s2, s38, exec_lo
	s_and_not1_b32 s33, s33, exec_lo
	s_and_b32 s4, s4, exec_lo
	s_mov_b32 s0, -1
	s_or_b32 s34, s34, s37
	s_or_b32 s35, s1, s2
	;; [unrolled: 1-line block ×3, first 2 shown]
	s_and_saveexec_b32 s1, s3
	s_cbranch_execz .LBB42_2
; %bb.38:                               ;   in Loop: Header=BB42_3 Depth=1
	v_add_co_u32 v2, vcc_lo, v2, s15
	v_add_co_ci_u32_e32 v3, vcc_lo, 0, v3, vcc_lo
	v_subrev_nc_u32_e32 v0, s15, v0
	s_add_u32 s12, s12, s25
	s_addc_u32 s13, s13, s24
	s_delay_alu instid0(VALU_DEP_2)
	v_cmp_le_u64_e32 vcc_lo, s[16:17], v[2:3]
	s_add_u32 s10, s10, s28
	s_addc_u32 s11, s11, s27
	s_and_not1_b32 s36, s36, exec_lo
	s_and_not1_b32 s34, s34, exec_lo
	;; [unrolled: 1-line block ×4, first 2 shown]
	s_or_not1_b32 s0, vcc_lo, exec_lo
	s_branch .LBB42_2
.LBB42_39:
	s_or_b32 exec_lo, exec_lo, s5
	s_xor_b32 s3, s30, -1
	s_xor_b32 s4, s31, -1
	;; [unrolled: 1-line block ×3, first 2 shown]
	s_mov_b32 s1, 0
	s_and_saveexec_b32 s2, s0
	s_delay_alu instid0(SALU_CYCLE_1)
	s_xor_b32 s0, exec_lo, s2
	s_cbranch_execz .LBB42_48
; %bb.40:
	s_mov_b32 s2, 0
	s_and_saveexec_b32 s1, s4
	s_delay_alu instid0(SALU_CYCLE_1)
	s_xor_b32 s1, exec_lo, s1
	s_cbranch_execz .LBB42_46
; %bb.41:
	s_and_saveexec_b32 s4, s3
	s_delay_alu instid0(SALU_CYCLE_1)
	s_xor_b32 s3, exec_lo, s4
	s_cbranch_execz .LBB42_44
; %bb.42:
	s_and_saveexec_b32 s4, s26
	s_delay_alu instid0(SALU_CYCLE_1)
	s_xor_b32 s4, exec_lo, s4
	s_cbranch_execnz .LBB42_62
.LBB42_43:
	s_or_b32 exec_lo, exec_lo, s4
	s_delay_alu instid0(SALU_CYCLE_1)
	s_and_b32 s2, s2, exec_lo
.LBB42_44:
	s_and_not1_saveexec_b32 s3, s3
	s_cbranch_execnz .LBB42_58
.LBB42_45:
	s_or_b32 exec_lo, exec_lo, s3
	s_delay_alu instid0(SALU_CYCLE_1)
	s_and_b32 s2, s2, exec_lo
.LBB42_46:
	s_and_not1_saveexec_b32 s1, s1
	s_cbranch_execnz .LBB42_54
.LBB42_47:
	s_or_b32 exec_lo, exec_lo, s1
	s_delay_alu instid0(SALU_CYCLE_1)
	s_and_b32 s1, s2, exec_lo
.LBB42_48:
	s_and_not1_saveexec_b32 s0, s0
	s_cbranch_execnz .LBB42_52
; %bb.49:
	s_or_b32 exec_lo, exec_lo, s0
	s_delay_alu instid0(SALU_CYCLE_1)
	s_and_b32 exec_lo, exec_lo, s1
.LBB42_50:
	; divergent unreachable
.LBB42_51:
	s_nop 0
	s_sendmsg sendmsg(MSG_DEALLOC_VGPRS)
	s_endpgm
.LBB42_52:
	s_cbranch_execnz .LBB42_56
; %bb.53:
	s_or_b32 s1, s1, exec_lo
	s_or_b32 exec_lo, exec_lo, s0
	s_delay_alu instid0(SALU_CYCLE_1)
	s_and_b32 exec_lo, exec_lo, s1
	s_cbranch_execnz .LBB42_50
	s_branch .LBB42_51
.LBB42_54:
	s_cbranch_execnz .LBB42_60
; %bb.55:
	s_or_b32 s2, s2, exec_lo
	s_branch .LBB42_47
.LBB42_56:
	s_trap 2
	s_sendmsg_rtn_b32 s0, sendmsg(MSG_RTN_GET_DOORBELL)
	s_mov_b32 ttmp2, m0
	s_waitcnt lgkmcnt(0)
	s_and_b32 s0, s0, 0x3ff
	s_delay_alu instid0(SALU_CYCLE_1) | instskip(NEXT) | instid1(SALU_CYCLE_1)
	s_bitset1_b32 s0, 10
	s_mov_b32 m0, s0
	s_sendmsg sendmsg(MSG_INTERRUPT)
	s_mov_b32 m0, ttmp2
.LBB42_57:                              ; =>This Inner Loop Header: Depth=1
	s_sethalt 5
	s_branch .LBB42_57
.LBB42_58:
	s_cbranch_execnz .LBB42_64
; %bb.59:
	s_or_b32 s2, s2, exec_lo
	s_branch .LBB42_45
.LBB42_60:
	s_trap 2
	s_sendmsg_rtn_b32 s0, sendmsg(MSG_RTN_GET_DOORBELL)
	s_mov_b32 ttmp2, m0
	s_waitcnt lgkmcnt(0)
	s_and_b32 s0, s0, 0x3ff
	s_delay_alu instid0(SALU_CYCLE_1) | instskip(NEXT) | instid1(SALU_CYCLE_1)
	s_bitset1_b32 s0, 10
	s_mov_b32 m0, s0
	s_sendmsg sendmsg(MSG_INTERRUPT)
	s_mov_b32 m0, ttmp2
.LBB42_61:                              ; =>This Inner Loop Header: Depth=1
	s_sethalt 5
	s_branch .LBB42_61
.LBB42_62:
	s_cbranch_execnz .LBB42_66
; %bb.63:
	s_mov_b32 s2, exec_lo
	s_branch .LBB42_43
.LBB42_64:
	s_trap 2
	s_sendmsg_rtn_b32 s0, sendmsg(MSG_RTN_GET_DOORBELL)
	s_mov_b32 ttmp2, m0
	s_waitcnt lgkmcnt(0)
	s_and_b32 s0, s0, 0x3ff
	s_delay_alu instid0(SALU_CYCLE_1) | instskip(NEXT) | instid1(SALU_CYCLE_1)
	s_bitset1_b32 s0, 10
	s_mov_b32 m0, s0
	s_sendmsg sendmsg(MSG_INTERRUPT)
	s_mov_b32 m0, ttmp2
.LBB42_65:                              ; =>This Inner Loop Header: Depth=1
	s_sethalt 5
	s_branch .LBB42_65
.LBB42_66:
	s_trap 2
	s_sendmsg_rtn_b32 s0, sendmsg(MSG_RTN_GET_DOORBELL)
	s_mov_b32 ttmp2, m0
	s_waitcnt lgkmcnt(0)
	s_and_b32 s0, s0, 0x3ff
	s_delay_alu instid0(SALU_CYCLE_1) | instskip(NEXT) | instid1(SALU_CYCLE_1)
	s_bitset1_b32 s0, 10
	s_mov_b32 m0, s0
	s_sendmsg sendmsg(MSG_INTERRUPT)
	s_mov_b32 m0, ttmp2
.LBB42_67:                              ; =>This Inner Loop Header: Depth=1
	s_sethalt 5
	s_branch .LBB42_67
	.section	.rodata,"a",@progbits
	.p2align	6, 0x0
	.amdhsa_kernel _ZN2at4cuda12_GLOBAL__N_121kernelPointwiseApply2IZNS_6native9templates4cuda28bernoulli_tensor_cuda_kernelIifEEvRKNS_10TensorBaseES9_NS_15PhiloxCudaStateEEUliRiSB_SB_SB_RKfSD_SD_SD_E_iSC_mLi1ELi1ELi4ELi512ELi2EEEvNS0_6detail10TensorInfoIT0_T2_EENSG_IT1_SI_EESI_T_
		.amdhsa_group_segment_fixed_size 0
		.amdhsa_private_segment_fixed_size 0
		.amdhsa_kernarg_size 1128
		.amdhsa_user_sgpr_count 15
		.amdhsa_user_sgpr_dispatch_ptr 0
		.amdhsa_user_sgpr_queue_ptr 0
		.amdhsa_user_sgpr_kernarg_segment_ptr 1
		.amdhsa_user_sgpr_dispatch_id 0
		.amdhsa_user_sgpr_private_segment_size 0
		.amdhsa_wavefront_size32 1
		.amdhsa_uses_dynamic_stack 0
		.amdhsa_enable_private_segment 0
		.amdhsa_system_sgpr_workgroup_id_x 1
		.amdhsa_system_sgpr_workgroup_id_y 0
		.amdhsa_system_sgpr_workgroup_id_z 0
		.amdhsa_system_sgpr_workgroup_info 0
		.amdhsa_system_vgpr_workitem_id 0
		.amdhsa_next_free_vgpr 51
		.amdhsa_next_free_sgpr 43
		.amdhsa_reserve_vcc 1
		.amdhsa_float_round_mode_32 0
		.amdhsa_float_round_mode_16_64 0
		.amdhsa_float_denorm_mode_32 3
		.amdhsa_float_denorm_mode_16_64 3
		.amdhsa_dx10_clamp 1
		.amdhsa_ieee_mode 1
		.amdhsa_fp16_overflow 0
		.amdhsa_workgroup_processor_mode 1
		.amdhsa_memory_ordered 1
		.amdhsa_forward_progress 0
		.amdhsa_shared_vgpr_count 0
		.amdhsa_exception_fp_ieee_invalid_op 0
		.amdhsa_exception_fp_denorm_src 0
		.amdhsa_exception_fp_ieee_div_zero 0
		.amdhsa_exception_fp_ieee_overflow 0
		.amdhsa_exception_fp_ieee_underflow 0
		.amdhsa_exception_fp_ieee_inexact 0
		.amdhsa_exception_int_div_zero 0
	.end_amdhsa_kernel
	.section	.text._ZN2at4cuda12_GLOBAL__N_121kernelPointwiseApply2IZNS_6native9templates4cuda28bernoulli_tensor_cuda_kernelIifEEvRKNS_10TensorBaseES9_NS_15PhiloxCudaStateEEUliRiSB_SB_SB_RKfSD_SD_SD_E_iSC_mLi1ELi1ELi4ELi512ELi2EEEvNS0_6detail10TensorInfoIT0_T2_EENSG_IT1_SI_EESI_T_,"axG",@progbits,_ZN2at4cuda12_GLOBAL__N_121kernelPointwiseApply2IZNS_6native9templates4cuda28bernoulli_tensor_cuda_kernelIifEEvRKNS_10TensorBaseES9_NS_15PhiloxCudaStateEEUliRiSB_SB_SB_RKfSD_SD_SD_E_iSC_mLi1ELi1ELi4ELi512ELi2EEEvNS0_6detail10TensorInfoIT0_T2_EENSG_IT1_SI_EESI_T_,comdat
.Lfunc_end42:
	.size	_ZN2at4cuda12_GLOBAL__N_121kernelPointwiseApply2IZNS_6native9templates4cuda28bernoulli_tensor_cuda_kernelIifEEvRKNS_10TensorBaseES9_NS_15PhiloxCudaStateEEUliRiSB_SB_SB_RKfSD_SD_SD_E_iSC_mLi1ELi1ELi4ELi512ELi2EEEvNS0_6detail10TensorInfoIT0_T2_EENSG_IT1_SI_EESI_T_, .Lfunc_end42-_ZN2at4cuda12_GLOBAL__N_121kernelPointwiseApply2IZNS_6native9templates4cuda28bernoulli_tensor_cuda_kernelIifEEvRKNS_10TensorBaseES9_NS_15PhiloxCudaStateEEUliRiSB_SB_SB_RKfSD_SD_SD_E_iSC_mLi1ELi1ELi4ELi512ELi2EEEvNS0_6detail10TensorInfoIT0_T2_EENSG_IT1_SI_EESI_T_
                                        ; -- End function
	.section	.AMDGPU.csdata,"",@progbits
; Kernel info:
; codeLenInByte = 3520
; NumSgprs: 45
; NumVgprs: 51
; ScratchSize: 0
; MemoryBound: 0
; FloatMode: 240
; IeeeMode: 1
; LDSByteSize: 0 bytes/workgroup (compile time only)
; SGPRBlocks: 5
; VGPRBlocks: 6
; NumSGPRsForWavesPerEU: 45
; NumVGPRsForWavesPerEU: 51
; Occupancy: 16
; WaveLimiterHint : 1
; COMPUTE_PGM_RSRC2:SCRATCH_EN: 0
; COMPUTE_PGM_RSRC2:USER_SGPR: 15
; COMPUTE_PGM_RSRC2:TRAP_HANDLER: 0
; COMPUTE_PGM_RSRC2:TGID_X_EN: 1
; COMPUTE_PGM_RSRC2:TGID_Y_EN: 0
; COMPUTE_PGM_RSRC2:TGID_Z_EN: 0
; COMPUTE_PGM_RSRC2:TIDIG_COMP_CNT: 0
	.section	.text._ZN2at4cuda12_GLOBAL__N_121kernelPointwiseApply2IZNS_6native9templates4cuda28bernoulli_tensor_cuda_kernelIifEEvRKNS_10TensorBaseES9_NS_15PhiloxCudaStateEEUliRiSB_SB_SB_RKfSD_SD_SD_E_iSC_mLin1ELin1ELi4ELi512ELi2EEEvNS0_6detail10TensorInfoIT0_T2_EENSG_IT1_SI_EESI_T_,"axG",@progbits,_ZN2at4cuda12_GLOBAL__N_121kernelPointwiseApply2IZNS_6native9templates4cuda28bernoulli_tensor_cuda_kernelIifEEvRKNS_10TensorBaseES9_NS_15PhiloxCudaStateEEUliRiSB_SB_SB_RKfSD_SD_SD_E_iSC_mLin1ELin1ELi4ELi512ELi2EEEvNS0_6detail10TensorInfoIT0_T2_EENSG_IT1_SI_EESI_T_,comdat
	.globl	_ZN2at4cuda12_GLOBAL__N_121kernelPointwiseApply2IZNS_6native9templates4cuda28bernoulli_tensor_cuda_kernelIifEEvRKNS_10TensorBaseES9_NS_15PhiloxCudaStateEEUliRiSB_SB_SB_RKfSD_SD_SD_E_iSC_mLin1ELin1ELi4ELi512ELi2EEEvNS0_6detail10TensorInfoIT0_T2_EENSG_IT1_SI_EESI_T_ ; -- Begin function _ZN2at4cuda12_GLOBAL__N_121kernelPointwiseApply2IZNS_6native9templates4cuda28bernoulli_tensor_cuda_kernelIifEEvRKNS_10TensorBaseES9_NS_15PhiloxCudaStateEEUliRiSB_SB_SB_RKfSD_SD_SD_E_iSC_mLin1ELin1ELi4ELi512ELi2EEEvNS0_6detail10TensorInfoIT0_T2_EENSG_IT1_SI_EESI_T_
	.p2align	8
	.type	_ZN2at4cuda12_GLOBAL__N_121kernelPointwiseApply2IZNS_6native9templates4cuda28bernoulli_tensor_cuda_kernelIifEEvRKNS_10TensorBaseES9_NS_15PhiloxCudaStateEEUliRiSB_SB_SB_RKfSD_SD_SD_E_iSC_mLin1ELin1ELi4ELi512ELi2EEEvNS0_6detail10TensorInfoIT0_T2_EENSG_IT1_SI_EESI_T_,@function
_ZN2at4cuda12_GLOBAL__N_121kernelPointwiseApply2IZNS_6native9templates4cuda28bernoulli_tensor_cuda_kernelIifEEvRKNS_10TensorBaseES9_NS_15PhiloxCudaStateEEUliRiSB_SB_SB_RKfSD_SD_SD_E_iSC_mLin1ELin1ELi4ELi512ELi2EEEvNS0_6detail10TensorInfoIT0_T2_EENSG_IT1_SI_EESI_T_: ; @_ZN2at4cuda12_GLOBAL__N_121kernelPointwiseApply2IZNS_6native9templates4cuda28bernoulli_tensor_cuda_kernelIifEEvRKNS_10TensorBaseES9_NS_15PhiloxCudaStateEEUliRiSB_SB_SB_RKfSD_SD_SD_E_iSC_mLin1ELin1ELi4ELi512ELi2EEEvNS0_6detail10TensorInfoIT0_T2_EENSG_IT1_SI_EESI_T_
; %bb.0:
	s_clause 0x1
	s_load_b32 s12, s[0:1], 0x374
	s_load_b256 s[4:11], s[0:1], 0x340
	s_add_u32 s2, s0, 0x368
	s_addc_u32 s3, s1, 0
	s_waitcnt lgkmcnt(0)
	s_and_b32 s18, s12, 0xffff
	s_mov_b32 s12, exec_lo
	v_mad_u64_u32 v[1:2], null, s15, s18, v[0:1]
	v_mov_b32_e32 v2, 0
	s_delay_alu instid0(VALU_DEP_1) | instskip(NEXT) | instid1(VALU_DEP_1)
	v_dual_mov_b32 v5, v2 :: v_dual_lshlrev_b32 v4, 2, v1
	v_cmpx_gt_u64_e64 s[4:5], v[4:5]
	s_cbranch_execz .LBB43_122
; %bb.1:
	s_clause 0x2
	s_load_b32 s22, s[0:1], 0x198
	s_load_b32 s23, s[0:1], 0x338
	;; [unrolled: 1-line block ×4, first 2 shown]
	s_add_u32 s24, s0, 0x1a0
	s_addc_u32 s25, s1, 0
	s_clause 0x3
	s_load_b64 s[2:3], s[0:1], 0x270
	s_load_b64 s[12:13], s[0:1], 0x1a0
	;; [unrolled: 1-line block ×4, first 2 shown]
	s_mov_b32 s19, 0
	v_mad_u64_u32 v[6:7], null, 0xcd9e8d57, v1, 0
                                        ; implicit-def: $sgpr35
                                        ; implicit-def: $sgpr37
                                        ; implicit-def: $sgpr36
                                        ; implicit-def: $sgpr38
                                        ; implicit-def: $sgpr40
                                        ; implicit-def: $sgpr39
                                        ; implicit-def: $sgpr41
	s_delay_alu instid0(VALU_DEP_1)
	v_mov_b32_e32 v0, v7
	s_waitcnt lgkmcnt(0)
	s_cmp_gt_i32 s22, 1
	s_cselect_b32 s28, -1, 0
	s_cmp_gt_i32 s23, 1
	s_mul_i32 s21, s21, s18
	s_cselect_b32 s29, -1, 0
	s_bitcmp1_b32 s20, 0
	s_cselect_b32 s30, -1, 0
	s_add_i32 s18, s22, -1
	s_lshl_b32 s31, s21, 2
	s_lshl_b64 s[20:21], s[18:19], 3
	s_add_i32 s33, s22, 1
	s_add_u32 s0, s20, s0
	s_addc_u32 s1, s21, s1
	s_add_u32 s20, s0, 8
	s_addc_u32 s21, s1, 0
	s_add_i32 s18, s23, -1
	s_add_i32 s34, s23, 1
	s_lshl_b64 s[0:1], s[18:19], 3
                                        ; implicit-def: $sgpr18
	s_delay_alu instid0(SALU_CYCLE_1)
	s_add_u32 s0, s0, s24
	s_addc_u32 s1, s1, s25
	s_add_u32 s22, s0, 8
	s_addc_u32 s23, s1, 0
	s_branch .LBB43_3
.LBB43_2:                               ;   in Loop: Header=BB43_3 Depth=1
	s_or_b32 exec_lo, exec_lo, s1
	s_delay_alu instid0(SALU_CYCLE_1) | instskip(NEXT) | instid1(SALU_CYCLE_1)
	s_and_b32 s0, exec_lo, s0
	s_or_b32 s19, s0, s19
	s_and_not1_b32 s0, s18, exec_lo
	s_and_b32 s1, s41, exec_lo
	s_and_not1_b32 s24, s36, exec_lo
	s_and_b32 s25, s39, exec_lo
	s_or_b32 s18, s0, s1
	s_or_b32 s36, s24, s25
	s_and_not1_b32 s0, s37, exec_lo
	s_and_b32 s1, s40, exec_lo
	s_and_not1_b32 s24, s35, exec_lo
	s_and_b32 s25, s38, exec_lo
	s_or_b32 s37, s0, s1
	s_or_b32 s35, s24, s25
	s_and_not1_b32 exec_lo, exec_lo, s19
	s_cbranch_execz .LBB43_110
.LBB43_3:                               ; =>This Loop Header: Depth=1
                                        ;     Child Loop BB43_5 Depth 2
                                        ;     Child Loop BB43_14 Depth 2
	;; [unrolled: 1-line block ×8, first 2 shown]
	v_sub_nc_u32_e32 v32, s4, v4
	v_mov_b32_e32 v7, 0
	v_mov_b32_e32 v8, 0
	s_delay_alu instid0(VALU_DEP_3) | instskip(NEXT) | instid1(VALU_DEP_1)
	v_cmp_lt_i32_e64 s0, 0, v32
	s_and_saveexec_b32 s42, s0
	s_cbranch_execz .LBB43_12
; %bb.4:                                ;   in Loop: Header=BB43_3 Depth=1
	v_dual_mov_b32 v9, 0 :: v_dual_mov_b32 v8, v5
	v_dual_mov_b32 v10, 0 :: v_dual_mov_b32 v7, v4
	;; [unrolled: 1-line block ×3, first 2 shown]
	s_and_not1_b32 vcc_lo, exec_lo, s28
	s_mov_b64 s[24:25], s[20:21]
	s_mov_b32 s43, s33
	s_cbranch_vccnz .LBB43_11
.LBB43_5:                               ;   Parent Loop BB43_3 Depth=1
                                        ; =>  This Inner Loop Header: Depth=2
	s_load_b64 s[26:27], s[24:25], 0x0
                                        ; implicit-def: $vgpr11_vgpr12
	s_mov_b32 s1, exec_lo
	s_waitcnt lgkmcnt(0)
	v_or_b32_e32 v3, s27, v8
	s_delay_alu instid0(VALU_DEP_1)
	v_cmpx_ne_u64_e32 0, v[2:3]
	s_xor_b32 s44, exec_lo, s1
	s_cbranch_execz .LBB43_7
; %bb.6:                                ;   in Loop: Header=BB43_5 Depth=2
	v_cvt_f32_u32_e32 v3, s26
	v_cvt_f32_u32_e32 v11, s27
	s_sub_u32 s1, 0, s26
	s_subb_u32 s45, 0, s27
	s_delay_alu instid0(VALU_DEP_1) | instskip(NEXT) | instid1(VALU_DEP_1)
	v_fmac_f32_e32 v3, 0x4f800000, v11
	v_rcp_f32_e32 v3, v3
	s_waitcnt_depctr 0xfff
	v_mul_f32_e32 v3, 0x5f7ffffc, v3
	s_delay_alu instid0(VALU_DEP_1) | instskip(NEXT) | instid1(VALU_DEP_1)
	v_mul_f32_e32 v11, 0x2f800000, v3
	v_trunc_f32_e32 v11, v11
	s_delay_alu instid0(VALU_DEP_1) | instskip(SKIP_1) | instid1(VALU_DEP_2)
	v_fmac_f32_e32 v3, 0xcf800000, v11
	v_cvt_u32_f32_e32 v11, v11
	v_cvt_u32_f32_e32 v3, v3
	s_delay_alu instid0(VALU_DEP_2) | instskip(NEXT) | instid1(VALU_DEP_2)
	v_mul_lo_u32 v12, s1, v11
	v_mul_hi_u32 v13, s1, v3
	v_mul_lo_u32 v14, s45, v3
	s_delay_alu instid0(VALU_DEP_2) | instskip(SKIP_1) | instid1(VALU_DEP_2)
	v_add_nc_u32_e32 v12, v13, v12
	v_mul_lo_u32 v13, s1, v3
	v_add_nc_u32_e32 v12, v12, v14
	s_delay_alu instid0(VALU_DEP_2) | instskip(NEXT) | instid1(VALU_DEP_2)
	v_mul_hi_u32 v14, v3, v13
	v_mul_lo_u32 v15, v3, v12
	v_mul_hi_u32 v16, v3, v12
	v_mul_hi_u32 v17, v11, v13
	v_mul_lo_u32 v13, v11, v13
	v_mul_hi_u32 v18, v11, v12
	v_mul_lo_u32 v12, v11, v12
	v_add_co_u32 v14, vcc_lo, v14, v15
	v_add_co_ci_u32_e32 v15, vcc_lo, 0, v16, vcc_lo
	s_delay_alu instid0(VALU_DEP_2) | instskip(NEXT) | instid1(VALU_DEP_2)
	v_add_co_u32 v13, vcc_lo, v14, v13
	v_add_co_ci_u32_e32 v13, vcc_lo, v15, v17, vcc_lo
	v_add_co_ci_u32_e32 v14, vcc_lo, 0, v18, vcc_lo
	s_delay_alu instid0(VALU_DEP_2) | instskip(NEXT) | instid1(VALU_DEP_2)
	v_add_co_u32 v12, vcc_lo, v13, v12
	v_add_co_ci_u32_e32 v13, vcc_lo, 0, v14, vcc_lo
	s_delay_alu instid0(VALU_DEP_2) | instskip(NEXT) | instid1(VALU_DEP_2)
	v_add_co_u32 v3, vcc_lo, v3, v12
	v_add_co_ci_u32_e32 v11, vcc_lo, v11, v13, vcc_lo
	s_delay_alu instid0(VALU_DEP_2) | instskip(SKIP_1) | instid1(VALU_DEP_3)
	v_mul_hi_u32 v12, s1, v3
	v_mul_lo_u32 v14, s45, v3
	v_mul_lo_u32 v13, s1, v11
	s_delay_alu instid0(VALU_DEP_1) | instskip(SKIP_1) | instid1(VALU_DEP_2)
	v_add_nc_u32_e32 v12, v12, v13
	v_mul_lo_u32 v13, s1, v3
	v_add_nc_u32_e32 v12, v12, v14
	s_delay_alu instid0(VALU_DEP_2) | instskip(NEXT) | instid1(VALU_DEP_2)
	v_mul_hi_u32 v14, v3, v13
	v_mul_lo_u32 v15, v3, v12
	v_mul_hi_u32 v16, v3, v12
	v_mul_hi_u32 v17, v11, v13
	v_mul_lo_u32 v13, v11, v13
	v_mul_hi_u32 v18, v11, v12
	v_mul_lo_u32 v12, v11, v12
	v_add_co_u32 v14, vcc_lo, v14, v15
	v_add_co_ci_u32_e32 v15, vcc_lo, 0, v16, vcc_lo
	s_delay_alu instid0(VALU_DEP_2) | instskip(NEXT) | instid1(VALU_DEP_2)
	v_add_co_u32 v13, vcc_lo, v14, v13
	v_add_co_ci_u32_e32 v13, vcc_lo, v15, v17, vcc_lo
	v_add_co_ci_u32_e32 v14, vcc_lo, 0, v18, vcc_lo
	s_delay_alu instid0(VALU_DEP_2) | instskip(NEXT) | instid1(VALU_DEP_2)
	v_add_co_u32 v12, vcc_lo, v13, v12
	v_add_co_ci_u32_e32 v13, vcc_lo, 0, v14, vcc_lo
	s_delay_alu instid0(VALU_DEP_2) | instskip(NEXT) | instid1(VALU_DEP_2)
	v_add_co_u32 v3, vcc_lo, v3, v12
	v_add_co_ci_u32_e32 v17, vcc_lo, v11, v13, vcc_lo
	s_delay_alu instid0(VALU_DEP_2) | instskip(SKIP_1) | instid1(VALU_DEP_3)
	v_mul_hi_u32 v18, v7, v3
	v_mad_u64_u32 v[13:14], null, v8, v3, 0
	v_mad_u64_u32 v[11:12], null, v7, v17, 0
	;; [unrolled: 1-line block ×3, first 2 shown]
	s_delay_alu instid0(VALU_DEP_2) | instskip(NEXT) | instid1(VALU_DEP_3)
	v_add_co_u32 v3, vcc_lo, v18, v11
	v_add_co_ci_u32_e32 v11, vcc_lo, 0, v12, vcc_lo
	s_delay_alu instid0(VALU_DEP_2) | instskip(NEXT) | instid1(VALU_DEP_2)
	v_add_co_u32 v3, vcc_lo, v3, v13
	v_add_co_ci_u32_e32 v3, vcc_lo, v11, v14, vcc_lo
	v_add_co_ci_u32_e32 v11, vcc_lo, 0, v16, vcc_lo
	s_delay_alu instid0(VALU_DEP_2) | instskip(NEXT) | instid1(VALU_DEP_2)
	v_add_co_u32 v3, vcc_lo, v3, v15
	v_add_co_ci_u32_e32 v13, vcc_lo, 0, v11, vcc_lo
	s_delay_alu instid0(VALU_DEP_2) | instskip(SKIP_1) | instid1(VALU_DEP_3)
	v_mul_lo_u32 v14, s27, v3
	v_mad_u64_u32 v[11:12], null, s26, v3, 0
	v_mul_lo_u32 v15, s26, v13
	s_delay_alu instid0(VALU_DEP_2) | instskip(NEXT) | instid1(VALU_DEP_2)
	v_sub_co_u32 v11, vcc_lo, v7, v11
	v_add3_u32 v12, v12, v15, v14
	s_delay_alu instid0(VALU_DEP_1) | instskip(NEXT) | instid1(VALU_DEP_1)
	v_sub_nc_u32_e32 v14, v8, v12
	v_subrev_co_ci_u32_e64 v14, s1, s27, v14, vcc_lo
	v_add_co_u32 v15, s1, v3, 2
	s_delay_alu instid0(VALU_DEP_1) | instskip(SKIP_3) | instid1(VALU_DEP_3)
	v_add_co_ci_u32_e64 v16, s1, 0, v13, s1
	v_sub_co_u32 v17, s1, v11, s26
	v_sub_co_ci_u32_e32 v12, vcc_lo, v8, v12, vcc_lo
	v_subrev_co_ci_u32_e64 v14, s1, 0, v14, s1
	v_cmp_le_u32_e32 vcc_lo, s26, v17
	s_delay_alu instid0(VALU_DEP_3) | instskip(SKIP_1) | instid1(VALU_DEP_4)
	v_cmp_eq_u32_e64 s1, s27, v12
	v_cndmask_b32_e64 v17, 0, -1, vcc_lo
	v_cmp_le_u32_e32 vcc_lo, s27, v14
	v_cndmask_b32_e64 v18, 0, -1, vcc_lo
	v_cmp_le_u32_e32 vcc_lo, s26, v11
	;; [unrolled: 2-line block ×3, first 2 shown]
	v_cndmask_b32_e64 v19, 0, -1, vcc_lo
	v_cmp_eq_u32_e32 vcc_lo, s27, v14
	s_delay_alu instid0(VALU_DEP_2) | instskip(SKIP_3) | instid1(VALU_DEP_3)
	v_cndmask_b32_e64 v11, v19, v11, s1
	v_cndmask_b32_e32 v14, v18, v17, vcc_lo
	v_add_co_u32 v17, vcc_lo, v3, 1
	v_add_co_ci_u32_e32 v18, vcc_lo, 0, v13, vcc_lo
	v_cmp_ne_u32_e32 vcc_lo, 0, v14
	s_delay_alu instid0(VALU_DEP_3) | instskip(NEXT) | instid1(VALU_DEP_3)
	v_cndmask_b32_e32 v14, v17, v15, vcc_lo
	v_cndmask_b32_e32 v12, v18, v16, vcc_lo
	v_cmp_ne_u32_e32 vcc_lo, 0, v11
	s_delay_alu instid0(VALU_DEP_2)
	v_dual_cndmask_b32 v11, v3, v14 :: v_dual_cndmask_b32 v12, v13, v12
.LBB43_7:                               ;   in Loop: Header=BB43_5 Depth=2
	s_and_not1_saveexec_b32 s1, s44
	s_cbranch_execz .LBB43_9
; %bb.8:                                ;   in Loop: Header=BB43_5 Depth=2
	v_cvt_f32_u32_e32 v3, s26
	s_sub_i32 s44, 0, s26
	s_delay_alu instid0(VALU_DEP_1) | instskip(SKIP_2) | instid1(VALU_DEP_1)
	v_rcp_iflag_f32_e32 v3, v3
	s_waitcnt_depctr 0xfff
	v_mul_f32_e32 v3, 0x4f7ffffe, v3
	v_cvt_u32_f32_e32 v3, v3
	s_delay_alu instid0(VALU_DEP_1) | instskip(NEXT) | instid1(VALU_DEP_1)
	v_mul_lo_u32 v11, s44, v3
	v_mul_hi_u32 v11, v3, v11
	s_delay_alu instid0(VALU_DEP_1) | instskip(NEXT) | instid1(VALU_DEP_1)
	v_add_nc_u32_e32 v3, v3, v11
	v_mul_hi_u32 v3, v7, v3
	s_delay_alu instid0(VALU_DEP_1) | instskip(NEXT) | instid1(VALU_DEP_1)
	v_mul_lo_u32 v11, v3, s26
	v_sub_nc_u32_e32 v11, v7, v11
	s_delay_alu instid0(VALU_DEP_1) | instskip(SKIP_1) | instid1(VALU_DEP_2)
	v_subrev_nc_u32_e32 v13, s26, v11
	v_cmp_le_u32_e32 vcc_lo, s26, v11
	v_dual_cndmask_b32 v11, v11, v13 :: v_dual_add_nc_u32 v12, 1, v3
	s_delay_alu instid0(VALU_DEP_1) | instskip(NEXT) | instid1(VALU_DEP_2)
	v_cndmask_b32_e32 v3, v3, v12, vcc_lo
	v_cmp_le_u32_e32 vcc_lo, s26, v11
	s_delay_alu instid0(VALU_DEP_2) | instskip(NEXT) | instid1(VALU_DEP_1)
	v_add_nc_u32_e32 v12, 1, v3
	v_dual_cndmask_b32 v11, v3, v12 :: v_dual_mov_b32 v12, v2
.LBB43_9:                               ;   in Loop: Header=BB43_5 Depth=2
	s_or_b32 exec_lo, exec_lo, s1
	s_load_b64 s[44:45], s[24:25], 0xc8
	s_delay_alu instid0(VALU_DEP_1) | instskip(NEXT) | instid1(VALU_DEP_2)
	v_mul_lo_u32 v3, v12, s26
	v_mul_lo_u32 v15, v11, s27
	v_mad_u64_u32 v[13:14], null, v11, s26, 0
	s_add_i32 s43, s43, -1
	s_add_u32 s24, s24, -8
	s_addc_u32 s25, s25, -1
	s_cmp_gt_u32 s43, 2
	s_delay_alu instid0(VALU_DEP_1) | instskip(NEXT) | instid1(VALU_DEP_2)
	v_add3_u32 v3, v14, v15, v3
	v_sub_co_u32 v13, vcc_lo, v7, v13
	s_delay_alu instid0(VALU_DEP_2) | instskip(SKIP_1) | instid1(VALU_DEP_2)
	v_sub_co_ci_u32_e32 v3, vcc_lo, v8, v3, vcc_lo
	s_waitcnt lgkmcnt(0)
	v_mul_lo_u32 v14, s45, v13
	s_delay_alu instid0(VALU_DEP_2) | instskip(SKIP_1) | instid1(VALU_DEP_1)
	v_mul_lo_u32 v3, s44, v3
	v_mad_u64_u32 v[7:8], null, s44, v13, v[9:10]
	v_add3_u32 v10, v14, v8, v3
	s_delay_alu instid0(VALU_DEP_2)
	v_mov_b32_e32 v9, v7
	s_cbranch_scc0 .LBB43_11
; %bb.10:                               ;   in Loop: Header=BB43_5 Depth=2
	v_dual_mov_b32 v7, v11 :: v_dual_mov_b32 v8, v12
	s_branch .LBB43_5
.LBB43_11:                              ;   in Loop: Header=BB43_3 Depth=1
	s_delay_alu instid0(VALU_DEP_1) | instskip(SKIP_2) | instid1(VALU_DEP_1)
	v_mad_u64_u32 v[7:8], null, s14, v11, v[9:10]
	v_mul_lo_u32 v3, s14, v12
	v_mul_lo_u32 v9, s15, v11
	v_add3_u32 v8, v9, v8, v3
.LBB43_12:                              ;   in Loop: Header=BB43_3 Depth=1
	s_or_b32 exec_lo, exec_lo, s42
	v_mov_b32_e32 v11, 0
	v_mov_b32_e32 v12, 0
	s_and_saveexec_b32 s1, s0
	s_cbranch_execz .LBB43_21
; %bb.13:                               ;   in Loop: Header=BB43_3 Depth=1
	v_dual_mov_b32 v9, 0 :: v_dual_mov_b32 v12, v5
	v_dual_mov_b32 v10, 0 :: v_dual_mov_b32 v11, v4
	;; [unrolled: 1-line block ×3, first 2 shown]
	s_and_not1_b32 vcc_lo, exec_lo, s29
	s_mov_b64 s[24:25], s[22:23]
	s_mov_b32 s42, s34
	s_cbranch_vccnz .LBB43_20
.LBB43_14:                              ;   Parent Loop BB43_3 Depth=1
                                        ; =>  This Inner Loop Header: Depth=2
	s_load_b64 s[26:27], s[24:25], 0x0
                                        ; implicit-def: $vgpr13_vgpr14
	s_mov_b32 s0, exec_lo
	s_waitcnt lgkmcnt(0)
	v_or_b32_e32 v3, s27, v12
	s_delay_alu instid0(VALU_DEP_1)
	v_cmpx_ne_u64_e32 0, v[2:3]
	s_xor_b32 s43, exec_lo, s0
	s_cbranch_execz .LBB43_16
; %bb.15:                               ;   in Loop: Header=BB43_14 Depth=2
	v_cvt_f32_u32_e32 v3, s26
	v_cvt_f32_u32_e32 v13, s27
	s_sub_u32 s0, 0, s26
	s_subb_u32 s44, 0, s27
	s_delay_alu instid0(VALU_DEP_1) | instskip(NEXT) | instid1(VALU_DEP_1)
	v_fmac_f32_e32 v3, 0x4f800000, v13
	v_rcp_f32_e32 v3, v3
	s_waitcnt_depctr 0xfff
	v_mul_f32_e32 v3, 0x5f7ffffc, v3
	s_delay_alu instid0(VALU_DEP_1) | instskip(NEXT) | instid1(VALU_DEP_1)
	v_mul_f32_e32 v13, 0x2f800000, v3
	v_trunc_f32_e32 v13, v13
	s_delay_alu instid0(VALU_DEP_1) | instskip(SKIP_1) | instid1(VALU_DEP_2)
	v_fmac_f32_e32 v3, 0xcf800000, v13
	v_cvt_u32_f32_e32 v13, v13
	v_cvt_u32_f32_e32 v3, v3
	s_delay_alu instid0(VALU_DEP_2) | instskip(NEXT) | instid1(VALU_DEP_2)
	v_mul_lo_u32 v14, s0, v13
	v_mul_hi_u32 v15, s0, v3
	v_mul_lo_u32 v16, s44, v3
	s_delay_alu instid0(VALU_DEP_2) | instskip(SKIP_1) | instid1(VALU_DEP_2)
	v_add_nc_u32_e32 v14, v15, v14
	v_mul_lo_u32 v15, s0, v3
	v_add_nc_u32_e32 v14, v14, v16
	s_delay_alu instid0(VALU_DEP_2) | instskip(NEXT) | instid1(VALU_DEP_2)
	v_mul_hi_u32 v16, v3, v15
	v_mul_lo_u32 v17, v3, v14
	v_mul_hi_u32 v18, v3, v14
	v_mul_hi_u32 v19, v13, v15
	v_mul_lo_u32 v15, v13, v15
	v_mul_hi_u32 v20, v13, v14
	v_mul_lo_u32 v14, v13, v14
	v_add_co_u32 v16, vcc_lo, v16, v17
	v_add_co_ci_u32_e32 v17, vcc_lo, 0, v18, vcc_lo
	s_delay_alu instid0(VALU_DEP_2) | instskip(NEXT) | instid1(VALU_DEP_2)
	v_add_co_u32 v15, vcc_lo, v16, v15
	v_add_co_ci_u32_e32 v15, vcc_lo, v17, v19, vcc_lo
	v_add_co_ci_u32_e32 v16, vcc_lo, 0, v20, vcc_lo
	s_delay_alu instid0(VALU_DEP_2) | instskip(NEXT) | instid1(VALU_DEP_2)
	v_add_co_u32 v14, vcc_lo, v15, v14
	v_add_co_ci_u32_e32 v15, vcc_lo, 0, v16, vcc_lo
	s_delay_alu instid0(VALU_DEP_2) | instskip(NEXT) | instid1(VALU_DEP_2)
	v_add_co_u32 v3, vcc_lo, v3, v14
	v_add_co_ci_u32_e32 v13, vcc_lo, v13, v15, vcc_lo
	s_delay_alu instid0(VALU_DEP_2) | instskip(SKIP_1) | instid1(VALU_DEP_3)
	v_mul_hi_u32 v14, s0, v3
	v_mul_lo_u32 v16, s44, v3
	v_mul_lo_u32 v15, s0, v13
	s_delay_alu instid0(VALU_DEP_1) | instskip(SKIP_1) | instid1(VALU_DEP_2)
	v_add_nc_u32_e32 v14, v14, v15
	v_mul_lo_u32 v15, s0, v3
	v_add_nc_u32_e32 v14, v14, v16
	s_delay_alu instid0(VALU_DEP_2) | instskip(NEXT) | instid1(VALU_DEP_2)
	v_mul_hi_u32 v16, v3, v15
	v_mul_lo_u32 v17, v3, v14
	v_mul_hi_u32 v18, v3, v14
	v_mul_hi_u32 v19, v13, v15
	v_mul_lo_u32 v15, v13, v15
	v_mul_hi_u32 v20, v13, v14
	v_mul_lo_u32 v14, v13, v14
	v_add_co_u32 v16, vcc_lo, v16, v17
	v_add_co_ci_u32_e32 v17, vcc_lo, 0, v18, vcc_lo
	s_delay_alu instid0(VALU_DEP_2) | instskip(NEXT) | instid1(VALU_DEP_2)
	v_add_co_u32 v15, vcc_lo, v16, v15
	v_add_co_ci_u32_e32 v15, vcc_lo, v17, v19, vcc_lo
	v_add_co_ci_u32_e32 v16, vcc_lo, 0, v20, vcc_lo
	s_delay_alu instid0(VALU_DEP_2) | instskip(NEXT) | instid1(VALU_DEP_2)
	v_add_co_u32 v14, vcc_lo, v15, v14
	v_add_co_ci_u32_e32 v15, vcc_lo, 0, v16, vcc_lo
	s_delay_alu instid0(VALU_DEP_2) | instskip(NEXT) | instid1(VALU_DEP_2)
	v_add_co_u32 v3, vcc_lo, v3, v14
	v_add_co_ci_u32_e32 v19, vcc_lo, v13, v15, vcc_lo
	s_delay_alu instid0(VALU_DEP_2) | instskip(SKIP_1) | instid1(VALU_DEP_3)
	v_mul_hi_u32 v20, v11, v3
	v_mad_u64_u32 v[15:16], null, v12, v3, 0
	v_mad_u64_u32 v[13:14], null, v11, v19, 0
	;; [unrolled: 1-line block ×3, first 2 shown]
	s_delay_alu instid0(VALU_DEP_2) | instskip(NEXT) | instid1(VALU_DEP_3)
	v_add_co_u32 v3, vcc_lo, v20, v13
	v_add_co_ci_u32_e32 v13, vcc_lo, 0, v14, vcc_lo
	s_delay_alu instid0(VALU_DEP_2) | instskip(NEXT) | instid1(VALU_DEP_2)
	v_add_co_u32 v3, vcc_lo, v3, v15
	v_add_co_ci_u32_e32 v3, vcc_lo, v13, v16, vcc_lo
	v_add_co_ci_u32_e32 v13, vcc_lo, 0, v18, vcc_lo
	s_delay_alu instid0(VALU_DEP_2) | instskip(NEXT) | instid1(VALU_DEP_2)
	v_add_co_u32 v3, vcc_lo, v3, v17
	v_add_co_ci_u32_e32 v15, vcc_lo, 0, v13, vcc_lo
	s_delay_alu instid0(VALU_DEP_2) | instskip(SKIP_1) | instid1(VALU_DEP_3)
	v_mul_lo_u32 v16, s27, v3
	v_mad_u64_u32 v[13:14], null, s26, v3, 0
	v_mul_lo_u32 v17, s26, v15
	s_delay_alu instid0(VALU_DEP_2) | instskip(NEXT) | instid1(VALU_DEP_2)
	v_sub_co_u32 v13, vcc_lo, v11, v13
	v_add3_u32 v14, v14, v17, v16
	s_delay_alu instid0(VALU_DEP_1) | instskip(NEXT) | instid1(VALU_DEP_1)
	v_sub_nc_u32_e32 v16, v12, v14
	v_subrev_co_ci_u32_e64 v16, s0, s27, v16, vcc_lo
	v_add_co_u32 v17, s0, v3, 2
	s_delay_alu instid0(VALU_DEP_1) | instskip(SKIP_3) | instid1(VALU_DEP_3)
	v_add_co_ci_u32_e64 v18, s0, 0, v15, s0
	v_sub_co_u32 v19, s0, v13, s26
	v_sub_co_ci_u32_e32 v14, vcc_lo, v12, v14, vcc_lo
	v_subrev_co_ci_u32_e64 v16, s0, 0, v16, s0
	v_cmp_le_u32_e32 vcc_lo, s26, v19
	s_delay_alu instid0(VALU_DEP_3) | instskip(SKIP_1) | instid1(VALU_DEP_4)
	v_cmp_eq_u32_e64 s0, s27, v14
	v_cndmask_b32_e64 v19, 0, -1, vcc_lo
	v_cmp_le_u32_e32 vcc_lo, s27, v16
	v_cndmask_b32_e64 v20, 0, -1, vcc_lo
	v_cmp_le_u32_e32 vcc_lo, s26, v13
	;; [unrolled: 2-line block ×3, first 2 shown]
	v_cndmask_b32_e64 v21, 0, -1, vcc_lo
	v_cmp_eq_u32_e32 vcc_lo, s27, v16
	s_delay_alu instid0(VALU_DEP_2) | instskip(SKIP_3) | instid1(VALU_DEP_3)
	v_cndmask_b32_e64 v13, v21, v13, s0
	v_cndmask_b32_e32 v16, v20, v19, vcc_lo
	v_add_co_u32 v19, vcc_lo, v3, 1
	v_add_co_ci_u32_e32 v20, vcc_lo, 0, v15, vcc_lo
	v_cmp_ne_u32_e32 vcc_lo, 0, v16
	s_delay_alu instid0(VALU_DEP_3) | instskip(NEXT) | instid1(VALU_DEP_3)
	v_cndmask_b32_e32 v16, v19, v17, vcc_lo
	v_cndmask_b32_e32 v14, v20, v18, vcc_lo
	v_cmp_ne_u32_e32 vcc_lo, 0, v13
	s_delay_alu instid0(VALU_DEP_3) | instskip(NEXT) | instid1(VALU_DEP_3)
	v_cndmask_b32_e32 v13, v3, v16, vcc_lo
	v_cndmask_b32_e32 v14, v15, v14, vcc_lo
.LBB43_16:                              ;   in Loop: Header=BB43_14 Depth=2
	s_and_not1_saveexec_b32 s0, s43
	s_cbranch_execz .LBB43_18
; %bb.17:                               ;   in Loop: Header=BB43_14 Depth=2
	v_cvt_f32_u32_e32 v3, s26
	s_sub_i32 s43, 0, s26
	s_delay_alu instid0(VALU_DEP_1) | instskip(SKIP_2) | instid1(VALU_DEP_1)
	v_rcp_iflag_f32_e32 v3, v3
	s_waitcnt_depctr 0xfff
	v_mul_f32_e32 v3, 0x4f7ffffe, v3
	v_cvt_u32_f32_e32 v3, v3
	s_delay_alu instid0(VALU_DEP_1) | instskip(NEXT) | instid1(VALU_DEP_1)
	v_mul_lo_u32 v13, s43, v3
	v_mul_hi_u32 v13, v3, v13
	s_delay_alu instid0(VALU_DEP_1) | instskip(NEXT) | instid1(VALU_DEP_1)
	v_add_nc_u32_e32 v3, v3, v13
	v_mul_hi_u32 v3, v11, v3
	s_delay_alu instid0(VALU_DEP_1) | instskip(SKIP_1) | instid1(VALU_DEP_2)
	v_mul_lo_u32 v13, v3, s26
	v_add_nc_u32_e32 v14, 1, v3
	v_sub_nc_u32_e32 v13, v11, v13
	s_delay_alu instid0(VALU_DEP_1) | instskip(SKIP_1) | instid1(VALU_DEP_2)
	v_subrev_nc_u32_e32 v15, s26, v13
	v_cmp_le_u32_e32 vcc_lo, s26, v13
	v_cndmask_b32_e32 v13, v13, v15, vcc_lo
	v_cndmask_b32_e32 v3, v3, v14, vcc_lo
	s_delay_alu instid0(VALU_DEP_2) | instskip(NEXT) | instid1(VALU_DEP_2)
	v_cmp_le_u32_e32 vcc_lo, s26, v13
	v_add_nc_u32_e32 v14, 1, v3
	s_delay_alu instid0(VALU_DEP_1)
	v_dual_cndmask_b32 v13, v3, v14 :: v_dual_mov_b32 v14, v2
.LBB43_18:                              ;   in Loop: Header=BB43_14 Depth=2
	s_or_b32 exec_lo, exec_lo, s0
	s_load_b64 s[44:45], s[24:25], 0xc8
	s_delay_alu instid0(VALU_DEP_1) | instskip(NEXT) | instid1(VALU_DEP_2)
	v_mul_lo_u32 v3, v14, s26
	v_mul_lo_u32 v17, v13, s27
	v_mad_u64_u32 v[15:16], null, v13, s26, 0
	s_add_i32 s42, s42, -1
	s_add_u32 s24, s24, -8
	s_addc_u32 s25, s25, -1
	s_cmp_gt_u32 s42, 2
	s_delay_alu instid0(VALU_DEP_1) | instskip(NEXT) | instid1(VALU_DEP_2)
	v_add3_u32 v3, v16, v17, v3
	v_sub_co_u32 v15, vcc_lo, v11, v15
	s_delay_alu instid0(VALU_DEP_2) | instskip(SKIP_1) | instid1(VALU_DEP_2)
	v_sub_co_ci_u32_e32 v3, vcc_lo, v12, v3, vcc_lo
	s_waitcnt lgkmcnt(0)
	v_mul_lo_u32 v16, s45, v15
	s_delay_alu instid0(VALU_DEP_2) | instskip(SKIP_1) | instid1(VALU_DEP_1)
	v_mul_lo_u32 v3, s44, v3
	v_mad_u64_u32 v[11:12], null, s44, v15, v[9:10]
	v_add3_u32 v10, v16, v12, v3
	s_delay_alu instid0(VALU_DEP_2)
	v_mov_b32_e32 v9, v11
	s_cbranch_scc0 .LBB43_20
; %bb.19:                               ;   in Loop: Header=BB43_14 Depth=2
	v_dual_mov_b32 v11, v13 :: v_dual_mov_b32 v12, v14
	s_branch .LBB43_14
.LBB43_20:                              ;   in Loop: Header=BB43_3 Depth=1
	s_delay_alu instid0(VALU_DEP_1) | instskip(SKIP_2) | instid1(VALU_DEP_1)
	v_mad_u64_u32 v[11:12], null, s2, v13, v[9:10]
	v_mul_lo_u32 v3, s2, v14
	v_mul_lo_u32 v9, s3, v13
	v_add3_u32 v12, v9, v12, v3
.LBB43_21:                              ;   in Loop: Header=BB43_3 Depth=1
	s_or_b32 exec_lo, exec_lo, s1
	v_dual_mov_b32 v14, v5 :: v_dual_mov_b32 v9, 0
	v_or_b32_e32 v13, 1, v4
	v_mov_b32_e32 v10, 0
	v_cmp_lt_i32_e64 s0, 1, v32
	s_delay_alu instid0(VALU_DEP_1)
	s_and_saveexec_b32 s42, s0
	s_cbranch_execz .LBB43_30
; %bb.22:                               ;   in Loop: Header=BB43_3 Depth=1
	v_mov_b32_e32 v15, 0
	v_dual_mov_b32 v16, 0 :: v_dual_mov_b32 v9, v13
	v_mov_b32_e32 v10, v14
	v_dual_mov_b32 v18, v14 :: v_dual_mov_b32 v17, v13
	s_and_not1_b32 vcc_lo, exec_lo, s28
	s_mov_b64 s[24:25], s[20:21]
	s_mov_b32 s43, s33
	s_cbranch_vccnz .LBB43_29
.LBB43_23:                              ;   Parent Loop BB43_3 Depth=1
                                        ; =>  This Inner Loop Header: Depth=2
	s_load_b64 s[26:27], s[24:25], 0x0
                                        ; implicit-def: $vgpr17_vgpr18
	s_mov_b32 s1, exec_lo
	s_waitcnt lgkmcnt(0)
	v_or_b32_e32 v3, s27, v10
	s_delay_alu instid0(VALU_DEP_1)
	v_cmpx_ne_u64_e32 0, v[2:3]
	s_xor_b32 s44, exec_lo, s1
	s_cbranch_execz .LBB43_25
; %bb.24:                               ;   in Loop: Header=BB43_23 Depth=2
	v_cvt_f32_u32_e32 v3, s26
	v_cvt_f32_u32_e32 v17, s27
	s_sub_u32 s1, 0, s26
	s_subb_u32 s45, 0, s27
	s_delay_alu instid0(VALU_DEP_1) | instskip(NEXT) | instid1(VALU_DEP_1)
	v_fmac_f32_e32 v3, 0x4f800000, v17
	v_rcp_f32_e32 v3, v3
	s_waitcnt_depctr 0xfff
	v_mul_f32_e32 v3, 0x5f7ffffc, v3
	s_delay_alu instid0(VALU_DEP_1) | instskip(NEXT) | instid1(VALU_DEP_1)
	v_mul_f32_e32 v17, 0x2f800000, v3
	v_trunc_f32_e32 v17, v17
	s_delay_alu instid0(VALU_DEP_1) | instskip(SKIP_1) | instid1(VALU_DEP_2)
	v_fmac_f32_e32 v3, 0xcf800000, v17
	v_cvt_u32_f32_e32 v17, v17
	v_cvt_u32_f32_e32 v3, v3
	s_delay_alu instid0(VALU_DEP_2) | instskip(NEXT) | instid1(VALU_DEP_2)
	v_mul_lo_u32 v18, s1, v17
	v_mul_hi_u32 v19, s1, v3
	v_mul_lo_u32 v20, s45, v3
	s_delay_alu instid0(VALU_DEP_2) | instskip(SKIP_1) | instid1(VALU_DEP_2)
	v_add_nc_u32_e32 v18, v19, v18
	v_mul_lo_u32 v19, s1, v3
	v_add_nc_u32_e32 v18, v18, v20
	s_delay_alu instid0(VALU_DEP_2) | instskip(NEXT) | instid1(VALU_DEP_2)
	v_mul_hi_u32 v20, v3, v19
	v_mul_lo_u32 v21, v3, v18
	v_mul_hi_u32 v22, v3, v18
	v_mul_hi_u32 v23, v17, v19
	v_mul_lo_u32 v19, v17, v19
	v_mul_hi_u32 v24, v17, v18
	v_mul_lo_u32 v18, v17, v18
	v_add_co_u32 v20, vcc_lo, v20, v21
	v_add_co_ci_u32_e32 v21, vcc_lo, 0, v22, vcc_lo
	s_delay_alu instid0(VALU_DEP_2) | instskip(NEXT) | instid1(VALU_DEP_2)
	v_add_co_u32 v19, vcc_lo, v20, v19
	v_add_co_ci_u32_e32 v19, vcc_lo, v21, v23, vcc_lo
	v_add_co_ci_u32_e32 v20, vcc_lo, 0, v24, vcc_lo
	s_delay_alu instid0(VALU_DEP_2) | instskip(NEXT) | instid1(VALU_DEP_2)
	v_add_co_u32 v18, vcc_lo, v19, v18
	v_add_co_ci_u32_e32 v19, vcc_lo, 0, v20, vcc_lo
	s_delay_alu instid0(VALU_DEP_2) | instskip(NEXT) | instid1(VALU_DEP_2)
	v_add_co_u32 v3, vcc_lo, v3, v18
	v_add_co_ci_u32_e32 v17, vcc_lo, v17, v19, vcc_lo
	s_delay_alu instid0(VALU_DEP_2) | instskip(SKIP_1) | instid1(VALU_DEP_3)
	v_mul_hi_u32 v18, s1, v3
	v_mul_lo_u32 v20, s45, v3
	v_mul_lo_u32 v19, s1, v17
	s_delay_alu instid0(VALU_DEP_1) | instskip(SKIP_1) | instid1(VALU_DEP_2)
	v_add_nc_u32_e32 v18, v18, v19
	v_mul_lo_u32 v19, s1, v3
	v_add_nc_u32_e32 v18, v18, v20
	s_delay_alu instid0(VALU_DEP_2) | instskip(NEXT) | instid1(VALU_DEP_2)
	v_mul_hi_u32 v20, v3, v19
	v_mul_lo_u32 v21, v3, v18
	v_mul_hi_u32 v22, v3, v18
	v_mul_hi_u32 v23, v17, v19
	v_mul_lo_u32 v19, v17, v19
	v_mul_hi_u32 v24, v17, v18
	v_mul_lo_u32 v18, v17, v18
	v_add_co_u32 v20, vcc_lo, v20, v21
	v_add_co_ci_u32_e32 v21, vcc_lo, 0, v22, vcc_lo
	s_delay_alu instid0(VALU_DEP_2) | instskip(NEXT) | instid1(VALU_DEP_2)
	v_add_co_u32 v19, vcc_lo, v20, v19
	v_add_co_ci_u32_e32 v19, vcc_lo, v21, v23, vcc_lo
	v_add_co_ci_u32_e32 v20, vcc_lo, 0, v24, vcc_lo
	s_delay_alu instid0(VALU_DEP_2) | instskip(NEXT) | instid1(VALU_DEP_2)
	v_add_co_u32 v18, vcc_lo, v19, v18
	v_add_co_ci_u32_e32 v19, vcc_lo, 0, v20, vcc_lo
	s_delay_alu instid0(VALU_DEP_2) | instskip(NEXT) | instid1(VALU_DEP_2)
	v_add_co_u32 v3, vcc_lo, v3, v18
	v_add_co_ci_u32_e32 v23, vcc_lo, v17, v19, vcc_lo
	s_delay_alu instid0(VALU_DEP_2) | instskip(SKIP_1) | instid1(VALU_DEP_3)
	v_mul_hi_u32 v24, v9, v3
	v_mad_u64_u32 v[19:20], null, v10, v3, 0
	v_mad_u64_u32 v[17:18], null, v9, v23, 0
	;; [unrolled: 1-line block ×3, first 2 shown]
	s_delay_alu instid0(VALU_DEP_2) | instskip(NEXT) | instid1(VALU_DEP_3)
	v_add_co_u32 v3, vcc_lo, v24, v17
	v_add_co_ci_u32_e32 v17, vcc_lo, 0, v18, vcc_lo
	s_delay_alu instid0(VALU_DEP_2) | instskip(NEXT) | instid1(VALU_DEP_2)
	v_add_co_u32 v3, vcc_lo, v3, v19
	v_add_co_ci_u32_e32 v3, vcc_lo, v17, v20, vcc_lo
	v_add_co_ci_u32_e32 v17, vcc_lo, 0, v22, vcc_lo
	s_delay_alu instid0(VALU_DEP_2) | instskip(NEXT) | instid1(VALU_DEP_2)
	v_add_co_u32 v3, vcc_lo, v3, v21
	v_add_co_ci_u32_e32 v19, vcc_lo, 0, v17, vcc_lo
	s_delay_alu instid0(VALU_DEP_2) | instskip(SKIP_1) | instid1(VALU_DEP_3)
	v_mul_lo_u32 v20, s27, v3
	v_mad_u64_u32 v[17:18], null, s26, v3, 0
	v_mul_lo_u32 v21, s26, v19
	s_delay_alu instid0(VALU_DEP_2) | instskip(NEXT) | instid1(VALU_DEP_2)
	v_sub_co_u32 v17, vcc_lo, v9, v17
	v_add3_u32 v18, v18, v21, v20
	s_delay_alu instid0(VALU_DEP_1) | instskip(NEXT) | instid1(VALU_DEP_1)
	v_sub_nc_u32_e32 v20, v10, v18
	v_subrev_co_ci_u32_e64 v20, s1, s27, v20, vcc_lo
	v_add_co_u32 v21, s1, v3, 2
	s_delay_alu instid0(VALU_DEP_1) | instskip(SKIP_3) | instid1(VALU_DEP_3)
	v_add_co_ci_u32_e64 v22, s1, 0, v19, s1
	v_sub_co_u32 v23, s1, v17, s26
	v_sub_co_ci_u32_e32 v18, vcc_lo, v10, v18, vcc_lo
	v_subrev_co_ci_u32_e64 v20, s1, 0, v20, s1
	v_cmp_le_u32_e32 vcc_lo, s26, v23
	s_delay_alu instid0(VALU_DEP_3) | instskip(SKIP_1) | instid1(VALU_DEP_4)
	v_cmp_eq_u32_e64 s1, s27, v18
	v_cndmask_b32_e64 v23, 0, -1, vcc_lo
	v_cmp_le_u32_e32 vcc_lo, s27, v20
	v_cndmask_b32_e64 v24, 0, -1, vcc_lo
	v_cmp_le_u32_e32 vcc_lo, s26, v17
	;; [unrolled: 2-line block ×3, first 2 shown]
	v_cndmask_b32_e64 v25, 0, -1, vcc_lo
	v_cmp_eq_u32_e32 vcc_lo, s27, v20
	s_delay_alu instid0(VALU_DEP_2) | instskip(SKIP_3) | instid1(VALU_DEP_3)
	v_cndmask_b32_e64 v17, v25, v17, s1
	v_cndmask_b32_e32 v20, v24, v23, vcc_lo
	v_add_co_u32 v23, vcc_lo, v3, 1
	v_add_co_ci_u32_e32 v24, vcc_lo, 0, v19, vcc_lo
	v_cmp_ne_u32_e32 vcc_lo, 0, v20
	s_delay_alu instid0(VALU_DEP_3) | instskip(NEXT) | instid1(VALU_DEP_3)
	v_cndmask_b32_e32 v20, v23, v21, vcc_lo
	v_cndmask_b32_e32 v18, v24, v22, vcc_lo
	v_cmp_ne_u32_e32 vcc_lo, 0, v17
	s_delay_alu instid0(VALU_DEP_3) | instskip(NEXT) | instid1(VALU_DEP_3)
	v_cndmask_b32_e32 v17, v3, v20, vcc_lo
	v_cndmask_b32_e32 v18, v19, v18, vcc_lo
.LBB43_25:                              ;   in Loop: Header=BB43_23 Depth=2
	s_and_not1_saveexec_b32 s1, s44
	s_cbranch_execz .LBB43_27
; %bb.26:                               ;   in Loop: Header=BB43_23 Depth=2
	v_cvt_f32_u32_e32 v3, s26
	s_sub_i32 s44, 0, s26
	s_delay_alu instid0(VALU_DEP_1) | instskip(SKIP_2) | instid1(VALU_DEP_1)
	v_rcp_iflag_f32_e32 v3, v3
	s_waitcnt_depctr 0xfff
	v_mul_f32_e32 v3, 0x4f7ffffe, v3
	v_cvt_u32_f32_e32 v3, v3
	s_delay_alu instid0(VALU_DEP_1) | instskip(NEXT) | instid1(VALU_DEP_1)
	v_mul_lo_u32 v17, s44, v3
	v_mul_hi_u32 v17, v3, v17
	s_delay_alu instid0(VALU_DEP_1) | instskip(NEXT) | instid1(VALU_DEP_1)
	v_add_nc_u32_e32 v3, v3, v17
	v_mul_hi_u32 v3, v9, v3
	s_delay_alu instid0(VALU_DEP_1) | instskip(SKIP_1) | instid1(VALU_DEP_2)
	v_mul_lo_u32 v17, v3, s26
	v_add_nc_u32_e32 v18, 1, v3
	v_sub_nc_u32_e32 v17, v9, v17
	s_delay_alu instid0(VALU_DEP_1) | instskip(SKIP_1) | instid1(VALU_DEP_2)
	v_subrev_nc_u32_e32 v19, s26, v17
	v_cmp_le_u32_e32 vcc_lo, s26, v17
	v_cndmask_b32_e32 v17, v17, v19, vcc_lo
	v_cndmask_b32_e32 v3, v3, v18, vcc_lo
	s_delay_alu instid0(VALU_DEP_2) | instskip(NEXT) | instid1(VALU_DEP_2)
	v_cmp_le_u32_e32 vcc_lo, s26, v17
	v_add_nc_u32_e32 v18, 1, v3
	s_delay_alu instid0(VALU_DEP_1)
	v_dual_cndmask_b32 v17, v3, v18 :: v_dual_mov_b32 v18, v2
.LBB43_27:                              ;   in Loop: Header=BB43_23 Depth=2
	s_or_b32 exec_lo, exec_lo, s1
	s_load_b64 s[44:45], s[24:25], 0xc8
	s_delay_alu instid0(VALU_DEP_1) | instskip(NEXT) | instid1(VALU_DEP_2)
	v_mul_lo_u32 v3, v18, s26
	v_mul_lo_u32 v21, v17, s27
	v_mad_u64_u32 v[19:20], null, v17, s26, 0
	s_add_i32 s43, s43, -1
	s_add_u32 s24, s24, -8
	s_addc_u32 s25, s25, -1
	s_cmp_gt_u32 s43, 2
	s_delay_alu instid0(VALU_DEP_1) | instskip(NEXT) | instid1(VALU_DEP_2)
	v_add3_u32 v3, v20, v21, v3
	v_sub_co_u32 v19, vcc_lo, v9, v19
	s_delay_alu instid0(VALU_DEP_2) | instskip(SKIP_1) | instid1(VALU_DEP_2)
	v_sub_co_ci_u32_e32 v3, vcc_lo, v10, v3, vcc_lo
	s_waitcnt lgkmcnt(0)
	v_mul_lo_u32 v20, s45, v19
	s_delay_alu instid0(VALU_DEP_2) | instskip(SKIP_1) | instid1(VALU_DEP_1)
	v_mul_lo_u32 v3, s44, v3
	v_mad_u64_u32 v[9:10], null, s44, v19, v[15:16]
	v_add3_u32 v16, v20, v10, v3
	s_delay_alu instid0(VALU_DEP_2)
	v_mov_b32_e32 v15, v9
	s_cbranch_scc0 .LBB43_29
; %bb.28:                               ;   in Loop: Header=BB43_23 Depth=2
	v_dual_mov_b32 v9, v17 :: v_dual_mov_b32 v10, v18
	s_branch .LBB43_23
.LBB43_29:                              ;   in Loop: Header=BB43_3 Depth=1
	s_delay_alu instid0(VALU_DEP_1) | instskip(SKIP_2) | instid1(VALU_DEP_1)
	v_mad_u64_u32 v[9:10], null, s14, v17, v[15:16]
	v_mul_lo_u32 v3, s14, v18
	v_mul_lo_u32 v15, s15, v17
	v_add3_u32 v10, v15, v10, v3
.LBB43_30:                              ;   in Loop: Header=BB43_3 Depth=1
	s_or_b32 exec_lo, exec_lo, s42
	v_mov_b32_e32 v15, 0
	v_mov_b32_e32 v16, 0
	s_and_saveexec_b32 s1, s0
	s_cbranch_execz .LBB43_33
; %bb.31:                               ;   in Loop: Header=BB43_3 Depth=1
	v_mov_b32_e32 v17, 0
	v_mov_b32_e32 v18, 0
	s_and_not1_b32 vcc_lo, exec_lo, s29
	s_mov_b64 s[24:25], s[22:23]
	s_mov_b32 s42, s34
	s_cbranch_vccz .LBB43_42
.LBB43_32:                              ;   in Loop: Header=BB43_3 Depth=1
	s_delay_alu instid0(VALU_DEP_1) | instskip(NEXT) | instid1(VALU_DEP_2)
	v_mad_u64_u32 v[15:16], null, s2, v13, v[17:18]
	v_mul_lo_u32 v3, s2, v14
	v_mul_lo_u32 v13, s3, v13
	s_delay_alu instid0(VALU_DEP_1)
	v_add3_u32 v16, v13, v16, v3
.LBB43_33:                              ;   in Loop: Header=BB43_3 Depth=1
	s_or_b32 exec_lo, exec_lo, s1
	v_dual_mov_b32 v18, v5 :: v_dual_mov_b32 v13, 0
	v_or_b32_e32 v17, 2, v4
	v_mov_b32_e32 v14, 0
	v_cmp_lt_i32_e64 s0, 2, v32
	s_delay_alu instid0(VALU_DEP_1)
	s_and_saveexec_b32 s42, s0
	s_cbranch_execz .LBB43_47
; %bb.34:                               ;   in Loop: Header=BB43_3 Depth=1
	v_mov_b32_e32 v19, 0
	v_dual_mov_b32 v20, 0 :: v_dual_mov_b32 v13, v17
	v_mov_b32_e32 v14, v18
	v_dual_mov_b32 v22, v18 :: v_dual_mov_b32 v21, v17
	s_and_not1_b32 vcc_lo, exec_lo, s28
	s_mov_b64 s[24:25], s[20:21]
	s_mov_b32 s43, s33
	s_cbranch_vccnz .LBB43_46
.LBB43_35:                              ;   Parent Loop BB43_3 Depth=1
                                        ; =>  This Inner Loop Header: Depth=2
	s_load_b64 s[26:27], s[24:25], 0x0
                                        ; implicit-def: $vgpr21_vgpr22
	s_mov_b32 s1, exec_lo
	s_waitcnt lgkmcnt(0)
	v_or_b32_e32 v3, s27, v14
	s_delay_alu instid0(VALU_DEP_1)
	v_cmpx_ne_u64_e32 0, v[2:3]
	s_xor_b32 s44, exec_lo, s1
	s_cbranch_execz .LBB43_37
; %bb.36:                               ;   in Loop: Header=BB43_35 Depth=2
	v_cvt_f32_u32_e32 v3, s26
	v_cvt_f32_u32_e32 v21, s27
	s_sub_u32 s1, 0, s26
	s_subb_u32 s45, 0, s27
	s_delay_alu instid0(VALU_DEP_1) | instskip(NEXT) | instid1(VALU_DEP_1)
	v_fmac_f32_e32 v3, 0x4f800000, v21
	v_rcp_f32_e32 v3, v3
	s_waitcnt_depctr 0xfff
	v_mul_f32_e32 v3, 0x5f7ffffc, v3
	s_delay_alu instid0(VALU_DEP_1) | instskip(NEXT) | instid1(VALU_DEP_1)
	v_mul_f32_e32 v21, 0x2f800000, v3
	v_trunc_f32_e32 v21, v21
	s_delay_alu instid0(VALU_DEP_1) | instskip(SKIP_1) | instid1(VALU_DEP_2)
	v_fmac_f32_e32 v3, 0xcf800000, v21
	v_cvt_u32_f32_e32 v21, v21
	v_cvt_u32_f32_e32 v3, v3
	s_delay_alu instid0(VALU_DEP_2) | instskip(NEXT) | instid1(VALU_DEP_2)
	v_mul_lo_u32 v22, s1, v21
	v_mul_hi_u32 v23, s1, v3
	v_mul_lo_u32 v24, s45, v3
	s_delay_alu instid0(VALU_DEP_2) | instskip(SKIP_1) | instid1(VALU_DEP_2)
	v_add_nc_u32_e32 v22, v23, v22
	v_mul_lo_u32 v23, s1, v3
	v_add_nc_u32_e32 v22, v22, v24
	s_delay_alu instid0(VALU_DEP_2) | instskip(NEXT) | instid1(VALU_DEP_2)
	v_mul_hi_u32 v24, v3, v23
	v_mul_lo_u32 v25, v3, v22
	v_mul_hi_u32 v26, v3, v22
	v_mul_hi_u32 v27, v21, v23
	v_mul_lo_u32 v23, v21, v23
	v_mul_hi_u32 v28, v21, v22
	v_mul_lo_u32 v22, v21, v22
	v_add_co_u32 v24, vcc_lo, v24, v25
	v_add_co_ci_u32_e32 v25, vcc_lo, 0, v26, vcc_lo
	s_delay_alu instid0(VALU_DEP_2) | instskip(NEXT) | instid1(VALU_DEP_2)
	v_add_co_u32 v23, vcc_lo, v24, v23
	v_add_co_ci_u32_e32 v23, vcc_lo, v25, v27, vcc_lo
	v_add_co_ci_u32_e32 v24, vcc_lo, 0, v28, vcc_lo
	s_delay_alu instid0(VALU_DEP_2) | instskip(NEXT) | instid1(VALU_DEP_2)
	v_add_co_u32 v22, vcc_lo, v23, v22
	v_add_co_ci_u32_e32 v23, vcc_lo, 0, v24, vcc_lo
	s_delay_alu instid0(VALU_DEP_2) | instskip(NEXT) | instid1(VALU_DEP_2)
	v_add_co_u32 v3, vcc_lo, v3, v22
	v_add_co_ci_u32_e32 v21, vcc_lo, v21, v23, vcc_lo
	s_delay_alu instid0(VALU_DEP_2) | instskip(SKIP_1) | instid1(VALU_DEP_3)
	v_mul_hi_u32 v22, s1, v3
	v_mul_lo_u32 v24, s45, v3
	v_mul_lo_u32 v23, s1, v21
	s_delay_alu instid0(VALU_DEP_1) | instskip(SKIP_1) | instid1(VALU_DEP_2)
	v_add_nc_u32_e32 v22, v22, v23
	v_mul_lo_u32 v23, s1, v3
	v_add_nc_u32_e32 v22, v22, v24
	s_delay_alu instid0(VALU_DEP_2) | instskip(NEXT) | instid1(VALU_DEP_2)
	v_mul_hi_u32 v24, v3, v23
	v_mul_lo_u32 v25, v3, v22
	v_mul_hi_u32 v26, v3, v22
	v_mul_hi_u32 v27, v21, v23
	v_mul_lo_u32 v23, v21, v23
	v_mul_hi_u32 v28, v21, v22
	v_mul_lo_u32 v22, v21, v22
	v_add_co_u32 v24, vcc_lo, v24, v25
	v_add_co_ci_u32_e32 v25, vcc_lo, 0, v26, vcc_lo
	s_delay_alu instid0(VALU_DEP_2) | instskip(NEXT) | instid1(VALU_DEP_2)
	v_add_co_u32 v23, vcc_lo, v24, v23
	v_add_co_ci_u32_e32 v23, vcc_lo, v25, v27, vcc_lo
	v_add_co_ci_u32_e32 v24, vcc_lo, 0, v28, vcc_lo
	s_delay_alu instid0(VALU_DEP_2) | instskip(NEXT) | instid1(VALU_DEP_2)
	v_add_co_u32 v22, vcc_lo, v23, v22
	v_add_co_ci_u32_e32 v23, vcc_lo, 0, v24, vcc_lo
	s_delay_alu instid0(VALU_DEP_2) | instskip(NEXT) | instid1(VALU_DEP_2)
	v_add_co_u32 v3, vcc_lo, v3, v22
	v_add_co_ci_u32_e32 v27, vcc_lo, v21, v23, vcc_lo
	s_delay_alu instid0(VALU_DEP_2) | instskip(SKIP_1) | instid1(VALU_DEP_3)
	v_mul_hi_u32 v28, v13, v3
	v_mad_u64_u32 v[23:24], null, v14, v3, 0
	v_mad_u64_u32 v[21:22], null, v13, v27, 0
	v_mad_u64_u32 v[25:26], null, v14, v27, 0
	s_delay_alu instid0(VALU_DEP_2) | instskip(NEXT) | instid1(VALU_DEP_3)
	v_add_co_u32 v3, vcc_lo, v28, v21
	v_add_co_ci_u32_e32 v21, vcc_lo, 0, v22, vcc_lo
	s_delay_alu instid0(VALU_DEP_2) | instskip(NEXT) | instid1(VALU_DEP_2)
	v_add_co_u32 v3, vcc_lo, v3, v23
	v_add_co_ci_u32_e32 v3, vcc_lo, v21, v24, vcc_lo
	v_add_co_ci_u32_e32 v21, vcc_lo, 0, v26, vcc_lo
	s_delay_alu instid0(VALU_DEP_2) | instskip(NEXT) | instid1(VALU_DEP_2)
	v_add_co_u32 v3, vcc_lo, v3, v25
	v_add_co_ci_u32_e32 v23, vcc_lo, 0, v21, vcc_lo
	s_delay_alu instid0(VALU_DEP_2) | instskip(SKIP_1) | instid1(VALU_DEP_3)
	v_mul_lo_u32 v24, s27, v3
	v_mad_u64_u32 v[21:22], null, s26, v3, 0
	v_mul_lo_u32 v25, s26, v23
	s_delay_alu instid0(VALU_DEP_2) | instskip(NEXT) | instid1(VALU_DEP_2)
	v_sub_co_u32 v21, vcc_lo, v13, v21
	v_add3_u32 v22, v22, v25, v24
	s_delay_alu instid0(VALU_DEP_1) | instskip(NEXT) | instid1(VALU_DEP_1)
	v_sub_nc_u32_e32 v24, v14, v22
	v_subrev_co_ci_u32_e64 v24, s1, s27, v24, vcc_lo
	v_add_co_u32 v25, s1, v3, 2
	s_delay_alu instid0(VALU_DEP_1) | instskip(SKIP_3) | instid1(VALU_DEP_3)
	v_add_co_ci_u32_e64 v26, s1, 0, v23, s1
	v_sub_co_u32 v27, s1, v21, s26
	v_sub_co_ci_u32_e32 v22, vcc_lo, v14, v22, vcc_lo
	v_subrev_co_ci_u32_e64 v24, s1, 0, v24, s1
	v_cmp_le_u32_e32 vcc_lo, s26, v27
	s_delay_alu instid0(VALU_DEP_3) | instskip(SKIP_1) | instid1(VALU_DEP_4)
	v_cmp_eq_u32_e64 s1, s27, v22
	v_cndmask_b32_e64 v27, 0, -1, vcc_lo
	v_cmp_le_u32_e32 vcc_lo, s27, v24
	v_cndmask_b32_e64 v28, 0, -1, vcc_lo
	v_cmp_le_u32_e32 vcc_lo, s26, v21
	;; [unrolled: 2-line block ×3, first 2 shown]
	v_cndmask_b32_e64 v29, 0, -1, vcc_lo
	v_cmp_eq_u32_e32 vcc_lo, s27, v24
	s_delay_alu instid0(VALU_DEP_2) | instskip(SKIP_3) | instid1(VALU_DEP_3)
	v_cndmask_b32_e64 v21, v29, v21, s1
	v_cndmask_b32_e32 v24, v28, v27, vcc_lo
	v_add_co_u32 v27, vcc_lo, v3, 1
	v_add_co_ci_u32_e32 v28, vcc_lo, 0, v23, vcc_lo
	v_cmp_ne_u32_e32 vcc_lo, 0, v24
	s_delay_alu instid0(VALU_DEP_3) | instskip(NEXT) | instid1(VALU_DEP_3)
	v_cndmask_b32_e32 v24, v27, v25, vcc_lo
	v_cndmask_b32_e32 v22, v28, v26, vcc_lo
	v_cmp_ne_u32_e32 vcc_lo, 0, v21
	s_delay_alu instid0(VALU_DEP_3) | instskip(NEXT) | instid1(VALU_DEP_3)
	v_cndmask_b32_e32 v21, v3, v24, vcc_lo
	v_cndmask_b32_e32 v22, v23, v22, vcc_lo
.LBB43_37:                              ;   in Loop: Header=BB43_35 Depth=2
	s_and_not1_saveexec_b32 s1, s44
	s_cbranch_execz .LBB43_39
; %bb.38:                               ;   in Loop: Header=BB43_35 Depth=2
	v_cvt_f32_u32_e32 v3, s26
	s_sub_i32 s44, 0, s26
	s_delay_alu instid0(VALU_DEP_1) | instskip(SKIP_2) | instid1(VALU_DEP_1)
	v_rcp_iflag_f32_e32 v3, v3
	s_waitcnt_depctr 0xfff
	v_mul_f32_e32 v3, 0x4f7ffffe, v3
	v_cvt_u32_f32_e32 v3, v3
	s_delay_alu instid0(VALU_DEP_1) | instskip(NEXT) | instid1(VALU_DEP_1)
	v_mul_lo_u32 v21, s44, v3
	v_mul_hi_u32 v21, v3, v21
	s_delay_alu instid0(VALU_DEP_1) | instskip(NEXT) | instid1(VALU_DEP_1)
	v_add_nc_u32_e32 v3, v3, v21
	v_mul_hi_u32 v3, v13, v3
	s_delay_alu instid0(VALU_DEP_1) | instskip(SKIP_1) | instid1(VALU_DEP_2)
	v_mul_lo_u32 v21, v3, s26
	v_add_nc_u32_e32 v22, 1, v3
	v_sub_nc_u32_e32 v21, v13, v21
	s_delay_alu instid0(VALU_DEP_1) | instskip(SKIP_1) | instid1(VALU_DEP_2)
	v_subrev_nc_u32_e32 v23, s26, v21
	v_cmp_le_u32_e32 vcc_lo, s26, v21
	v_cndmask_b32_e32 v21, v21, v23, vcc_lo
	v_cndmask_b32_e32 v3, v3, v22, vcc_lo
	s_delay_alu instid0(VALU_DEP_2) | instskip(NEXT) | instid1(VALU_DEP_2)
	v_cmp_le_u32_e32 vcc_lo, s26, v21
	v_add_nc_u32_e32 v22, 1, v3
	s_delay_alu instid0(VALU_DEP_1)
	v_dual_cndmask_b32 v21, v3, v22 :: v_dual_mov_b32 v22, v2
.LBB43_39:                              ;   in Loop: Header=BB43_35 Depth=2
	s_or_b32 exec_lo, exec_lo, s1
	s_load_b64 s[44:45], s[24:25], 0xc8
	s_delay_alu instid0(VALU_DEP_1) | instskip(NEXT) | instid1(VALU_DEP_2)
	v_mul_lo_u32 v3, v22, s26
	v_mul_lo_u32 v25, v21, s27
	v_mad_u64_u32 v[23:24], null, v21, s26, 0
	s_add_i32 s43, s43, -1
	s_add_u32 s24, s24, -8
	s_addc_u32 s25, s25, -1
	s_cmp_gt_u32 s43, 2
	s_delay_alu instid0(VALU_DEP_1) | instskip(NEXT) | instid1(VALU_DEP_2)
	v_add3_u32 v3, v24, v25, v3
	v_sub_co_u32 v23, vcc_lo, v13, v23
	s_delay_alu instid0(VALU_DEP_2) | instskip(SKIP_1) | instid1(VALU_DEP_2)
	v_sub_co_ci_u32_e32 v3, vcc_lo, v14, v3, vcc_lo
	s_waitcnt lgkmcnt(0)
	v_mul_lo_u32 v24, s45, v23
	s_delay_alu instid0(VALU_DEP_2) | instskip(SKIP_1) | instid1(VALU_DEP_1)
	v_mul_lo_u32 v3, s44, v3
	v_mad_u64_u32 v[13:14], null, s44, v23, v[19:20]
	v_add3_u32 v20, v24, v14, v3
	s_delay_alu instid0(VALU_DEP_2)
	v_mov_b32_e32 v19, v13
	s_cbranch_scc0 .LBB43_46
; %bb.40:                               ;   in Loop: Header=BB43_35 Depth=2
	v_dual_mov_b32 v13, v21 :: v_dual_mov_b32 v14, v22
	s_branch .LBB43_35
.LBB43_41:                              ;   in Loop: Header=BB43_42 Depth=2
	s_or_b32 exec_lo, exec_lo, s0
	s_load_b64 s[44:45], s[24:25], 0xc8
	s_delay_alu instid0(VALU_DEP_1)
	v_mul_lo_u32 v3, v16, s26
	v_mul_lo_u32 v21, v15, s27
	v_mad_u64_u32 v[19:20], null, v15, s26, 0
	s_add_i32 s42, s42, -1
	s_add_u32 s24, s24, -8
	s_addc_u32 s25, s25, -1
	s_cmp_gt_u32 s42, 2
	s_delay_alu instid0(VALU_DEP_1) | instskip(NEXT) | instid1(VALU_DEP_2)
	v_add3_u32 v3, v20, v21, v3
	v_sub_co_u32 v19, vcc_lo, v13, v19
	s_delay_alu instid0(VALU_DEP_2) | instskip(SKIP_1) | instid1(VALU_DEP_2)
	v_sub_co_ci_u32_e32 v3, vcc_lo, v14, v3, vcc_lo
	s_waitcnt lgkmcnt(0)
	v_mul_lo_u32 v20, s45, v19
	s_delay_alu instid0(VALU_DEP_2) | instskip(SKIP_1) | instid1(VALU_DEP_1)
	v_mul_lo_u32 v3, s44, v3
	v_mad_u64_u32 v[13:14], null, s44, v19, v[17:18]
	v_add3_u32 v18, v20, v14, v3
	s_delay_alu instid0(VALU_DEP_2)
	v_mov_b32_e32 v17, v13
	v_dual_mov_b32 v13, v15 :: v_dual_mov_b32 v14, v16
	s_cbranch_scc0 .LBB43_32
.LBB43_42:                              ;   Parent Loop BB43_3 Depth=1
                                        ; =>  This Inner Loop Header: Depth=2
	s_load_b64 s[26:27], s[24:25], 0x0
                                        ; implicit-def: $vgpr15_vgpr16
	s_mov_b32 s0, exec_lo
	s_waitcnt lgkmcnt(0)
	v_or_b32_e32 v3, s27, v14
	s_delay_alu instid0(VALU_DEP_1)
	v_cmpx_ne_u64_e32 0, v[2:3]
	s_xor_b32 s43, exec_lo, s0
	s_cbranch_execz .LBB43_44
; %bb.43:                               ;   in Loop: Header=BB43_42 Depth=2
	v_cvt_f32_u32_e32 v3, s26
	v_cvt_f32_u32_e32 v15, s27
	s_sub_u32 s0, 0, s26
	s_subb_u32 s44, 0, s27
	s_delay_alu instid0(VALU_DEP_1) | instskip(NEXT) | instid1(VALU_DEP_1)
	v_fmac_f32_e32 v3, 0x4f800000, v15
	v_rcp_f32_e32 v3, v3
	s_waitcnt_depctr 0xfff
	v_mul_f32_e32 v3, 0x5f7ffffc, v3
	s_delay_alu instid0(VALU_DEP_1) | instskip(NEXT) | instid1(VALU_DEP_1)
	v_mul_f32_e32 v15, 0x2f800000, v3
	v_trunc_f32_e32 v15, v15
	s_delay_alu instid0(VALU_DEP_1) | instskip(SKIP_1) | instid1(VALU_DEP_2)
	v_fmac_f32_e32 v3, 0xcf800000, v15
	v_cvt_u32_f32_e32 v15, v15
	v_cvt_u32_f32_e32 v3, v3
	s_delay_alu instid0(VALU_DEP_2) | instskip(NEXT) | instid1(VALU_DEP_2)
	v_mul_lo_u32 v16, s0, v15
	v_mul_hi_u32 v19, s0, v3
	v_mul_lo_u32 v20, s44, v3
	s_delay_alu instid0(VALU_DEP_2) | instskip(SKIP_1) | instid1(VALU_DEP_2)
	v_add_nc_u32_e32 v16, v19, v16
	v_mul_lo_u32 v19, s0, v3
	v_add_nc_u32_e32 v16, v16, v20
	s_delay_alu instid0(VALU_DEP_2) | instskip(NEXT) | instid1(VALU_DEP_2)
	v_mul_hi_u32 v20, v3, v19
	v_mul_lo_u32 v21, v3, v16
	v_mul_hi_u32 v22, v3, v16
	v_mul_hi_u32 v23, v15, v19
	v_mul_lo_u32 v19, v15, v19
	v_mul_hi_u32 v24, v15, v16
	v_mul_lo_u32 v16, v15, v16
	v_add_co_u32 v20, vcc_lo, v20, v21
	v_add_co_ci_u32_e32 v21, vcc_lo, 0, v22, vcc_lo
	s_delay_alu instid0(VALU_DEP_2) | instskip(NEXT) | instid1(VALU_DEP_2)
	v_add_co_u32 v19, vcc_lo, v20, v19
	v_add_co_ci_u32_e32 v19, vcc_lo, v21, v23, vcc_lo
	v_add_co_ci_u32_e32 v20, vcc_lo, 0, v24, vcc_lo
	s_delay_alu instid0(VALU_DEP_2) | instskip(NEXT) | instid1(VALU_DEP_2)
	v_add_co_u32 v16, vcc_lo, v19, v16
	v_add_co_ci_u32_e32 v19, vcc_lo, 0, v20, vcc_lo
	s_delay_alu instid0(VALU_DEP_2) | instskip(NEXT) | instid1(VALU_DEP_2)
	v_add_co_u32 v3, vcc_lo, v3, v16
	v_add_co_ci_u32_e32 v15, vcc_lo, v15, v19, vcc_lo
	s_delay_alu instid0(VALU_DEP_2) | instskip(SKIP_1) | instid1(VALU_DEP_3)
	v_mul_hi_u32 v16, s0, v3
	v_mul_lo_u32 v20, s44, v3
	v_mul_lo_u32 v19, s0, v15
	s_delay_alu instid0(VALU_DEP_1) | instskip(SKIP_1) | instid1(VALU_DEP_2)
	v_add_nc_u32_e32 v16, v16, v19
	v_mul_lo_u32 v19, s0, v3
	v_add_nc_u32_e32 v16, v16, v20
	s_delay_alu instid0(VALU_DEP_2) | instskip(NEXT) | instid1(VALU_DEP_2)
	v_mul_hi_u32 v20, v3, v19
	v_mul_lo_u32 v21, v3, v16
	v_mul_hi_u32 v22, v3, v16
	v_mul_hi_u32 v23, v15, v19
	v_mul_lo_u32 v19, v15, v19
	v_mul_hi_u32 v24, v15, v16
	v_mul_lo_u32 v16, v15, v16
	v_add_co_u32 v20, vcc_lo, v20, v21
	v_add_co_ci_u32_e32 v21, vcc_lo, 0, v22, vcc_lo
	s_delay_alu instid0(VALU_DEP_2) | instskip(NEXT) | instid1(VALU_DEP_2)
	v_add_co_u32 v19, vcc_lo, v20, v19
	v_add_co_ci_u32_e32 v19, vcc_lo, v21, v23, vcc_lo
	v_add_co_ci_u32_e32 v20, vcc_lo, 0, v24, vcc_lo
	s_delay_alu instid0(VALU_DEP_2) | instskip(NEXT) | instid1(VALU_DEP_2)
	v_add_co_u32 v16, vcc_lo, v19, v16
	v_add_co_ci_u32_e32 v19, vcc_lo, 0, v20, vcc_lo
	s_delay_alu instid0(VALU_DEP_2) | instskip(NEXT) | instid1(VALU_DEP_2)
	v_add_co_u32 v3, vcc_lo, v3, v16
	v_add_co_ci_u32_e32 v23, vcc_lo, v15, v19, vcc_lo
	s_delay_alu instid0(VALU_DEP_2) | instskip(SKIP_1) | instid1(VALU_DEP_3)
	v_mul_hi_u32 v24, v13, v3
	v_mad_u64_u32 v[19:20], null, v14, v3, 0
	v_mad_u64_u32 v[15:16], null, v13, v23, 0
	;; [unrolled: 1-line block ×3, first 2 shown]
	s_delay_alu instid0(VALU_DEP_2) | instskip(NEXT) | instid1(VALU_DEP_3)
	v_add_co_u32 v3, vcc_lo, v24, v15
	v_add_co_ci_u32_e32 v15, vcc_lo, 0, v16, vcc_lo
	s_delay_alu instid0(VALU_DEP_2) | instskip(NEXT) | instid1(VALU_DEP_2)
	v_add_co_u32 v3, vcc_lo, v3, v19
	v_add_co_ci_u32_e32 v3, vcc_lo, v15, v20, vcc_lo
	v_add_co_ci_u32_e32 v15, vcc_lo, 0, v22, vcc_lo
	s_delay_alu instid0(VALU_DEP_2) | instskip(NEXT) | instid1(VALU_DEP_2)
	v_add_co_u32 v3, vcc_lo, v3, v21
	v_add_co_ci_u32_e32 v19, vcc_lo, 0, v15, vcc_lo
	s_delay_alu instid0(VALU_DEP_2) | instskip(SKIP_1) | instid1(VALU_DEP_3)
	v_mul_lo_u32 v20, s27, v3
	v_mad_u64_u32 v[15:16], null, s26, v3, 0
	v_mul_lo_u32 v21, s26, v19
	s_delay_alu instid0(VALU_DEP_2) | instskip(NEXT) | instid1(VALU_DEP_2)
	v_sub_co_u32 v15, vcc_lo, v13, v15
	v_add3_u32 v16, v16, v21, v20
	s_delay_alu instid0(VALU_DEP_1) | instskip(NEXT) | instid1(VALU_DEP_1)
	v_sub_nc_u32_e32 v20, v14, v16
	v_subrev_co_ci_u32_e64 v20, s0, s27, v20, vcc_lo
	v_add_co_u32 v21, s0, v3, 2
	s_delay_alu instid0(VALU_DEP_1) | instskip(SKIP_3) | instid1(VALU_DEP_3)
	v_add_co_ci_u32_e64 v22, s0, 0, v19, s0
	v_sub_co_u32 v23, s0, v15, s26
	v_sub_co_ci_u32_e32 v16, vcc_lo, v14, v16, vcc_lo
	v_subrev_co_ci_u32_e64 v20, s0, 0, v20, s0
	v_cmp_le_u32_e32 vcc_lo, s26, v23
	s_delay_alu instid0(VALU_DEP_3) | instskip(SKIP_1) | instid1(VALU_DEP_4)
	v_cmp_eq_u32_e64 s0, s27, v16
	v_cndmask_b32_e64 v23, 0, -1, vcc_lo
	v_cmp_le_u32_e32 vcc_lo, s27, v20
	v_cndmask_b32_e64 v24, 0, -1, vcc_lo
	v_cmp_le_u32_e32 vcc_lo, s26, v15
	;; [unrolled: 2-line block ×3, first 2 shown]
	v_cndmask_b32_e64 v25, 0, -1, vcc_lo
	v_cmp_eq_u32_e32 vcc_lo, s27, v20
	s_delay_alu instid0(VALU_DEP_2) | instskip(SKIP_3) | instid1(VALU_DEP_3)
	v_cndmask_b32_e64 v15, v25, v15, s0
	v_cndmask_b32_e32 v20, v24, v23, vcc_lo
	v_add_co_u32 v23, vcc_lo, v3, 1
	v_add_co_ci_u32_e32 v24, vcc_lo, 0, v19, vcc_lo
	v_cmp_ne_u32_e32 vcc_lo, 0, v20
	s_delay_alu instid0(VALU_DEP_2) | instskip(NEXT) | instid1(VALU_DEP_4)
	v_cndmask_b32_e32 v16, v24, v22, vcc_lo
	v_cndmask_b32_e32 v20, v23, v21, vcc_lo
	v_cmp_ne_u32_e32 vcc_lo, 0, v15
	s_delay_alu instid0(VALU_DEP_2) | instskip(NEXT) | instid1(VALU_DEP_4)
	v_cndmask_b32_e32 v15, v3, v20, vcc_lo
	v_cndmask_b32_e32 v16, v19, v16, vcc_lo
.LBB43_44:                              ;   in Loop: Header=BB43_42 Depth=2
	s_and_not1_saveexec_b32 s0, s43
	s_cbranch_execz .LBB43_41
; %bb.45:                               ;   in Loop: Header=BB43_42 Depth=2
	v_cvt_f32_u32_e32 v3, s26
	s_sub_i32 s43, 0, s26
	s_delay_alu instid0(VALU_DEP_1) | instskip(SKIP_2) | instid1(VALU_DEP_1)
	v_rcp_iflag_f32_e32 v3, v3
	s_waitcnt_depctr 0xfff
	v_mul_f32_e32 v3, 0x4f7ffffe, v3
	v_cvt_u32_f32_e32 v3, v3
	s_delay_alu instid0(VALU_DEP_1) | instskip(NEXT) | instid1(VALU_DEP_1)
	v_mul_lo_u32 v15, s43, v3
	v_mul_hi_u32 v15, v3, v15
	s_delay_alu instid0(VALU_DEP_1) | instskip(NEXT) | instid1(VALU_DEP_1)
	v_add_nc_u32_e32 v3, v3, v15
	v_mul_hi_u32 v3, v13, v3
	s_delay_alu instid0(VALU_DEP_1) | instskip(SKIP_1) | instid1(VALU_DEP_2)
	v_mul_lo_u32 v15, v3, s26
	v_add_nc_u32_e32 v16, 1, v3
	v_sub_nc_u32_e32 v15, v13, v15
	s_delay_alu instid0(VALU_DEP_1) | instskip(SKIP_1) | instid1(VALU_DEP_2)
	v_subrev_nc_u32_e32 v19, s26, v15
	v_cmp_le_u32_e32 vcc_lo, s26, v15
	v_cndmask_b32_e32 v15, v15, v19, vcc_lo
	v_cndmask_b32_e32 v3, v3, v16, vcc_lo
	s_delay_alu instid0(VALU_DEP_2) | instskip(NEXT) | instid1(VALU_DEP_2)
	v_cmp_le_u32_e32 vcc_lo, s26, v15
	v_add_nc_u32_e32 v16, 1, v3
	s_delay_alu instid0(VALU_DEP_1)
	v_dual_cndmask_b32 v15, v3, v16 :: v_dual_mov_b32 v16, v2
	s_branch .LBB43_41
.LBB43_46:                              ;   in Loop: Header=BB43_3 Depth=1
	s_delay_alu instid0(VALU_DEP_1) | instskip(SKIP_2) | instid1(VALU_DEP_1)
	v_mad_u64_u32 v[13:14], null, s14, v21, v[19:20]
	v_mul_lo_u32 v3, s14, v22
	v_mul_lo_u32 v19, s15, v21
	v_add3_u32 v14, v19, v14, v3
.LBB43_47:                              ;   in Loop: Header=BB43_3 Depth=1
	s_or_b32 exec_lo, exec_lo, s42
	v_mov_b32_e32 v19, 0
	v_mov_b32_e32 v20, 0
	s_and_saveexec_b32 s1, s0
	s_cbranch_execz .LBB43_50
; %bb.48:                               ;   in Loop: Header=BB43_3 Depth=1
	v_mov_b32_e32 v21, 0
	v_mov_b32_e32 v22, 0
	s_and_not1_b32 vcc_lo, exec_lo, s29
	s_mov_b64 s[24:25], s[22:23]
	s_mov_b32 s42, s34
	s_cbranch_vccz .LBB43_59
.LBB43_49:                              ;   in Loop: Header=BB43_3 Depth=1
	s_delay_alu instid0(VALU_DEP_1) | instskip(NEXT) | instid1(VALU_DEP_2)
	v_mad_u64_u32 v[19:20], null, s2, v17, v[21:22]
	v_mul_lo_u32 v3, s2, v18
	v_mul_lo_u32 v17, s3, v17
	s_delay_alu instid0(VALU_DEP_1)
	v_add3_u32 v20, v17, v20, v3
.LBB43_50:                              ;   in Loop: Header=BB43_3 Depth=1
	s_or_b32 exec_lo, exec_lo, s1
	v_dual_mov_b32 v22, v5 :: v_dual_mov_b32 v17, 0
	v_or_b32_e32 v21, 3, v4
	v_mov_b32_e32 v18, 0
	v_cmp_lt_i32_e64 s0, 3, v32
	s_delay_alu instid0(VALU_DEP_1)
	s_and_saveexec_b32 s42, s0
	s_cbranch_execz .LBB43_64
; %bb.51:                               ;   in Loop: Header=BB43_3 Depth=1
	v_mov_b32_e32 v23, 0
	v_dual_mov_b32 v24, 0 :: v_dual_mov_b32 v17, v21
	v_mov_b32_e32 v18, v22
	v_dual_mov_b32 v26, v22 :: v_dual_mov_b32 v25, v21
	s_and_not1_b32 vcc_lo, exec_lo, s28
	s_mov_b64 s[24:25], s[20:21]
	s_mov_b32 s43, s33
	s_cbranch_vccnz .LBB43_63
.LBB43_52:                              ;   Parent Loop BB43_3 Depth=1
                                        ; =>  This Inner Loop Header: Depth=2
	s_load_b64 s[26:27], s[24:25], 0x0
                                        ; implicit-def: $vgpr25_vgpr26
	s_mov_b32 s1, exec_lo
	s_waitcnt lgkmcnt(0)
	v_or_b32_e32 v3, s27, v18
	s_delay_alu instid0(VALU_DEP_1)
	v_cmpx_ne_u64_e32 0, v[2:3]
	s_xor_b32 s44, exec_lo, s1
	s_cbranch_execz .LBB43_54
; %bb.53:                               ;   in Loop: Header=BB43_52 Depth=2
	v_cvt_f32_u32_e32 v3, s26
	v_cvt_f32_u32_e32 v25, s27
	s_sub_u32 s1, 0, s26
	s_subb_u32 s45, 0, s27
	s_delay_alu instid0(VALU_DEP_1) | instskip(NEXT) | instid1(VALU_DEP_1)
	v_fmac_f32_e32 v3, 0x4f800000, v25
	v_rcp_f32_e32 v3, v3
	s_waitcnt_depctr 0xfff
	v_mul_f32_e32 v3, 0x5f7ffffc, v3
	s_delay_alu instid0(VALU_DEP_1) | instskip(NEXT) | instid1(VALU_DEP_1)
	v_mul_f32_e32 v25, 0x2f800000, v3
	v_trunc_f32_e32 v25, v25
	s_delay_alu instid0(VALU_DEP_1) | instskip(SKIP_1) | instid1(VALU_DEP_2)
	v_fmac_f32_e32 v3, 0xcf800000, v25
	v_cvt_u32_f32_e32 v25, v25
	v_cvt_u32_f32_e32 v3, v3
	s_delay_alu instid0(VALU_DEP_2) | instskip(NEXT) | instid1(VALU_DEP_2)
	v_mul_lo_u32 v26, s1, v25
	v_mul_hi_u32 v27, s1, v3
	v_mul_lo_u32 v28, s45, v3
	s_delay_alu instid0(VALU_DEP_2) | instskip(SKIP_1) | instid1(VALU_DEP_2)
	v_add_nc_u32_e32 v26, v27, v26
	v_mul_lo_u32 v27, s1, v3
	v_add_nc_u32_e32 v26, v26, v28
	s_delay_alu instid0(VALU_DEP_2) | instskip(NEXT) | instid1(VALU_DEP_2)
	v_mul_hi_u32 v28, v3, v27
	v_mul_lo_u32 v29, v3, v26
	v_mul_hi_u32 v30, v3, v26
	v_mul_hi_u32 v31, v25, v27
	v_mul_lo_u32 v27, v25, v27
	v_mul_hi_u32 v33, v25, v26
	v_mul_lo_u32 v26, v25, v26
	v_add_co_u32 v28, vcc_lo, v28, v29
	v_add_co_ci_u32_e32 v29, vcc_lo, 0, v30, vcc_lo
	s_delay_alu instid0(VALU_DEP_2) | instskip(NEXT) | instid1(VALU_DEP_2)
	v_add_co_u32 v27, vcc_lo, v28, v27
	v_add_co_ci_u32_e32 v27, vcc_lo, v29, v31, vcc_lo
	v_add_co_ci_u32_e32 v28, vcc_lo, 0, v33, vcc_lo
	s_delay_alu instid0(VALU_DEP_2) | instskip(NEXT) | instid1(VALU_DEP_2)
	v_add_co_u32 v26, vcc_lo, v27, v26
	v_add_co_ci_u32_e32 v27, vcc_lo, 0, v28, vcc_lo
	s_delay_alu instid0(VALU_DEP_2) | instskip(NEXT) | instid1(VALU_DEP_2)
	v_add_co_u32 v3, vcc_lo, v3, v26
	v_add_co_ci_u32_e32 v25, vcc_lo, v25, v27, vcc_lo
	s_delay_alu instid0(VALU_DEP_2) | instskip(SKIP_1) | instid1(VALU_DEP_3)
	v_mul_hi_u32 v26, s1, v3
	v_mul_lo_u32 v28, s45, v3
	v_mul_lo_u32 v27, s1, v25
	s_delay_alu instid0(VALU_DEP_1) | instskip(SKIP_1) | instid1(VALU_DEP_2)
	v_add_nc_u32_e32 v26, v26, v27
	v_mul_lo_u32 v27, s1, v3
	v_add_nc_u32_e32 v26, v26, v28
	s_delay_alu instid0(VALU_DEP_2) | instskip(NEXT) | instid1(VALU_DEP_2)
	v_mul_hi_u32 v28, v3, v27
	v_mul_lo_u32 v29, v3, v26
	v_mul_hi_u32 v30, v3, v26
	v_mul_hi_u32 v31, v25, v27
	v_mul_lo_u32 v27, v25, v27
	v_mul_hi_u32 v33, v25, v26
	v_mul_lo_u32 v26, v25, v26
	v_add_co_u32 v28, vcc_lo, v28, v29
	v_add_co_ci_u32_e32 v29, vcc_lo, 0, v30, vcc_lo
	s_delay_alu instid0(VALU_DEP_2) | instskip(NEXT) | instid1(VALU_DEP_2)
	v_add_co_u32 v27, vcc_lo, v28, v27
	v_add_co_ci_u32_e32 v27, vcc_lo, v29, v31, vcc_lo
	v_add_co_ci_u32_e32 v28, vcc_lo, 0, v33, vcc_lo
	s_delay_alu instid0(VALU_DEP_2) | instskip(NEXT) | instid1(VALU_DEP_2)
	v_add_co_u32 v26, vcc_lo, v27, v26
	v_add_co_ci_u32_e32 v27, vcc_lo, 0, v28, vcc_lo
	s_delay_alu instid0(VALU_DEP_2) | instskip(NEXT) | instid1(VALU_DEP_2)
	v_add_co_u32 v3, vcc_lo, v3, v26
	v_add_co_ci_u32_e32 v31, vcc_lo, v25, v27, vcc_lo
	s_delay_alu instid0(VALU_DEP_2) | instskip(SKIP_1) | instid1(VALU_DEP_3)
	v_mul_hi_u32 v33, v17, v3
	v_mad_u64_u32 v[27:28], null, v18, v3, 0
	v_mad_u64_u32 v[25:26], null, v17, v31, 0
	;; [unrolled: 1-line block ×3, first 2 shown]
	s_delay_alu instid0(VALU_DEP_2) | instskip(NEXT) | instid1(VALU_DEP_3)
	v_add_co_u32 v3, vcc_lo, v33, v25
	v_add_co_ci_u32_e32 v25, vcc_lo, 0, v26, vcc_lo
	s_delay_alu instid0(VALU_DEP_2) | instskip(NEXT) | instid1(VALU_DEP_2)
	v_add_co_u32 v3, vcc_lo, v3, v27
	v_add_co_ci_u32_e32 v3, vcc_lo, v25, v28, vcc_lo
	v_add_co_ci_u32_e32 v25, vcc_lo, 0, v30, vcc_lo
	s_delay_alu instid0(VALU_DEP_2) | instskip(NEXT) | instid1(VALU_DEP_2)
	v_add_co_u32 v3, vcc_lo, v3, v29
	v_add_co_ci_u32_e32 v27, vcc_lo, 0, v25, vcc_lo
	s_delay_alu instid0(VALU_DEP_2) | instskip(SKIP_1) | instid1(VALU_DEP_3)
	v_mul_lo_u32 v28, s27, v3
	v_mad_u64_u32 v[25:26], null, s26, v3, 0
	v_mul_lo_u32 v29, s26, v27
	s_delay_alu instid0(VALU_DEP_2) | instskip(NEXT) | instid1(VALU_DEP_2)
	v_sub_co_u32 v25, vcc_lo, v17, v25
	v_add3_u32 v26, v26, v29, v28
	s_delay_alu instid0(VALU_DEP_1) | instskip(NEXT) | instid1(VALU_DEP_1)
	v_sub_nc_u32_e32 v28, v18, v26
	v_subrev_co_ci_u32_e64 v28, s1, s27, v28, vcc_lo
	v_add_co_u32 v29, s1, v3, 2
	s_delay_alu instid0(VALU_DEP_1) | instskip(SKIP_3) | instid1(VALU_DEP_3)
	v_add_co_ci_u32_e64 v30, s1, 0, v27, s1
	v_sub_co_u32 v31, s1, v25, s26
	v_sub_co_ci_u32_e32 v26, vcc_lo, v18, v26, vcc_lo
	v_subrev_co_ci_u32_e64 v28, s1, 0, v28, s1
	v_cmp_le_u32_e32 vcc_lo, s26, v31
	s_delay_alu instid0(VALU_DEP_3) | instskip(SKIP_1) | instid1(VALU_DEP_4)
	v_cmp_eq_u32_e64 s1, s27, v26
	v_cndmask_b32_e64 v31, 0, -1, vcc_lo
	v_cmp_le_u32_e32 vcc_lo, s27, v28
	v_cndmask_b32_e64 v33, 0, -1, vcc_lo
	v_cmp_le_u32_e32 vcc_lo, s26, v25
	;; [unrolled: 2-line block ×3, first 2 shown]
	v_cndmask_b32_e64 v34, 0, -1, vcc_lo
	v_cmp_eq_u32_e32 vcc_lo, s27, v28
	s_delay_alu instid0(VALU_DEP_2) | instskip(SKIP_3) | instid1(VALU_DEP_3)
	v_cndmask_b32_e64 v25, v34, v25, s1
	v_cndmask_b32_e32 v28, v33, v31, vcc_lo
	v_add_co_u32 v31, vcc_lo, v3, 1
	v_add_co_ci_u32_e32 v33, vcc_lo, 0, v27, vcc_lo
	v_cmp_ne_u32_e32 vcc_lo, 0, v28
	s_delay_alu instid0(VALU_DEP_3) | instskip(NEXT) | instid1(VALU_DEP_3)
	v_cndmask_b32_e32 v28, v31, v29, vcc_lo
	v_cndmask_b32_e32 v26, v33, v30, vcc_lo
	v_cmp_ne_u32_e32 vcc_lo, 0, v25
	s_delay_alu instid0(VALU_DEP_3) | instskip(NEXT) | instid1(VALU_DEP_3)
	v_cndmask_b32_e32 v25, v3, v28, vcc_lo
	v_cndmask_b32_e32 v26, v27, v26, vcc_lo
.LBB43_54:                              ;   in Loop: Header=BB43_52 Depth=2
	s_and_not1_saveexec_b32 s1, s44
	s_cbranch_execz .LBB43_56
; %bb.55:                               ;   in Loop: Header=BB43_52 Depth=2
	v_cvt_f32_u32_e32 v3, s26
	s_sub_i32 s44, 0, s26
	s_delay_alu instid0(VALU_DEP_1) | instskip(SKIP_2) | instid1(VALU_DEP_1)
	v_rcp_iflag_f32_e32 v3, v3
	s_waitcnt_depctr 0xfff
	v_mul_f32_e32 v3, 0x4f7ffffe, v3
	v_cvt_u32_f32_e32 v3, v3
	s_delay_alu instid0(VALU_DEP_1) | instskip(NEXT) | instid1(VALU_DEP_1)
	v_mul_lo_u32 v25, s44, v3
	v_mul_hi_u32 v25, v3, v25
	s_delay_alu instid0(VALU_DEP_1) | instskip(NEXT) | instid1(VALU_DEP_1)
	v_add_nc_u32_e32 v3, v3, v25
	v_mul_hi_u32 v3, v17, v3
	s_delay_alu instid0(VALU_DEP_1) | instskip(SKIP_1) | instid1(VALU_DEP_2)
	v_mul_lo_u32 v25, v3, s26
	v_add_nc_u32_e32 v26, 1, v3
	v_sub_nc_u32_e32 v25, v17, v25
	s_delay_alu instid0(VALU_DEP_1) | instskip(SKIP_1) | instid1(VALU_DEP_2)
	v_subrev_nc_u32_e32 v27, s26, v25
	v_cmp_le_u32_e32 vcc_lo, s26, v25
	v_cndmask_b32_e32 v25, v25, v27, vcc_lo
	v_cndmask_b32_e32 v3, v3, v26, vcc_lo
	s_delay_alu instid0(VALU_DEP_2) | instskip(NEXT) | instid1(VALU_DEP_2)
	v_cmp_le_u32_e32 vcc_lo, s26, v25
	v_add_nc_u32_e32 v26, 1, v3
	s_delay_alu instid0(VALU_DEP_1)
	v_dual_cndmask_b32 v25, v3, v26 :: v_dual_mov_b32 v26, v2
.LBB43_56:                              ;   in Loop: Header=BB43_52 Depth=2
	s_or_b32 exec_lo, exec_lo, s1
	s_load_b64 s[44:45], s[24:25], 0xc8
	s_delay_alu instid0(VALU_DEP_1) | instskip(NEXT) | instid1(VALU_DEP_2)
	v_mul_lo_u32 v3, v26, s26
	v_mul_lo_u32 v29, v25, s27
	v_mad_u64_u32 v[27:28], null, v25, s26, 0
	s_add_i32 s43, s43, -1
	s_add_u32 s24, s24, -8
	s_addc_u32 s25, s25, -1
	s_cmp_gt_u32 s43, 2
	s_delay_alu instid0(VALU_DEP_1) | instskip(NEXT) | instid1(VALU_DEP_2)
	v_add3_u32 v3, v28, v29, v3
	v_sub_co_u32 v27, vcc_lo, v17, v27
	s_delay_alu instid0(VALU_DEP_2) | instskip(SKIP_1) | instid1(VALU_DEP_2)
	v_sub_co_ci_u32_e32 v3, vcc_lo, v18, v3, vcc_lo
	s_waitcnt lgkmcnt(0)
	v_mul_lo_u32 v28, s45, v27
	s_delay_alu instid0(VALU_DEP_2) | instskip(SKIP_1) | instid1(VALU_DEP_1)
	v_mul_lo_u32 v3, s44, v3
	v_mad_u64_u32 v[17:18], null, s44, v27, v[23:24]
	v_add3_u32 v24, v28, v18, v3
	s_delay_alu instid0(VALU_DEP_2)
	v_mov_b32_e32 v23, v17
	s_cbranch_scc0 .LBB43_63
; %bb.57:                               ;   in Loop: Header=BB43_52 Depth=2
	v_dual_mov_b32 v17, v25 :: v_dual_mov_b32 v18, v26
	s_branch .LBB43_52
.LBB43_58:                              ;   in Loop: Header=BB43_59 Depth=2
	s_or_b32 exec_lo, exec_lo, s0
	s_load_b64 s[44:45], s[24:25], 0xc8
	s_delay_alu instid0(VALU_DEP_1)
	v_mul_lo_u32 v3, v20, s26
	v_mul_lo_u32 v25, v19, s27
	v_mad_u64_u32 v[23:24], null, v19, s26, 0
	s_add_i32 s42, s42, -1
	s_add_u32 s24, s24, -8
	s_addc_u32 s25, s25, -1
	s_cmp_gt_u32 s42, 2
	s_delay_alu instid0(VALU_DEP_1) | instskip(NEXT) | instid1(VALU_DEP_2)
	v_add3_u32 v3, v24, v25, v3
	v_sub_co_u32 v23, vcc_lo, v17, v23
	s_delay_alu instid0(VALU_DEP_2) | instskip(SKIP_1) | instid1(VALU_DEP_2)
	v_sub_co_ci_u32_e32 v3, vcc_lo, v18, v3, vcc_lo
	s_waitcnt lgkmcnt(0)
	v_mul_lo_u32 v24, s45, v23
	s_delay_alu instid0(VALU_DEP_2) | instskip(SKIP_1) | instid1(VALU_DEP_1)
	v_mul_lo_u32 v3, s44, v3
	v_mad_u64_u32 v[17:18], null, s44, v23, v[21:22]
	v_add3_u32 v22, v24, v18, v3
	s_delay_alu instid0(VALU_DEP_2)
	v_mov_b32_e32 v21, v17
	v_dual_mov_b32 v17, v19 :: v_dual_mov_b32 v18, v20
	s_cbranch_scc0 .LBB43_49
.LBB43_59:                              ;   Parent Loop BB43_3 Depth=1
                                        ; =>  This Inner Loop Header: Depth=2
	s_load_b64 s[26:27], s[24:25], 0x0
                                        ; implicit-def: $vgpr19_vgpr20
	s_mov_b32 s0, exec_lo
	s_waitcnt lgkmcnt(0)
	v_or_b32_e32 v3, s27, v18
	s_delay_alu instid0(VALU_DEP_1)
	v_cmpx_ne_u64_e32 0, v[2:3]
	s_xor_b32 s43, exec_lo, s0
	s_cbranch_execz .LBB43_61
; %bb.60:                               ;   in Loop: Header=BB43_59 Depth=2
	v_cvt_f32_u32_e32 v3, s26
	v_cvt_f32_u32_e32 v19, s27
	s_sub_u32 s0, 0, s26
	s_subb_u32 s44, 0, s27
	s_delay_alu instid0(VALU_DEP_1) | instskip(NEXT) | instid1(VALU_DEP_1)
	v_fmac_f32_e32 v3, 0x4f800000, v19
	v_rcp_f32_e32 v3, v3
	s_waitcnt_depctr 0xfff
	v_mul_f32_e32 v3, 0x5f7ffffc, v3
	s_delay_alu instid0(VALU_DEP_1) | instskip(NEXT) | instid1(VALU_DEP_1)
	v_mul_f32_e32 v19, 0x2f800000, v3
	v_trunc_f32_e32 v19, v19
	s_delay_alu instid0(VALU_DEP_1) | instskip(SKIP_1) | instid1(VALU_DEP_2)
	v_fmac_f32_e32 v3, 0xcf800000, v19
	v_cvt_u32_f32_e32 v19, v19
	v_cvt_u32_f32_e32 v3, v3
	s_delay_alu instid0(VALU_DEP_2) | instskip(NEXT) | instid1(VALU_DEP_2)
	v_mul_lo_u32 v20, s0, v19
	v_mul_hi_u32 v23, s0, v3
	v_mul_lo_u32 v24, s44, v3
	s_delay_alu instid0(VALU_DEP_2) | instskip(SKIP_1) | instid1(VALU_DEP_2)
	v_add_nc_u32_e32 v20, v23, v20
	v_mul_lo_u32 v23, s0, v3
	v_add_nc_u32_e32 v20, v20, v24
	s_delay_alu instid0(VALU_DEP_2) | instskip(NEXT) | instid1(VALU_DEP_2)
	v_mul_hi_u32 v24, v3, v23
	v_mul_lo_u32 v25, v3, v20
	v_mul_hi_u32 v26, v3, v20
	v_mul_hi_u32 v27, v19, v23
	v_mul_lo_u32 v23, v19, v23
	v_mul_hi_u32 v28, v19, v20
	v_mul_lo_u32 v20, v19, v20
	v_add_co_u32 v24, vcc_lo, v24, v25
	v_add_co_ci_u32_e32 v25, vcc_lo, 0, v26, vcc_lo
	s_delay_alu instid0(VALU_DEP_2) | instskip(NEXT) | instid1(VALU_DEP_2)
	v_add_co_u32 v23, vcc_lo, v24, v23
	v_add_co_ci_u32_e32 v23, vcc_lo, v25, v27, vcc_lo
	v_add_co_ci_u32_e32 v24, vcc_lo, 0, v28, vcc_lo
	s_delay_alu instid0(VALU_DEP_2) | instskip(NEXT) | instid1(VALU_DEP_2)
	v_add_co_u32 v20, vcc_lo, v23, v20
	v_add_co_ci_u32_e32 v23, vcc_lo, 0, v24, vcc_lo
	s_delay_alu instid0(VALU_DEP_2) | instskip(NEXT) | instid1(VALU_DEP_2)
	v_add_co_u32 v3, vcc_lo, v3, v20
	v_add_co_ci_u32_e32 v19, vcc_lo, v19, v23, vcc_lo
	s_delay_alu instid0(VALU_DEP_2) | instskip(SKIP_1) | instid1(VALU_DEP_3)
	v_mul_hi_u32 v20, s0, v3
	v_mul_lo_u32 v24, s44, v3
	v_mul_lo_u32 v23, s0, v19
	s_delay_alu instid0(VALU_DEP_1) | instskip(SKIP_1) | instid1(VALU_DEP_2)
	v_add_nc_u32_e32 v20, v20, v23
	v_mul_lo_u32 v23, s0, v3
	v_add_nc_u32_e32 v20, v20, v24
	s_delay_alu instid0(VALU_DEP_2) | instskip(NEXT) | instid1(VALU_DEP_2)
	v_mul_hi_u32 v24, v3, v23
	v_mul_lo_u32 v25, v3, v20
	v_mul_hi_u32 v26, v3, v20
	v_mul_hi_u32 v27, v19, v23
	v_mul_lo_u32 v23, v19, v23
	v_mul_hi_u32 v28, v19, v20
	v_mul_lo_u32 v20, v19, v20
	v_add_co_u32 v24, vcc_lo, v24, v25
	v_add_co_ci_u32_e32 v25, vcc_lo, 0, v26, vcc_lo
	s_delay_alu instid0(VALU_DEP_2) | instskip(NEXT) | instid1(VALU_DEP_2)
	v_add_co_u32 v23, vcc_lo, v24, v23
	v_add_co_ci_u32_e32 v23, vcc_lo, v25, v27, vcc_lo
	v_add_co_ci_u32_e32 v24, vcc_lo, 0, v28, vcc_lo
	s_delay_alu instid0(VALU_DEP_2) | instskip(NEXT) | instid1(VALU_DEP_2)
	v_add_co_u32 v20, vcc_lo, v23, v20
	v_add_co_ci_u32_e32 v23, vcc_lo, 0, v24, vcc_lo
	s_delay_alu instid0(VALU_DEP_2) | instskip(NEXT) | instid1(VALU_DEP_2)
	v_add_co_u32 v3, vcc_lo, v3, v20
	v_add_co_ci_u32_e32 v27, vcc_lo, v19, v23, vcc_lo
	s_delay_alu instid0(VALU_DEP_2) | instskip(SKIP_1) | instid1(VALU_DEP_3)
	v_mul_hi_u32 v28, v17, v3
	v_mad_u64_u32 v[23:24], null, v18, v3, 0
	v_mad_u64_u32 v[19:20], null, v17, v27, 0
	;; [unrolled: 1-line block ×3, first 2 shown]
	s_delay_alu instid0(VALU_DEP_2) | instskip(NEXT) | instid1(VALU_DEP_3)
	v_add_co_u32 v3, vcc_lo, v28, v19
	v_add_co_ci_u32_e32 v19, vcc_lo, 0, v20, vcc_lo
	s_delay_alu instid0(VALU_DEP_2) | instskip(NEXT) | instid1(VALU_DEP_2)
	v_add_co_u32 v3, vcc_lo, v3, v23
	v_add_co_ci_u32_e32 v3, vcc_lo, v19, v24, vcc_lo
	v_add_co_ci_u32_e32 v19, vcc_lo, 0, v26, vcc_lo
	s_delay_alu instid0(VALU_DEP_2) | instskip(NEXT) | instid1(VALU_DEP_2)
	v_add_co_u32 v3, vcc_lo, v3, v25
	v_add_co_ci_u32_e32 v23, vcc_lo, 0, v19, vcc_lo
	s_delay_alu instid0(VALU_DEP_2) | instskip(SKIP_1) | instid1(VALU_DEP_3)
	v_mul_lo_u32 v24, s27, v3
	v_mad_u64_u32 v[19:20], null, s26, v3, 0
	v_mul_lo_u32 v25, s26, v23
	s_delay_alu instid0(VALU_DEP_2) | instskip(NEXT) | instid1(VALU_DEP_2)
	v_sub_co_u32 v19, vcc_lo, v17, v19
	v_add3_u32 v20, v20, v25, v24
	s_delay_alu instid0(VALU_DEP_1) | instskip(NEXT) | instid1(VALU_DEP_1)
	v_sub_nc_u32_e32 v24, v18, v20
	v_subrev_co_ci_u32_e64 v24, s0, s27, v24, vcc_lo
	v_add_co_u32 v25, s0, v3, 2
	s_delay_alu instid0(VALU_DEP_1) | instskip(SKIP_3) | instid1(VALU_DEP_3)
	v_add_co_ci_u32_e64 v26, s0, 0, v23, s0
	v_sub_co_u32 v27, s0, v19, s26
	v_sub_co_ci_u32_e32 v20, vcc_lo, v18, v20, vcc_lo
	v_subrev_co_ci_u32_e64 v24, s0, 0, v24, s0
	v_cmp_le_u32_e32 vcc_lo, s26, v27
	s_delay_alu instid0(VALU_DEP_3) | instskip(SKIP_1) | instid1(VALU_DEP_4)
	v_cmp_eq_u32_e64 s0, s27, v20
	v_cndmask_b32_e64 v27, 0, -1, vcc_lo
	v_cmp_le_u32_e32 vcc_lo, s27, v24
	v_cndmask_b32_e64 v28, 0, -1, vcc_lo
	v_cmp_le_u32_e32 vcc_lo, s26, v19
	;; [unrolled: 2-line block ×3, first 2 shown]
	v_cndmask_b32_e64 v29, 0, -1, vcc_lo
	v_cmp_eq_u32_e32 vcc_lo, s27, v24
	s_delay_alu instid0(VALU_DEP_2) | instskip(SKIP_3) | instid1(VALU_DEP_3)
	v_cndmask_b32_e64 v19, v29, v19, s0
	v_cndmask_b32_e32 v24, v28, v27, vcc_lo
	v_add_co_u32 v27, vcc_lo, v3, 1
	v_add_co_ci_u32_e32 v28, vcc_lo, 0, v23, vcc_lo
	v_cmp_ne_u32_e32 vcc_lo, 0, v24
	s_delay_alu instid0(VALU_DEP_2) | instskip(NEXT) | instid1(VALU_DEP_4)
	v_cndmask_b32_e32 v20, v28, v26, vcc_lo
	v_cndmask_b32_e32 v24, v27, v25, vcc_lo
	v_cmp_ne_u32_e32 vcc_lo, 0, v19
	s_delay_alu instid0(VALU_DEP_2) | instskip(NEXT) | instid1(VALU_DEP_4)
	v_cndmask_b32_e32 v19, v3, v24, vcc_lo
	v_cndmask_b32_e32 v20, v23, v20, vcc_lo
.LBB43_61:                              ;   in Loop: Header=BB43_59 Depth=2
	s_and_not1_saveexec_b32 s0, s43
	s_cbranch_execz .LBB43_58
; %bb.62:                               ;   in Loop: Header=BB43_59 Depth=2
	v_cvt_f32_u32_e32 v3, s26
	s_sub_i32 s43, 0, s26
	s_delay_alu instid0(VALU_DEP_1) | instskip(SKIP_2) | instid1(VALU_DEP_1)
	v_rcp_iflag_f32_e32 v3, v3
	s_waitcnt_depctr 0xfff
	v_mul_f32_e32 v3, 0x4f7ffffe, v3
	v_cvt_u32_f32_e32 v3, v3
	s_delay_alu instid0(VALU_DEP_1) | instskip(NEXT) | instid1(VALU_DEP_1)
	v_mul_lo_u32 v19, s43, v3
	v_mul_hi_u32 v19, v3, v19
	s_delay_alu instid0(VALU_DEP_1) | instskip(NEXT) | instid1(VALU_DEP_1)
	v_add_nc_u32_e32 v3, v3, v19
	v_mul_hi_u32 v3, v17, v3
	s_delay_alu instid0(VALU_DEP_1) | instskip(SKIP_1) | instid1(VALU_DEP_2)
	v_mul_lo_u32 v19, v3, s26
	v_add_nc_u32_e32 v20, 1, v3
	v_sub_nc_u32_e32 v19, v17, v19
	s_delay_alu instid0(VALU_DEP_1) | instskip(SKIP_1) | instid1(VALU_DEP_2)
	v_subrev_nc_u32_e32 v23, s26, v19
	v_cmp_le_u32_e32 vcc_lo, s26, v19
	v_cndmask_b32_e32 v19, v19, v23, vcc_lo
	v_cndmask_b32_e32 v3, v3, v20, vcc_lo
	s_delay_alu instid0(VALU_DEP_2) | instskip(NEXT) | instid1(VALU_DEP_2)
	v_cmp_le_u32_e32 vcc_lo, s26, v19
	v_add_nc_u32_e32 v20, 1, v3
	s_delay_alu instid0(VALU_DEP_1)
	v_dual_cndmask_b32 v19, v3, v20 :: v_dual_mov_b32 v20, v2
	s_branch .LBB43_58
.LBB43_63:                              ;   in Loop: Header=BB43_3 Depth=1
	s_delay_alu instid0(VALU_DEP_1) | instskip(SKIP_2) | instid1(VALU_DEP_1)
	v_mad_u64_u32 v[17:18], null, s14, v25, v[23:24]
	v_mul_lo_u32 v3, s14, v26
	v_mul_lo_u32 v23, s15, v25
	v_add3_u32 v18, v23, v18, v3
.LBB43_64:                              ;   in Loop: Header=BB43_3 Depth=1
	s_or_b32 exec_lo, exec_lo, s42
	v_mov_b32_e32 v25, 0
	v_mov_b32_e32 v26, 0
	s_and_saveexec_b32 s1, s0
	s_cbranch_execz .LBB43_67
; %bb.65:                               ;   in Loop: Header=BB43_3 Depth=1
	v_mov_b32_e32 v23, 0
	v_mov_b32_e32 v24, 0
	s_and_not1_b32 vcc_lo, exec_lo, s29
	s_mov_b64 s[24:25], s[22:23]
	s_mov_b32 s42, s34
	s_cbranch_vccz .LBB43_97
.LBB43_66:                              ;   in Loop: Header=BB43_3 Depth=1
	s_delay_alu instid0(VALU_DEP_1) | instskip(NEXT) | instid1(VALU_DEP_2)
	v_mad_u64_u32 v[25:26], null, s2, v21, v[23:24]
	v_mul_lo_u32 v3, s2, v22
	v_mul_lo_u32 v21, s3, v21
	s_delay_alu instid0(VALU_DEP_1)
	v_add3_u32 v26, v21, v26, v3
.LBB43_67:                              ;   in Loop: Header=BB43_3 Depth=1
	s_or_b32 exec_lo, exec_lo, s1
	v_lshlrev_b64 v[11:12], 2, v[11:12]
	v_lshlrev_b64 v[15:16], 2, v[15:16]
	;; [unrolled: 1-line block ×4, first 2 shown]
	s_delay_alu instid0(VALU_DEP_4)
	v_add_co_u32 v11, vcc_lo, s12, v11
	v_add_co_ci_u32_e32 v12, vcc_lo, s13, v12, vcc_lo
	v_add_co_u32 v15, vcc_lo, s12, v15
	v_add_co_ci_u32_e32 v16, vcc_lo, s13, v16, vcc_lo
	;; [unrolled: 2-line block ×4, first 2 shown]
	s_clause 0x3
	global_load_b32 v3, v[11:12], off
	global_load_b32 v33, v[15:16], off
	;; [unrolled: 1-line block ×4, first 2 shown]
	v_dual_mov_b32 v20, s9 :: v_dual_mov_b32 v19, s8
	v_dual_mov_b32 v22, s7 :: v_dual_mov_b32 v21, s6
	s_and_not1_b32 vcc_lo, exec_lo, s30
	s_cbranch_vccnz .LBB43_69
; %bb.68:                               ;   in Loop: Header=BB43_3 Depth=1
	v_dual_mov_b32 v12, s9 :: v_dual_mov_b32 v11, s8
	v_dual_mov_b32 v16, s7 :: v_dual_mov_b32 v15, s6
	flat_load_b64 v[11:12], v[11:12]
	flat_load_b64 v[21:22], v[15:16]
	s_waitcnt vmcnt(1) lgkmcnt(1)
	v_add_co_u32 v19, vcc_lo, v11, s10
	v_add_co_ci_u32_e32 v20, vcc_lo, s11, v12, vcc_lo
.LBB43_69:                              ;   in Loop: Header=BB43_3 Depth=1
	s_delay_alu instid0(VALU_DEP_1)
	v_alignbit_b32 v23, v20, v19, 2
	v_lshrrev_b32_e32 v15, 2, v20
	s_waitcnt vmcnt(0) lgkmcnt(0)
	v_add_nc_u32_e32 v36, 0x9e3779b9, v21
	v_add_nc_u32_e32 v38, 0x3c6ef372, v21
	;; [unrolled: 1-line block ×3, first 2 shown]
	v_add_co_u32 v16, vcc_lo, v23, 1
	s_delay_alu instid0(VALU_DEP_1) | instskip(SKIP_4) | instid1(VALU_DEP_4)
	v_cndmask_b32_e64 v11, 0, 1, vcc_lo
	v_add_co_ci_u32_e32 v20, vcc_lo, 0, v15, vcc_lo
	v_xor3_b32 v25, v0, v21, v15
	v_add_nc_u32_e32 v40, 0x32370b8f, v22
	v_add_nc_u32_e32 v41, 0xed9eba14, v22
	v_cmp_eq_u32_e32 vcc_lo, 0, v20
	v_add_nc_u32_e32 v42, 0x646e171e, v22
	v_add_nc_u32_e32 v43, 0x1fd5c5a3, v22
	s_mov_b32 s0, exec_lo
	v_dual_cndmask_b32 v24, 0, v11 :: v_dual_add_nc_u32 v37, 0xbb67ae85, v22
	v_mad_u64_u32 v[11:12], null, 0xd2511f53, v16, 0
	v_mad_u64_u32 v[15:16], null, 0xd2511f53, v23, 0
	s_delay_alu instid0(VALU_DEP_3) | instskip(NEXT) | instid1(VALU_DEP_3)
	v_add_nc_u32_e32 v27, v24, v1
	v_xor_b32_e32 v12, v12, v22
	s_delay_alu instid0(VALU_DEP_2) | instskip(SKIP_1) | instid1(VALU_DEP_1)
	v_cmp_eq_u32_e32 vcc_lo, 0, v27
	v_cndmask_b32_e32 v24, 0, v24, vcc_lo
	v_xor_b32_e32 v12, v24, v12
	v_mad_u64_u32 v[23:24], null, 0xd2511f53, v25, 0
	v_mad_u64_u32 v[25:26], null, 0xcd9e8d57, v27, 0
	s_delay_alu instid0(VALU_DEP_3) | instskip(SKIP_1) | instid1(VALU_DEP_4)
	v_mad_u64_u32 v[27:28], null, 0xcd9e8d57, v12, 0
	v_xor_b32_e32 v12, v16, v22
	v_xor3_b32 v29, v37, v24, v15
	s_delay_alu instid0(VALU_DEP_2) | instskip(SKIP_2) | instid1(VALU_DEP_4)
	v_mad_u64_u32 v[15:16], null, 0xcd9e8d57, v12, 0
	v_xor3_b32 v12, v26, v21, v20
	v_xor3_b32 v20, v36, v28, v25
	v_mad_u64_u32 v[24:25], null, 0xcd9e8d57, v29, 0
	s_delay_alu instid0(VALU_DEP_3) | instskip(NEXT) | instid1(VALU_DEP_3)
	v_mad_u64_u32 v[28:29], null, 0xd2511f53, v12, 0
	v_mad_u64_u32 v[30:31], null, 0xd2511f53, v20, 0
	v_xor3_b32 v12, v6, v16, v36
	s_delay_alu instid0(VALU_DEP_4) | instskip(SKIP_2) | instid1(VALU_DEP_4)
	v_xor3_b32 v25, v38, v25, v15
	v_add_nc_u32_e32 v20, 0xdaa66d2b, v21
	v_xor3_b32 v29, v37, v29, v11
	v_mad_u64_u32 v[15:16], null, 0xd2511f53, v12, 0
	v_xor3_b32 v31, v39, v31, v28
	v_mad_u64_u32 v[11:12], null, 0xd2511f53, v25, 0
	s_delay_alu instid0(VALU_DEP_4) | instskip(NEXT) | instid1(VALU_DEP_3)
	v_mad_u64_u32 v[25:26], null, 0xcd9e8d57, v29, 0
	v_mad_u64_u32 v[28:29], null, 0xcd9e8d57, v31, 0
	v_xor3_b32 v23, v39, v16, v23
	v_add_nc_u32_e32 v31, 0x78dde6e4, v21
	v_xor3_b32 v12, v40, v12, v15
	s_delay_alu instid0(VALU_DEP_3) | instskip(SKIP_2) | instid1(VALU_DEP_4)
	v_mad_u64_u32 v[15:16], null, 0xcd9e8d57, v23, 0
	v_xor3_b32 v23, v38, v26, v27
	v_xor3_b32 v27, v20, v29, v25
	v_mad_u64_u32 v[25:26], null, 0xcd9e8d57, v12, 0
	s_delay_alu instid0(VALU_DEP_3) | instskip(NEXT) | instid1(VALU_DEP_3)
	v_mad_u64_u32 v[36:37], null, 0xd2511f53, v23, 0
	v_mad_u64_u32 v[38:39], null, 0xd2511f53, v27, 0
	v_xor3_b32 v12, v20, v16, v24
	s_delay_alu instid0(VALU_DEP_4) | instskip(SKIP_2) | instid1(VALU_DEP_4)
	v_xor3_b32 v23, v31, v26, v15
	v_add_nc_u32_e32 v20, 0x1715609d, v21
	v_add_nc_u32_e32 v27, 0xa9066899, v22
	v_mad_u64_u32 v[15:16], null, 0xd2511f53, v12, 0
	v_xor3_b32 v12, v40, v37, v30
	v_xor3_b32 v26, v41, v39, v36
	v_mad_u64_u32 v[29:30], null, 0xd2511f53, v23, 0
	s_delay_alu instid0(VALU_DEP_3) | instskip(NEXT) | instid1(VALU_DEP_3)
	v_mad_u64_u32 v[23:24], null, 0xcd9e8d57, v12, 0
	v_mad_u64_u32 v[36:37], null, 0xcd9e8d57, v26, 0
	v_xor3_b32 v16, v41, v16, v11
	s_delay_alu instid0(VALU_DEP_4) | instskip(SKIP_2) | instid1(VALU_DEP_4)
	v_xor3_b32 v26, v27, v30, v15
	v_add_nc_u32_e32 v41, 0xb54cda56, v21
	v_xor3_b32 v28, v31, v24, v28
	v_mad_u64_u32 v[11:12], null, 0xcd9e8d57, v16, 0
	v_xor3_b32 v30, v20, v37, v23
	v_mad_u64_u32 v[15:16], null, 0xcd9e8d57, v26, 0
	s_delay_alu instid0(VALU_DEP_4) | instskip(NEXT) | instid1(VALU_DEP_3)
	v_mad_u64_u32 v[23:24], null, 0xd2511f53, v28, 0
	v_mad_u64_u32 v[39:40], null, 0xd2511f53, v30, 0
	v_xor3_b32 v20, v20, v12, v25
	v_add_nc_u32_e32 v28, 0x5384540f, v21
	v_xor3_b32 v16, v41, v16, v11
	v_add_nc_u32_e32 v37, 0xdb3d7428, v22
	s_delay_alu instid0(VALU_DEP_4) | instskip(SKIP_4) | instid1(VALU_DEP_4)
	v_mad_u64_u32 v[11:12], null, 0xd2511f53, v20, 0
	v_xor3_b32 v20, v27, v24, v38
	v_xor3_b32 v25, v42, v40, v23
	v_mad_u64_u32 v[23:24], null, 0xd2511f53, v16, 0
	v_add_nc_u32_e32 v38, 0x96a522ad, v22
	v_mad_u64_u32 v[30:31], null, 0xcd9e8d57, v20, 0
	s_delay_alu instid0(VALU_DEP_4) | instskip(SKIP_3) | instid1(VALU_DEP_3)
	v_mad_u64_u32 v[26:27], null, 0xcd9e8d57, v25, 0
	v_xor3_b32 v16, v42, v12, v29
	v_xor3_b32 v29, v43, v24, v11
	v_add_co_u32 v20, null, 0xf1bbcdc8, v21
	v_mad_u64_u32 v[11:12], null, 0xcd9e8d57, v16, 0
	v_xor3_b32 v16, v41, v31, v36
	v_xor3_b32 v27, v28, v27, v30
	v_mad_u64_u32 v[24:25], null, 0xcd9e8d57, v29, 0
	v_and_b32_e32 v36, 3, v19
	s_delay_alu instid0(VALU_DEP_4) | instskip(NEXT) | instid1(VALU_DEP_4)
	v_mad_u64_u32 v[40:41], null, 0xd2511f53, v16, 0
	v_mad_u64_u32 v[29:30], null, 0xd2511f53, v27, 0
	v_xor3_b32 v12, v28, v12, v15
	v_xor3_b32 v15, v20, v25, v11
	s_delay_alu instid0(VALU_DEP_4) | instskip(NEXT) | instid1(VALU_DEP_3)
	v_xor3_b32 v16, v43, v41, v39
	v_mad_u64_u32 v[27:28], null, 0xd2511f53, v12, 0
	v_xor3_b32 v25, v37, v30, v40
	s_delay_alu instid0(VALU_DEP_4) | instskip(NEXT) | instid1(VALU_DEP_4)
	v_mad_u64_u32 v[11:12], null, 0xd2511f53, v15, 0
	v_mad_u64_u32 v[30:31], null, 0xcd9e8d57, v16, 0
	s_delay_alu instid0(VALU_DEP_3) | instskip(SKIP_1) | instid1(VALU_DEP_4)
	v_mad_u64_u32 v[15:16], null, 0xcd9e8d57, v25, 0
	v_add_nc_u32_e32 v25, 0x8ff34781, v21
                                        ; implicit-def: $vgpr21
	v_xor3_b32 v22, v12, v27, v38
	s_delay_alu instid0(VALU_DEP_2)
	v_xor3_b32 v12, v16, v30, v25
	v_cmpx_lt_i32_e32 1, v36
	s_xor_b32 s0, exec_lo, s0
	s_cbranch_execz .LBB43_75
; %bb.70:                               ;   in Loop: Header=BB43_3 Depth=1
	s_mov_b32 s1, exec_lo
                                        ; implicit-def: $vgpr21
	v_cmpx_lt_i32_e32 2, v36
	s_xor_b32 s1, exec_lo, s1
; %bb.71:                               ;   in Loop: Header=BB43_3 Depth=1
	v_xor3_b32 v16, v20, v31, v26
                                        ; implicit-def: $vgpr22
	s_delay_alu instid0(VALU_DEP_1) | instskip(NEXT) | instid1(VALU_DEP_1)
	v_mul_hi_u32 v16, 0xd2511f53, v16
	v_xor3_b32 v21, v16, v29, v38
; %bb.72:                               ;   in Loop: Header=BB43_3 Depth=1
	s_and_not1_saveexec_b32 s1, s1
; %bb.73:                               ;   in Loop: Header=BB43_3 Depth=1
	v_mov_b32_e32 v21, v15
	v_dual_mov_b32 v15, v12 :: v_dual_mov_b32 v12, v11
	v_mov_b32_e32 v11, v22
; %bb.74:                               ;   in Loop: Header=BB43_3 Depth=1
	s_or_b32 exec_lo, exec_lo, s1
                                        ; implicit-def: $vgpr23_vgpr24
                                        ; implicit-def: $vgpr36
                                        ; implicit-def: $vgpr22
                                        ; implicit-def: $vgpr37
                                        ; implicit-def: $vgpr27_vgpr28
                                        ; implicit-def: $vgpr24_vgpr25
                                        ; implicit-def: $vgpr25
.LBB43_75:                              ;   in Loop: Header=BB43_3 Depth=1
	s_and_not1_saveexec_b32 s0, s0
	s_cbranch_execz .LBB43_79
; %bb.76:                               ;   in Loop: Header=BB43_3 Depth=1
	v_xor3_b32 v15, v37, v28, v23
	v_mov_b32_e32 v21, v11
	s_mov_b32 s1, exec_lo
	s_delay_alu instid0(VALU_DEP_2) | instskip(NEXT) | instid1(VALU_DEP_1)
	v_mad_u64_u32 v[19:20], null, 0xcd9e8d57, v15, 0
	v_dual_mov_b32 v15, v22 :: v_dual_mov_b32 v16, v19
	s_delay_alu instid0(VALU_DEP_2)
	v_xor3_b32 v20, v20, v24, v25
	v_cmpx_eq_u32_e32 1, v36
; %bb.77:                               ;   in Loop: Header=BB43_3 Depth=1
	v_dual_mov_b32 v21, v12 :: v_dual_mov_b32 v16, v22
	v_mov_b32_e32 v15, v11
	v_mov_b32_e32 v20, v19
; %bb.78:                               ;   in Loop: Header=BB43_3 Depth=1
	s_or_b32 exec_lo, exec_lo, s1
	s_delay_alu instid0(VALU_DEP_1)
	v_mov_b32_e32 v11, v20
	v_mov_b32_e32 v12, v16
.LBB43_79:                              ;   in Loop: Header=BB43_3 Depth=1
	s_or_b32 exec_lo, exec_lo, s0
	v_min_i32_e32 v16, 4, v32
	s_mov_b32 s1, 0
	s_mov_b32 s43, 0
	;; [unrolled: 1-line block ×3, first 2 shown]
                                        ; implicit-def: $sgpr25
                                        ; implicit-def: $sgpr26
                                        ; implicit-def: $sgpr27
	s_mov_b32 s0, exec_lo
	v_cmpx_lt_i32_e32 2, v16
	s_xor_b32 s42, exec_lo, s0
	s_cbranch_execz .LBB43_91
; %bb.80:                               ;   in Loop: Header=BB43_3 Depth=1
	s_mov_b32 s0, -1
	s_mov_b32 s44, 0
	s_mov_b32 s26, exec_lo
                                        ; implicit-def: $sgpr24
                                        ; implicit-def: $sgpr25
	v_cmpx_lt_i32_e32 3, v16
	s_cbranch_execz .LBB43_86
; %bb.81:                               ;   in Loop: Header=BB43_3 Depth=1
	s_mov_b32 s0, 0
	s_mov_b32 s44, -1
	s_mov_b32 s27, exec_lo
                                        ; implicit-def: $sgpr24
                                        ; implicit-def: $sgpr25
	v_cmpx_eq_u32_e32 4, v16
	s_cbranch_execz .LBB43_85
; %bb.82:                               ;   in Loop: Header=BB43_3 Depth=1
	v_cmp_le_f32_e32 vcc_lo, 0, v35
	v_cmp_ge_f32_e64 s0, 1.0, v35
	s_mov_b32 s24, 0
	s_delay_alu instid0(VALU_DEP_1)
	s_and_b32 s44, vcc_lo, s0
	s_mov_b32 s0, 0
	s_and_saveexec_b32 s25, s44
	s_cbranch_execz .LBB43_84
; %bb.83:                               ;   in Loop: Header=BB43_3 Depth=1
	v_cvt_f32_u32_e32 v19, v21
	v_lshlrev_b64 v[17:18], 2, v[17:18]
	s_mov_b32 s0, exec_lo
	s_delay_alu instid0(VALU_DEP_2) | instskip(NEXT) | instid1(VALU_DEP_2)
	v_fmaak_f32 v19, 0x2f800000, v19, 0x2f800000
	v_add_co_u32 v17, vcc_lo, s16, v17
	s_delay_alu instid0(VALU_DEP_3) | instskip(NEXT) | instid1(VALU_DEP_3)
	v_add_co_ci_u32_e32 v18, vcc_lo, s17, v18, vcc_lo
	v_cmp_le_f32_e32 vcc_lo, v19, v35
	v_cndmask_b32_e64 v19, 0, 1, vcc_lo
	global_store_b32 v[17:18], v19, off
.LBB43_84:                              ;   in Loop: Header=BB43_3 Depth=1
	s_or_b32 exec_lo, exec_lo, s25
	s_mov_b32 s25, -1
	s_xor_b32 s44, exec_lo, -1
	s_and_b32 s0, s0, exec_lo
.LBB43_85:                              ;   in Loop: Header=BB43_3 Depth=1
	s_or_b32 exec_lo, exec_lo, s27
	s_delay_alu instid0(SALU_CYCLE_1)
	s_and_b32 s44, s44, exec_lo
	s_or_not1_b32 s0, s0, exec_lo
.LBB43_86:                              ;   in Loop: Header=BB43_3 Depth=1
	s_or_b32 exec_lo, exec_lo, s26
	s_mov_b32 s27, s24
	s_and_saveexec_b32 s26, s0
	s_cbranch_execz .LBB43_90
; %bb.87:                               ;   in Loop: Header=BB43_3 Depth=1
	v_cmp_le_f32_e32 vcc_lo, 0, v34
	v_cmp_ge_f32_e64 s0, 1.0, v34
	s_delay_alu instid0(VALU_DEP_1) | instskip(SKIP_2) | instid1(SALU_CYCLE_1)
	s_and_b32 s27, vcc_lo, s0
	s_mov_b32 s0, 0
	s_and_saveexec_b32 s43, s27
	s_xor_b32 s27, exec_lo, s43
	s_cbranch_execz .LBB43_89
; %bb.88:                               ;   in Loop: Header=BB43_3 Depth=1
	v_cvt_f32_u32_e32 v15, v15
	v_lshlrev_b64 v[13:14], 2, v[13:14]
	s_mov_b32 s0, exec_lo
	s_delay_alu instid0(VALU_DEP_2) | instskip(NEXT) | instid1(VALU_DEP_2)
	v_fmaak_f32 v15, 0x2f800000, v15, 0x2f800000
	v_add_co_u32 v13, vcc_lo, s16, v13
	s_delay_alu instid0(VALU_DEP_3) | instskip(NEXT) | instid1(VALU_DEP_3)
	v_add_co_ci_u32_e32 v14, vcc_lo, s17, v14, vcc_lo
	v_cmp_le_f32_e32 vcc_lo, v15, v34
	v_cndmask_b32_e64 v15, 0, 1, vcc_lo
	global_store_b32 v[13:14], v15, off
.LBB43_89:                              ;   in Loop: Header=BB43_3 Depth=1
	s_or_b32 exec_lo, exec_lo, s27
	s_delay_alu instid0(SALU_CYCLE_1)
	s_and_not1_b32 s27, s24, exec_lo
	s_or_b32 s24, s24, exec_lo
	s_and_not1_b32 s25, s25, exec_lo
	s_and_b32 s43, s0, exec_lo
.LBB43_90:                              ;   in Loop: Header=BB43_3 Depth=1
	s_or_b32 exec_lo, exec_lo, s26
	s_delay_alu instid0(SALU_CYCLE_1)
	s_and_b32 s27, s27, exec_lo
	s_and_b32 s26, s24, exec_lo
	;; [unrolled: 1-line block ×5, first 2 shown]
.LBB43_91:                              ;   in Loop: Header=BB43_3 Depth=1
	s_and_not1_saveexec_b32 s0, s42
; %bb.92:                               ;   in Loop: Header=BB43_3 Depth=1
	v_cmp_lt_i32_e32 vcc_lo, 1, v16
	s_and_not1_b32 s42, s43, exec_lo
	s_mov_b32 s1, exec_lo
	s_and_not1_b32 s27, s27, exec_lo
	s_and_not1_b32 s26, s26, exec_lo
	s_and_b32 s43, vcc_lo, exec_lo
	s_and_not1_b32 s25, s25, exec_lo
	s_or_b32 s43, s42, s43
; %bb.93:                               ;   in Loop: Header=BB43_3 Depth=1
	s_or_b32 exec_lo, exec_lo, s0
	s_mov_b32 s0, 0
	s_mov_b32 s42, s27
	s_and_saveexec_b32 s44, s43
	s_cbranch_execnz .LBB43_101
; %bb.94:                               ;   in Loop: Header=BB43_3 Depth=1
	s_or_b32 exec_lo, exec_lo, s44
	s_and_saveexec_b32 s43, s1
	s_cbranch_execnz .LBB43_104
.LBB43_95:                              ;   in Loop: Header=BB43_3 Depth=1
	s_or_b32 exec_lo, exec_lo, s43
	s_and_saveexec_b32 s1, s0
	s_cbranch_execnz .LBB43_105
	s_branch .LBB43_108
.LBB43_96:                              ;   in Loop: Header=BB43_97 Depth=2
	s_or_b32 exec_lo, exec_lo, s0
	s_load_b64 s[44:45], s[24:25], 0xc8
	s_delay_alu instid0(VALU_DEP_1)
	v_mul_lo_u32 v3, v26, s26
	v_mul_lo_u32 v29, v25, s27
	v_mad_u64_u32 v[27:28], null, v25, s26, 0
	s_add_i32 s42, s42, -1
	s_add_u32 s24, s24, -8
	s_addc_u32 s25, s25, -1
	s_cmp_gt_u32 s42, 2
	s_delay_alu instid0(VALU_DEP_1) | instskip(NEXT) | instid1(VALU_DEP_2)
	v_add3_u32 v3, v28, v29, v3
	v_sub_co_u32 v27, vcc_lo, v21, v27
	s_delay_alu instid0(VALU_DEP_2) | instskip(SKIP_1) | instid1(VALU_DEP_2)
	v_sub_co_ci_u32_e32 v3, vcc_lo, v22, v3, vcc_lo
	s_waitcnt lgkmcnt(0)
	v_mul_lo_u32 v28, s45, v27
	s_delay_alu instid0(VALU_DEP_2) | instskip(SKIP_1) | instid1(VALU_DEP_1)
	v_mul_lo_u32 v3, s44, v3
	v_mad_u64_u32 v[21:22], null, s44, v27, v[23:24]
	v_add3_u32 v24, v28, v22, v3
	s_delay_alu instid0(VALU_DEP_2)
	v_mov_b32_e32 v23, v21
	v_dual_mov_b32 v21, v25 :: v_dual_mov_b32 v22, v26
	s_cbranch_scc0 .LBB43_66
.LBB43_97:                              ;   Parent Loop BB43_3 Depth=1
                                        ; =>  This Inner Loop Header: Depth=2
	s_load_b64 s[26:27], s[24:25], 0x0
                                        ; implicit-def: $vgpr25_vgpr26
	s_mov_b32 s0, exec_lo
	s_waitcnt lgkmcnt(0)
	v_or_b32_e32 v3, s27, v22
	s_delay_alu instid0(VALU_DEP_1)
	v_cmpx_ne_u64_e32 0, v[2:3]
	s_xor_b32 s43, exec_lo, s0
	s_cbranch_execz .LBB43_99
; %bb.98:                               ;   in Loop: Header=BB43_97 Depth=2
	v_cvt_f32_u32_e32 v3, s26
	v_cvt_f32_u32_e32 v25, s27
	s_sub_u32 s0, 0, s26
	s_subb_u32 s44, 0, s27
	s_delay_alu instid0(VALU_DEP_1) | instskip(NEXT) | instid1(VALU_DEP_1)
	v_fmac_f32_e32 v3, 0x4f800000, v25
	v_rcp_f32_e32 v3, v3
	s_waitcnt_depctr 0xfff
	v_mul_f32_e32 v3, 0x5f7ffffc, v3
	s_delay_alu instid0(VALU_DEP_1) | instskip(NEXT) | instid1(VALU_DEP_1)
	v_mul_f32_e32 v25, 0x2f800000, v3
	v_trunc_f32_e32 v25, v25
	s_delay_alu instid0(VALU_DEP_1) | instskip(SKIP_1) | instid1(VALU_DEP_2)
	v_fmac_f32_e32 v3, 0xcf800000, v25
	v_cvt_u32_f32_e32 v25, v25
	v_cvt_u32_f32_e32 v3, v3
	s_delay_alu instid0(VALU_DEP_2) | instskip(NEXT) | instid1(VALU_DEP_2)
	v_mul_lo_u32 v26, s0, v25
	v_mul_hi_u32 v27, s0, v3
	v_mul_lo_u32 v28, s44, v3
	s_delay_alu instid0(VALU_DEP_2) | instskip(SKIP_1) | instid1(VALU_DEP_2)
	v_add_nc_u32_e32 v26, v27, v26
	v_mul_lo_u32 v27, s0, v3
	v_add_nc_u32_e32 v26, v26, v28
	s_delay_alu instid0(VALU_DEP_2) | instskip(NEXT) | instid1(VALU_DEP_2)
	v_mul_hi_u32 v28, v3, v27
	v_mul_lo_u32 v29, v3, v26
	v_mul_hi_u32 v30, v3, v26
	v_mul_hi_u32 v31, v25, v27
	v_mul_lo_u32 v27, v25, v27
	v_mul_hi_u32 v33, v25, v26
	v_mul_lo_u32 v26, v25, v26
	v_add_co_u32 v28, vcc_lo, v28, v29
	v_add_co_ci_u32_e32 v29, vcc_lo, 0, v30, vcc_lo
	s_delay_alu instid0(VALU_DEP_2) | instskip(NEXT) | instid1(VALU_DEP_2)
	v_add_co_u32 v27, vcc_lo, v28, v27
	v_add_co_ci_u32_e32 v27, vcc_lo, v29, v31, vcc_lo
	v_add_co_ci_u32_e32 v28, vcc_lo, 0, v33, vcc_lo
	s_delay_alu instid0(VALU_DEP_2) | instskip(NEXT) | instid1(VALU_DEP_2)
	v_add_co_u32 v26, vcc_lo, v27, v26
	v_add_co_ci_u32_e32 v27, vcc_lo, 0, v28, vcc_lo
	s_delay_alu instid0(VALU_DEP_2) | instskip(NEXT) | instid1(VALU_DEP_2)
	v_add_co_u32 v3, vcc_lo, v3, v26
	v_add_co_ci_u32_e32 v25, vcc_lo, v25, v27, vcc_lo
	s_delay_alu instid0(VALU_DEP_2) | instskip(SKIP_1) | instid1(VALU_DEP_3)
	v_mul_hi_u32 v26, s0, v3
	v_mul_lo_u32 v28, s44, v3
	v_mul_lo_u32 v27, s0, v25
	s_delay_alu instid0(VALU_DEP_1) | instskip(SKIP_1) | instid1(VALU_DEP_2)
	v_add_nc_u32_e32 v26, v26, v27
	v_mul_lo_u32 v27, s0, v3
	v_add_nc_u32_e32 v26, v26, v28
	s_delay_alu instid0(VALU_DEP_2) | instskip(NEXT) | instid1(VALU_DEP_2)
	v_mul_hi_u32 v28, v3, v27
	v_mul_lo_u32 v29, v3, v26
	v_mul_hi_u32 v30, v3, v26
	v_mul_hi_u32 v31, v25, v27
	v_mul_lo_u32 v27, v25, v27
	v_mul_hi_u32 v33, v25, v26
	v_mul_lo_u32 v26, v25, v26
	v_add_co_u32 v28, vcc_lo, v28, v29
	v_add_co_ci_u32_e32 v29, vcc_lo, 0, v30, vcc_lo
	s_delay_alu instid0(VALU_DEP_2) | instskip(NEXT) | instid1(VALU_DEP_2)
	v_add_co_u32 v27, vcc_lo, v28, v27
	v_add_co_ci_u32_e32 v27, vcc_lo, v29, v31, vcc_lo
	v_add_co_ci_u32_e32 v28, vcc_lo, 0, v33, vcc_lo
	s_delay_alu instid0(VALU_DEP_2) | instskip(NEXT) | instid1(VALU_DEP_2)
	v_add_co_u32 v26, vcc_lo, v27, v26
	v_add_co_ci_u32_e32 v27, vcc_lo, 0, v28, vcc_lo
	s_delay_alu instid0(VALU_DEP_2) | instskip(NEXT) | instid1(VALU_DEP_2)
	v_add_co_u32 v3, vcc_lo, v3, v26
	v_add_co_ci_u32_e32 v31, vcc_lo, v25, v27, vcc_lo
	s_delay_alu instid0(VALU_DEP_2) | instskip(SKIP_1) | instid1(VALU_DEP_3)
	v_mul_hi_u32 v33, v21, v3
	v_mad_u64_u32 v[27:28], null, v22, v3, 0
	v_mad_u64_u32 v[25:26], null, v21, v31, 0
	v_mad_u64_u32 v[29:30], null, v22, v31, 0
	s_delay_alu instid0(VALU_DEP_2) | instskip(NEXT) | instid1(VALU_DEP_3)
	v_add_co_u32 v3, vcc_lo, v33, v25
	v_add_co_ci_u32_e32 v25, vcc_lo, 0, v26, vcc_lo
	s_delay_alu instid0(VALU_DEP_2) | instskip(NEXT) | instid1(VALU_DEP_2)
	v_add_co_u32 v3, vcc_lo, v3, v27
	v_add_co_ci_u32_e32 v3, vcc_lo, v25, v28, vcc_lo
	v_add_co_ci_u32_e32 v25, vcc_lo, 0, v30, vcc_lo
	s_delay_alu instid0(VALU_DEP_2) | instskip(NEXT) | instid1(VALU_DEP_2)
	v_add_co_u32 v3, vcc_lo, v3, v29
	v_add_co_ci_u32_e32 v27, vcc_lo, 0, v25, vcc_lo
	s_delay_alu instid0(VALU_DEP_2) | instskip(SKIP_1) | instid1(VALU_DEP_3)
	v_mul_lo_u32 v28, s27, v3
	v_mad_u64_u32 v[25:26], null, s26, v3, 0
	v_mul_lo_u32 v29, s26, v27
	s_delay_alu instid0(VALU_DEP_2) | instskip(NEXT) | instid1(VALU_DEP_2)
	v_sub_co_u32 v25, vcc_lo, v21, v25
	v_add3_u32 v26, v26, v29, v28
	s_delay_alu instid0(VALU_DEP_1) | instskip(NEXT) | instid1(VALU_DEP_1)
	v_sub_nc_u32_e32 v28, v22, v26
	v_subrev_co_ci_u32_e64 v28, s0, s27, v28, vcc_lo
	v_add_co_u32 v29, s0, v3, 2
	s_delay_alu instid0(VALU_DEP_1) | instskip(SKIP_3) | instid1(VALU_DEP_3)
	v_add_co_ci_u32_e64 v30, s0, 0, v27, s0
	v_sub_co_u32 v31, s0, v25, s26
	v_sub_co_ci_u32_e32 v26, vcc_lo, v22, v26, vcc_lo
	v_subrev_co_ci_u32_e64 v28, s0, 0, v28, s0
	v_cmp_le_u32_e32 vcc_lo, s26, v31
	s_delay_alu instid0(VALU_DEP_3) | instskip(SKIP_1) | instid1(VALU_DEP_4)
	v_cmp_eq_u32_e64 s0, s27, v26
	v_cndmask_b32_e64 v31, 0, -1, vcc_lo
	v_cmp_le_u32_e32 vcc_lo, s27, v28
	v_cndmask_b32_e64 v33, 0, -1, vcc_lo
	v_cmp_le_u32_e32 vcc_lo, s26, v25
	;; [unrolled: 2-line block ×3, first 2 shown]
	v_cndmask_b32_e64 v34, 0, -1, vcc_lo
	v_cmp_eq_u32_e32 vcc_lo, s27, v28
	s_delay_alu instid0(VALU_DEP_2) | instskip(SKIP_3) | instid1(VALU_DEP_3)
	v_cndmask_b32_e64 v25, v34, v25, s0
	v_cndmask_b32_e32 v28, v33, v31, vcc_lo
	v_add_co_u32 v31, vcc_lo, v3, 1
	v_add_co_ci_u32_e32 v33, vcc_lo, 0, v27, vcc_lo
	v_cmp_ne_u32_e32 vcc_lo, 0, v28
	s_delay_alu instid0(VALU_DEP_3) | instskip(NEXT) | instid1(VALU_DEP_3)
	v_cndmask_b32_e32 v28, v31, v29, vcc_lo
	v_cndmask_b32_e32 v26, v33, v30, vcc_lo
	v_cmp_ne_u32_e32 vcc_lo, 0, v25
	s_delay_alu instid0(VALU_DEP_3) | instskip(NEXT) | instid1(VALU_DEP_3)
	v_cndmask_b32_e32 v25, v3, v28, vcc_lo
	v_cndmask_b32_e32 v26, v27, v26, vcc_lo
.LBB43_99:                              ;   in Loop: Header=BB43_97 Depth=2
	s_and_not1_saveexec_b32 s0, s43
	s_cbranch_execz .LBB43_96
; %bb.100:                              ;   in Loop: Header=BB43_97 Depth=2
	v_cvt_f32_u32_e32 v3, s26
	s_sub_i32 s43, 0, s26
	s_delay_alu instid0(VALU_DEP_1) | instskip(SKIP_2) | instid1(VALU_DEP_1)
	v_rcp_iflag_f32_e32 v3, v3
	s_waitcnt_depctr 0xfff
	v_mul_f32_e32 v3, 0x4f7ffffe, v3
	v_cvt_u32_f32_e32 v3, v3
	s_delay_alu instid0(VALU_DEP_1) | instskip(NEXT) | instid1(VALU_DEP_1)
	v_mul_lo_u32 v25, s43, v3
	v_mul_hi_u32 v25, v3, v25
	s_delay_alu instid0(VALU_DEP_1) | instskip(NEXT) | instid1(VALU_DEP_1)
	v_add_nc_u32_e32 v3, v3, v25
	v_mul_hi_u32 v3, v21, v3
	s_delay_alu instid0(VALU_DEP_1) | instskip(SKIP_1) | instid1(VALU_DEP_2)
	v_mul_lo_u32 v25, v3, s26
	v_add_nc_u32_e32 v26, 1, v3
	v_sub_nc_u32_e32 v25, v21, v25
	s_delay_alu instid0(VALU_DEP_1) | instskip(SKIP_1) | instid1(VALU_DEP_2)
	v_subrev_nc_u32_e32 v27, s26, v25
	v_cmp_le_u32_e32 vcc_lo, s26, v25
	v_cndmask_b32_e32 v25, v25, v27, vcc_lo
	v_cndmask_b32_e32 v3, v3, v26, vcc_lo
	s_delay_alu instid0(VALU_DEP_2) | instskip(NEXT) | instid1(VALU_DEP_2)
	v_cmp_le_u32_e32 vcc_lo, s26, v25
	v_add_nc_u32_e32 v26, 1, v3
	s_delay_alu instid0(VALU_DEP_1)
	v_dual_cndmask_b32 v25, v3, v26 :: v_dual_mov_b32 v26, v2
	s_branch .LBB43_96
.LBB43_101:                             ;   in Loop: Header=BB43_3 Depth=1
	v_cmp_le_f32_e32 vcc_lo, 0, v33
	v_cmp_ge_f32_e64 s0, 1.0, v33
	s_delay_alu instid0(VALU_DEP_1) | instskip(SKIP_2) | instid1(SALU_CYCLE_1)
	s_and_b32 s42, vcc_lo, s0
	s_mov_b32 s0, 0
	s_and_saveexec_b32 s43, s42
	s_xor_b32 s42, exec_lo, s43
	s_cbranch_execz .LBB43_103
; %bb.102:                              ;   in Loop: Header=BB43_3 Depth=1
	v_cvt_f32_u32_e32 v12, v12
	v_lshlrev_b64 v[9:10], 2, v[9:10]
	s_mov_b32 s0, exec_lo
	s_delay_alu instid0(VALU_DEP_2) | instskip(NEXT) | instid1(VALU_DEP_2)
	v_fmaak_f32 v12, 0x2f800000, v12, 0x2f800000
	v_add_co_u32 v9, vcc_lo, s16, v9
	s_delay_alu instid0(VALU_DEP_3) | instskip(NEXT) | instid1(VALU_DEP_3)
	v_add_co_ci_u32_e32 v10, vcc_lo, s17, v10, vcc_lo
	v_cmp_le_f32_e32 vcc_lo, v12, v33
	v_cndmask_b32_e64 v12, 0, 1, vcc_lo
	global_store_b32 v[9:10], v12, off
.LBB43_103:                             ;   in Loop: Header=BB43_3 Depth=1
	s_or_b32 exec_lo, exec_lo, s42
	s_delay_alu instid0(SALU_CYCLE_1)
	s_and_not1_b32 s42, s27, exec_lo
	s_or_b32 s27, s27, exec_lo
	s_and_not1_b32 s26, s26, exec_lo
	s_and_not1_b32 s25, s25, exec_lo
	s_and_b32 s0, s0, exec_lo
	s_and_not1_b32 s1, s1, exec_lo
	s_or_b32 exec_lo, exec_lo, s44
	s_and_saveexec_b32 s43, s1
	s_cbranch_execz .LBB43_95
.LBB43_104:                             ;   in Loop: Header=BB43_3 Depth=1
	v_cmp_eq_u32_e32 vcc_lo, 1, v16
	s_and_not1_b32 s0, s0, exec_lo
	s_and_not1_b32 s42, s42, exec_lo
	;; [unrolled: 1-line block ×4, first 2 shown]
	s_and_b32 s1, vcc_lo, exec_lo
	s_and_not1_b32 s25, s25, exec_lo
	s_or_b32 s24, s24, exec_lo
	s_or_b32 s0, s0, s1
	s_or_b32 exec_lo, exec_lo, s43
	s_and_saveexec_b32 s1, s0
	s_cbranch_execz .LBB43_108
.LBB43_105:                             ;   in Loop: Header=BB43_3 Depth=1
	v_cmp_le_f32_e32 vcc_lo, 0, v3
	v_cmp_ge_f32_e64 s0, 1.0, v3
	s_delay_alu instid0(VALU_DEP_1)
	s_and_b32 s44, vcc_lo, s0
	s_mov_b32 s0, 0
	s_and_saveexec_b32 s43, s44
	s_cbranch_execz .LBB43_107
; %bb.106:                              ;   in Loop: Header=BB43_3 Depth=1
	v_cvt_f32_u32_e32 v9, v11
	v_lshlrev_b64 v[7:8], 2, v[7:8]
	s_mov_b32 s0, exec_lo
	s_delay_alu instid0(VALU_DEP_2) | instskip(NEXT) | instid1(VALU_DEP_2)
	v_fmaak_f32 v9, 0x2f800000, v9, 0x2f800000
	v_add_co_u32 v7, vcc_lo, s16, v7
	s_delay_alu instid0(VALU_DEP_3) | instskip(NEXT) | instid1(VALU_DEP_3)
	v_add_co_ci_u32_e32 v8, vcc_lo, s17, v8, vcc_lo
	v_cmp_le_f32_e32 vcc_lo, v9, v3
	v_cndmask_b32_e64 v3, 0, 1, vcc_lo
	global_store_b32 v[7:8], v3, off
.LBB43_107:                             ;   in Loop: Header=BB43_3 Depth=1
	s_or_b32 exec_lo, exec_lo, s43
	s_delay_alu instid0(SALU_CYCLE_1)
	s_and_not1_b32 s24, s24, exec_lo
	s_and_b32 s0, s0, exec_lo
	s_or_b32 s42, s42, exec_lo
	s_and_not1_b32 s27, s27, exec_lo
	s_and_not1_b32 s26, s26, exec_lo
	s_and_not1_b32 s25, s25, exec_lo
	s_or_b32 s24, s24, s0
.LBB43_108:                             ;   in Loop: Header=BB43_3 Depth=1
	s_or_b32 exec_lo, exec_lo, s1
	s_delay_alu instid0(SALU_CYCLE_1)
	s_and_not1_b32 s1, s41, exec_lo
	s_and_b32 s41, s42, exec_lo
	s_and_not1_b32 s39, s39, exec_lo
	s_and_b32 s27, s27, exec_lo
	s_or_b32 s41, s1, s41
	s_or_b32 s39, s39, s27
	s_and_not1_b32 s1, s40, exec_lo
	s_and_b32 s26, s26, exec_lo
	s_and_not1_b32 s27, s38, exec_lo
	s_and_b32 s25, s25, exec_lo
	s_mov_b32 s0, -1
	s_or_b32 s40, s1, s26
	s_or_b32 s38, s27, s25
	s_and_saveexec_b32 s1, s24
	s_cbranch_execz .LBB43_2
; %bb.109:                              ;   in Loop: Header=BB43_3 Depth=1
	v_add_co_u32 v4, vcc_lo, v4, s31
	v_add_co_ci_u32_e32 v5, vcc_lo, 0, v5, vcc_lo
	s_and_not1_b32 s41, s41, exec_lo
	s_and_not1_b32 s39, s39, exec_lo
	;; [unrolled: 1-line block ×3, first 2 shown]
	s_delay_alu instid0(VALU_DEP_1)
	v_cmp_le_u64_e32 vcc_lo, s[4:5], v[4:5]
	s_and_not1_b32 s38, s38, exec_lo
	s_or_not1_b32 s0, vcc_lo, exec_lo
	s_branch .LBB43_2
.LBB43_110:
	s_or_b32 exec_lo, exec_lo, s19
	s_xor_b32 s3, s36, -1
	s_xor_b32 s4, s37, -1
	;; [unrolled: 1-line block ×3, first 2 shown]
	s_mov_b32 s1, 0
	s_and_saveexec_b32 s2, s0
	s_delay_alu instid0(SALU_CYCLE_1)
	s_xor_b32 s0, exec_lo, s2
	s_cbranch_execz .LBB43_119
; %bb.111:
	s_mov_b32 s2, 0
	s_and_saveexec_b32 s1, s4
	s_delay_alu instid0(SALU_CYCLE_1)
	s_xor_b32 s1, exec_lo, s1
	s_cbranch_execz .LBB43_117
; %bb.112:
	s_and_saveexec_b32 s4, s3
	s_delay_alu instid0(SALU_CYCLE_1)
	s_xor_b32 s3, exec_lo, s4
	s_cbranch_execz .LBB43_115
; %bb.113:
	s_and_saveexec_b32 s4, s18
	s_delay_alu instid0(SALU_CYCLE_1)
	s_xor_b32 s4, exec_lo, s4
	s_cbranch_execnz .LBB43_133
.LBB43_114:
	s_or_b32 exec_lo, exec_lo, s4
	s_delay_alu instid0(SALU_CYCLE_1)
	s_and_b32 s2, s2, exec_lo
.LBB43_115:
	s_and_not1_saveexec_b32 s3, s3
	s_cbranch_execnz .LBB43_129
.LBB43_116:
	s_or_b32 exec_lo, exec_lo, s3
	s_delay_alu instid0(SALU_CYCLE_1)
	s_and_b32 s2, s2, exec_lo
.LBB43_117:
	s_and_not1_saveexec_b32 s1, s1
	s_cbranch_execnz .LBB43_125
.LBB43_118:
	s_or_b32 exec_lo, exec_lo, s1
	s_delay_alu instid0(SALU_CYCLE_1)
	s_and_b32 s1, s2, exec_lo
.LBB43_119:
	s_and_not1_saveexec_b32 s0, s0
	s_cbranch_execnz .LBB43_123
; %bb.120:
	s_or_b32 exec_lo, exec_lo, s0
	s_delay_alu instid0(SALU_CYCLE_1)
	s_and_b32 exec_lo, exec_lo, s1
.LBB43_121:
	; divergent unreachable
.LBB43_122:
	s_nop 0
	s_sendmsg sendmsg(MSG_DEALLOC_VGPRS)
	s_endpgm
.LBB43_123:
	s_cbranch_execnz .LBB43_127
; %bb.124:
	s_or_b32 s1, s1, exec_lo
	s_or_b32 exec_lo, exec_lo, s0
	s_delay_alu instid0(SALU_CYCLE_1)
	s_and_b32 exec_lo, exec_lo, s1
	s_cbranch_execnz .LBB43_121
	s_branch .LBB43_122
.LBB43_125:
	s_cbranch_execnz .LBB43_131
; %bb.126:
	s_or_b32 s2, s2, exec_lo
	s_branch .LBB43_118
.LBB43_127:
	s_trap 2
	s_sendmsg_rtn_b32 s0, sendmsg(MSG_RTN_GET_DOORBELL)
	s_mov_b32 ttmp2, m0
	s_waitcnt lgkmcnt(0)
	s_and_b32 s0, s0, 0x3ff
	s_delay_alu instid0(SALU_CYCLE_1) | instskip(NEXT) | instid1(SALU_CYCLE_1)
	s_bitset1_b32 s0, 10
	s_mov_b32 m0, s0
	s_sendmsg sendmsg(MSG_INTERRUPT)
	s_mov_b32 m0, ttmp2
.LBB43_128:                             ; =>This Inner Loop Header: Depth=1
	s_sethalt 5
	s_branch .LBB43_128
.LBB43_129:
	s_cbranch_execnz .LBB43_135
; %bb.130:
	s_or_b32 s2, s2, exec_lo
	s_branch .LBB43_116
.LBB43_131:
	s_trap 2
	s_sendmsg_rtn_b32 s0, sendmsg(MSG_RTN_GET_DOORBELL)
	s_mov_b32 ttmp2, m0
	s_waitcnt lgkmcnt(0)
	s_and_b32 s0, s0, 0x3ff
	s_delay_alu instid0(SALU_CYCLE_1) | instskip(NEXT) | instid1(SALU_CYCLE_1)
	s_bitset1_b32 s0, 10
	s_mov_b32 m0, s0
	s_sendmsg sendmsg(MSG_INTERRUPT)
	s_mov_b32 m0, ttmp2
.LBB43_132:                             ; =>This Inner Loop Header: Depth=1
	s_sethalt 5
	s_branch .LBB43_132
.LBB43_133:
	s_cbranch_execnz .LBB43_137
; %bb.134:
	s_mov_b32 s2, exec_lo
	s_branch .LBB43_114
.LBB43_135:
	s_trap 2
	s_sendmsg_rtn_b32 s0, sendmsg(MSG_RTN_GET_DOORBELL)
	s_mov_b32 ttmp2, m0
	s_waitcnt lgkmcnt(0)
	s_and_b32 s0, s0, 0x3ff
	s_delay_alu instid0(SALU_CYCLE_1) | instskip(NEXT) | instid1(SALU_CYCLE_1)
	s_bitset1_b32 s0, 10
	s_mov_b32 m0, s0
	s_sendmsg sendmsg(MSG_INTERRUPT)
	s_mov_b32 m0, ttmp2
.LBB43_136:                             ; =>This Inner Loop Header: Depth=1
	s_sethalt 5
	s_branch .LBB43_136
.LBB43_137:
	s_trap 2
	s_sendmsg_rtn_b32 s0, sendmsg(MSG_RTN_GET_DOORBELL)
	s_mov_b32 ttmp2, m0
	s_waitcnt lgkmcnt(0)
	s_and_b32 s0, s0, 0x3ff
	s_delay_alu instid0(SALU_CYCLE_1) | instskip(NEXT) | instid1(SALU_CYCLE_1)
	s_bitset1_b32 s0, 10
	s_mov_b32 m0, s0
	s_sendmsg sendmsg(MSG_INTERRUPT)
	s_mov_b32 m0, ttmp2
.LBB43_138:                             ; =>This Inner Loop Header: Depth=1
	s_sethalt 5
	s_branch .LBB43_138
	.section	.rodata,"a",@progbits
	.p2align	6, 0x0
	.amdhsa_kernel _ZN2at4cuda12_GLOBAL__N_121kernelPointwiseApply2IZNS_6native9templates4cuda28bernoulli_tensor_cuda_kernelIifEEvRKNS_10TensorBaseES9_NS_15PhiloxCudaStateEEUliRiSB_SB_SB_RKfSD_SD_SD_E_iSC_mLin1ELin1ELi4ELi512ELi2EEEvNS0_6detail10TensorInfoIT0_T2_EENSG_IT1_SI_EESI_T_
		.amdhsa_group_segment_fixed_size 0
		.amdhsa_private_segment_fixed_size 0
		.amdhsa_kernarg_size 1128
		.amdhsa_user_sgpr_count 15
		.amdhsa_user_sgpr_dispatch_ptr 0
		.amdhsa_user_sgpr_queue_ptr 0
		.amdhsa_user_sgpr_kernarg_segment_ptr 1
		.amdhsa_user_sgpr_dispatch_id 0
		.amdhsa_user_sgpr_private_segment_size 0
		.amdhsa_wavefront_size32 1
		.amdhsa_uses_dynamic_stack 0
		.amdhsa_enable_private_segment 0
		.amdhsa_system_sgpr_workgroup_id_x 1
		.amdhsa_system_sgpr_workgroup_id_y 0
		.amdhsa_system_sgpr_workgroup_id_z 0
		.amdhsa_system_sgpr_workgroup_info 0
		.amdhsa_system_vgpr_workitem_id 0
		.amdhsa_next_free_vgpr 44
		.amdhsa_next_free_sgpr 46
		.amdhsa_reserve_vcc 1
		.amdhsa_float_round_mode_32 0
		.amdhsa_float_round_mode_16_64 0
		.amdhsa_float_denorm_mode_32 3
		.amdhsa_float_denorm_mode_16_64 3
		.amdhsa_dx10_clamp 1
		.amdhsa_ieee_mode 1
		.amdhsa_fp16_overflow 0
		.amdhsa_workgroup_processor_mode 1
		.amdhsa_memory_ordered 1
		.amdhsa_forward_progress 0
		.amdhsa_shared_vgpr_count 0
		.amdhsa_exception_fp_ieee_invalid_op 0
		.amdhsa_exception_fp_denorm_src 0
		.amdhsa_exception_fp_ieee_div_zero 0
		.amdhsa_exception_fp_ieee_overflow 0
		.amdhsa_exception_fp_ieee_underflow 0
		.amdhsa_exception_fp_ieee_inexact 0
		.amdhsa_exception_int_div_zero 0
	.end_amdhsa_kernel
	.section	.text._ZN2at4cuda12_GLOBAL__N_121kernelPointwiseApply2IZNS_6native9templates4cuda28bernoulli_tensor_cuda_kernelIifEEvRKNS_10TensorBaseES9_NS_15PhiloxCudaStateEEUliRiSB_SB_SB_RKfSD_SD_SD_E_iSC_mLin1ELin1ELi4ELi512ELi2EEEvNS0_6detail10TensorInfoIT0_T2_EENSG_IT1_SI_EESI_T_,"axG",@progbits,_ZN2at4cuda12_GLOBAL__N_121kernelPointwiseApply2IZNS_6native9templates4cuda28bernoulli_tensor_cuda_kernelIifEEvRKNS_10TensorBaseES9_NS_15PhiloxCudaStateEEUliRiSB_SB_SB_RKfSD_SD_SD_E_iSC_mLin1ELin1ELi4ELi512ELi2EEEvNS0_6detail10TensorInfoIT0_T2_EENSG_IT1_SI_EESI_T_,comdat
.Lfunc_end43:
	.size	_ZN2at4cuda12_GLOBAL__N_121kernelPointwiseApply2IZNS_6native9templates4cuda28bernoulli_tensor_cuda_kernelIifEEvRKNS_10TensorBaseES9_NS_15PhiloxCudaStateEEUliRiSB_SB_SB_RKfSD_SD_SD_E_iSC_mLin1ELin1ELi4ELi512ELi2EEEvNS0_6detail10TensorInfoIT0_T2_EENSG_IT1_SI_EESI_T_, .Lfunc_end43-_ZN2at4cuda12_GLOBAL__N_121kernelPointwiseApply2IZNS_6native9templates4cuda28bernoulli_tensor_cuda_kernelIifEEvRKNS_10TensorBaseES9_NS_15PhiloxCudaStateEEUliRiSB_SB_SB_RKfSD_SD_SD_E_iSC_mLin1ELin1ELi4ELi512ELi2EEEvNS0_6detail10TensorInfoIT0_T2_EENSG_IT1_SI_EESI_T_
                                        ; -- End function
	.section	.AMDGPU.csdata,"",@progbits
; Kernel info:
; codeLenInByte = 12420
; NumSgprs: 48
; NumVgprs: 44
; ScratchSize: 0
; MemoryBound: 0
; FloatMode: 240
; IeeeMode: 1
; LDSByteSize: 0 bytes/workgroup (compile time only)
; SGPRBlocks: 5
; VGPRBlocks: 5
; NumSGPRsForWavesPerEU: 48
; NumVGPRsForWavesPerEU: 44
; Occupancy: 16
; WaveLimiterHint : 1
; COMPUTE_PGM_RSRC2:SCRATCH_EN: 0
; COMPUTE_PGM_RSRC2:USER_SGPR: 15
; COMPUTE_PGM_RSRC2:TRAP_HANDLER: 0
; COMPUTE_PGM_RSRC2:TGID_X_EN: 1
; COMPUTE_PGM_RSRC2:TGID_Y_EN: 0
; COMPUTE_PGM_RSRC2:TGID_Z_EN: 0
; COMPUTE_PGM_RSRC2:TIDIG_COMP_CNT: 0
	.section	.text._ZN2at4cuda12_GLOBAL__N_121kernelPointwiseApply2IZNS_6native9templates4cuda28bernoulli_tensor_cuda_kernelIlfEEvRKNS_10TensorBaseES9_NS_15PhiloxCudaStateEEUliRlSB_SB_SB_RKfSD_SD_SD_E_lSC_jLi1ELi1ELi4ELi512ELi2EEEvNS0_6detail10TensorInfoIT0_T2_EENSG_IT1_SI_EESI_T_,"axG",@progbits,_ZN2at4cuda12_GLOBAL__N_121kernelPointwiseApply2IZNS_6native9templates4cuda28bernoulli_tensor_cuda_kernelIlfEEvRKNS_10TensorBaseES9_NS_15PhiloxCudaStateEEUliRlSB_SB_SB_RKfSD_SD_SD_E_lSC_jLi1ELi1ELi4ELi512ELi2EEEvNS0_6detail10TensorInfoIT0_T2_EENSG_IT1_SI_EESI_T_,comdat
	.globl	_ZN2at4cuda12_GLOBAL__N_121kernelPointwiseApply2IZNS_6native9templates4cuda28bernoulli_tensor_cuda_kernelIlfEEvRKNS_10TensorBaseES9_NS_15PhiloxCudaStateEEUliRlSB_SB_SB_RKfSD_SD_SD_E_lSC_jLi1ELi1ELi4ELi512ELi2EEEvNS0_6detail10TensorInfoIT0_T2_EENSG_IT1_SI_EESI_T_ ; -- Begin function _ZN2at4cuda12_GLOBAL__N_121kernelPointwiseApply2IZNS_6native9templates4cuda28bernoulli_tensor_cuda_kernelIlfEEvRKNS_10TensorBaseES9_NS_15PhiloxCudaStateEEUliRlSB_SB_SB_RKfSD_SD_SD_E_lSC_jLi1ELi1ELi4ELi512ELi2EEEvNS0_6detail10TensorInfoIT0_T2_EENSG_IT1_SI_EESI_T_
	.p2align	8
	.type	_ZN2at4cuda12_GLOBAL__N_121kernelPointwiseApply2IZNS_6native9templates4cuda28bernoulli_tensor_cuda_kernelIlfEEvRKNS_10TensorBaseES9_NS_15PhiloxCudaStateEEUliRlSB_SB_SB_RKfSD_SD_SD_E_lSC_jLi1ELi1ELi4ELi512ELi2EEEvNS0_6detail10TensorInfoIT0_T2_EENSG_IT1_SI_EESI_T_,@function
_ZN2at4cuda12_GLOBAL__N_121kernelPointwiseApply2IZNS_6native9templates4cuda28bernoulli_tensor_cuda_kernelIlfEEvRKNS_10TensorBaseES9_NS_15PhiloxCudaStateEEUliRlSB_SB_SB_RKfSD_SD_SD_E_lSC_jLi1ELi1ELi4ELi512ELi2EEEvNS0_6detail10TensorInfoIT0_T2_EENSG_IT1_SI_EESI_T_: ; @_ZN2at4cuda12_GLOBAL__N_121kernelPointwiseApply2IZNS_6native9templates4cuda28bernoulli_tensor_cuda_kernelIlfEEvRKNS_10TensorBaseES9_NS_15PhiloxCudaStateEEUliRlSB_SB_SB_RKfSD_SD_SD_E_lSC_jLi1ELi1ELi4ELi512ELi2EEEvNS0_6detail10TensorInfoIT0_T2_EENSG_IT1_SI_EESI_T_
; %bb.0:
	s_clause 0x1
	s_load_b32 s4, s[0:1], 0x1e4
	s_load_b32 s5, s[0:1], 0x1b0
	s_add_u32 s2, s0, 0x1d8
	s_addc_u32 s3, s1, 0
	s_mov_b32 s6, exec_lo
	s_waitcnt lgkmcnt(0)
	s_and_b32 s4, s4, 0xffff
	s_delay_alu instid0(SALU_CYCLE_1) | instskip(NEXT) | instid1(VALU_DEP_1)
	v_mad_u64_u32 v[1:2], null, s15, s4, v[0:1]
	v_lshlrev_b32_e32 v0, 2, v1
	s_delay_alu instid0(VALU_DEP_1)
	v_cmpx_gt_u32_e64 s5, v0
	s_cbranch_execz .LBB44_51
; %bb.1:
	s_load_b32 s3, s[2:3], 0x0
	s_clause 0x4
	s_load_b32 s17, s[0:1], 0x1d0
	s_load_b32 s2, s[0:1], 0x6c
	s_load_b32 s22, s[0:1], 0x144
	s_load_b64 s[6:7], s[0:1], 0x0
	s_load_b64 s[12:13], s[0:1], 0xd8
	v_mad_u64_u32 v[2:3], null, 0xcd9e8d57, v1, 0
	s_clause 0x1
	s_load_b64 s[14:15], s[0:1], 0x1c8
	s_load_b128 s[8:11], s[0:1], 0x1b8
	v_dual_mov_b32 v4, 0 :: v_dual_add_nc_u32 v9, 3, v0
	v_add_nc_u32_e32 v8, 2, v0
	v_sub_nc_u32_e32 v24, s5, v0
	s_mov_b32 s16, 0
	v_mov_b32_e32 v25, v3
	s_mov_b32 s25, 0
                                        ; implicit-def: $sgpr24
                                        ; implicit-def: $sgpr27
                                        ; implicit-def: $sgpr26
                                        ; implicit-def: $sgpr28
                                        ; implicit-def: $sgpr30
                                        ; implicit-def: $sgpr29
                                        ; implicit-def: $sgpr31
	s_waitcnt lgkmcnt(0)
	s_mul_i32 s0, s3, s4
	s_bitcmp1_b32 s17, 0
	v_mul_lo_u32 v3, s2, v1
	v_mul_lo_u32 v10, s22, v1
	v_mad_u64_u32 v[5:6], null, s2, v0, s[2:3]
	v_mul_lo_u32 v26, s2, v8
	v_mul_lo_u32 v27, s2, v9
	v_mad_u64_u32 v[6:7], null, s22, v0, s[22:23]
	v_mul_lo_u32 v29, s22, v8
	v_mul_lo_u32 v30, s22, v9
	v_lshlrev_b32_e32 v28, 2, v3
	v_lshlrev_b32_e32 v31, 2, v10
	s_mul_i32 s1, s0, s2
	s_cselect_b32 s18, -1, 0
	s_lshl_b32 s19, s0, 2
	s_mul_i32 s0, s0, s22
	s_lshl_b32 s20, s1, 2
	s_lshl_b32 s21, s0, 2
	s_mov_b32 s22, 0
	s_mov_b32 s23, 0
                                        ; implicit-def: $sgpr17
	s_branch .LBB44_3
.LBB44_2:                               ;   in Loop: Header=BB44_3 Depth=1
	s_or_b32 exec_lo, exec_lo, s1
	s_delay_alu instid0(SALU_CYCLE_1) | instskip(NEXT) | instid1(SALU_CYCLE_1)
	s_and_b32 s0, exec_lo, s0
	s_or_b32 s22, s0, s22
	s_and_not1_b32 s0, s17, exec_lo
	s_and_b32 s1, s31, exec_lo
	s_and_not1_b32 s2, s26, exec_lo
	s_and_b32 s3, s29, exec_lo
	s_or_b32 s17, s0, s1
	s_or_b32 s26, s2, s3
	s_and_not1_b32 s0, s27, exec_lo
	s_and_b32 s1, s30, exec_lo
	s_and_not1_b32 s2, s24, exec_lo
	s_and_b32 s3, s28, exec_lo
	s_or_b32 s27, s0, s1
	s_or_b32 s24, s2, s3
	s_and_not1_b32 exec_lo, exec_lo, s22
	s_cbranch_execz .LBB44_39
.LBB44_3:                               ; =>This Inner Loop Header: Depth=1
	v_add_nc_u32_e32 v3, s23, v31
	v_cmp_lt_i32_e64 s0, 0, v24
	v_add_nc_u32_e32 v9, s23, v6
	v_cmp_lt_i32_e64 s1, 1, v24
	;; [unrolled: 2-line block ×3, first 2 shown]
	v_cndmask_b32_e64 v3, 0, v3, s0
	v_add_nc_u32_e32 v13, s23, v30
	v_cmp_lt_i32_e64 s3, 3, v24
	s_delay_alu instid0(VALU_DEP_3) | instskip(SKIP_1) | instid1(VALU_DEP_1)
	v_lshlrev_b64 v[7:8], 2, v[3:4]
	v_cndmask_b32_e64 v3, 0, v9, s1
	v_lshlrev_b64 v[9:10], 2, v[3:4]
	v_cndmask_b32_e64 v3, 0, v11, s2
	s_delay_alu instid0(VALU_DEP_4) | instskip(SKIP_1) | instid1(VALU_DEP_3)
	v_add_co_u32 v7, vcc_lo, s12, v7
	v_add_co_ci_u32_e32 v8, vcc_lo, s13, v8, vcc_lo
	v_lshlrev_b64 v[11:12], 2, v[3:4]
	v_cndmask_b32_e64 v3, 0, v13, s3
	v_add_co_u32 v9, vcc_lo, s12, v9
	v_add_co_ci_u32_e32 v10, vcc_lo, s13, v10, vcc_lo
	s_delay_alu instid0(VALU_DEP_3) | instskip(SKIP_2) | instid1(VALU_DEP_3)
	v_lshlrev_b64 v[13:14], 2, v[3:4]
	v_add_co_u32 v11, vcc_lo, s12, v11
	v_add_co_ci_u32_e32 v12, vcc_lo, s13, v12, vcc_lo
	v_add_co_u32 v13, vcc_lo, s12, v13
	s_delay_alu instid0(VALU_DEP_4)
	v_add_co_ci_u32_e32 v14, vcc_lo, s13, v14, vcc_lo
	s_clause 0x3
	global_load_b32 v32, v[7:8], off
	global_load_b32 v33, v[9:10], off
	;; [unrolled: 1-line block ×4, first 2 shown]
	v_mov_b32_e32 v14, s9
	v_dual_mov_b32 v12, s11 :: v_dual_mov_b32 v11, s10
	v_mov_b32_e32 v13, s8
	s_and_not1_b32 vcc_lo, exec_lo, s18
	s_cbranch_vccnz .LBB44_5
; %bb.4:                                ;   in Loop: Header=BB44_3 Depth=1
	v_dual_mov_b32 v7, s10 :: v_dual_mov_b32 v8, s11
	v_dual_mov_b32 v10, s9 :: v_dual_mov_b32 v9, s8
	flat_load_b64 v[7:8], v[7:8]
	flat_load_b64 v[13:14], v[9:10]
	s_waitcnt vmcnt(1) lgkmcnt(1)
	v_add_co_u32 v11, vcc_lo, v7, s14
	v_add_co_ci_u32_e32 v12, vcc_lo, s15, v8, vcc_lo
.LBB44_5:                               ;   in Loop: Header=BB44_3 Depth=1
	s_delay_alu instid0(VALU_DEP_1)
	v_alignbit_b32 v3, v12, v11, 2
	v_lshrrev_b32_e32 v9, 2, v12
	s_waitcnt vmcnt(0) lgkmcnt(0)
	v_add_nc_u32_e32 v37, 0xbb67ae85, v14
	v_add_nc_u32_e32 v38, 0x76cf5d0a, v14
	;; [unrolled: 1-line block ×3, first 2 shown]
	v_add_co_u32 v10, vcc_lo, v3, 1
	s_delay_alu instid0(VALU_DEP_1) | instskip(SKIP_4) | instid1(VALU_DEP_4)
	v_cndmask_b32_e64 v7, 0, 1, vcc_lo
	v_add_co_ci_u32_e32 v12, vcc_lo, 0, v9, vcc_lo
	v_xor3_b32 v17, v25, v13, v9
	v_add_nc_u32_e32 v40, 0xed9eba14, v14
	v_add_nc_u32_e32 v42, 0xa9066899, v14
	v_cmp_eq_u32_e32 vcc_lo, 0, v12
	v_add_nc_u32_e32 v43, 0x646e171e, v14
	s_mov_b32 s4, exec_lo
	v_dual_cndmask_b32 v15, 0, v7 :: v_dual_add_nc_u32 v36, 0x9e3779b9, v13
	v_mad_u64_u32 v[7:8], null, 0xd2511f53, v10, 0
	s_delay_alu instid0(VALU_DEP_2) | instskip(NEXT) | instid1(VALU_DEP_2)
	v_add_nc_u32_e32 v10, v15, v1
	v_xor_b32_e32 v16, v8, v14
	s_delay_alu instid0(VALU_DEP_2) | instskip(SKIP_2) | instid1(VALU_DEP_1)
	v_cmp_eq_u32_e32 vcc_lo, 0, v10
	v_mad_u64_u32 v[8:9], null, 0xd2511f53, v3, 0
	v_cndmask_b32_e32 v15, 0, v15, vcc_lo
	v_xor_b32_e32 v3, v15, v16
	v_mad_u64_u32 v[15:16], null, 0xd2511f53, v17, 0
	v_mad_u64_u32 v[17:18], null, 0xcd9e8d57, v10, 0
	s_delay_alu instid0(VALU_DEP_3) | instskip(SKIP_3) | instid1(VALU_DEP_3)
	v_mad_u64_u32 v[19:20], null, 0xcd9e8d57, v3, 0
	v_xor_b32_e32 v3, v9, v14
	v_add_nc_u32_e32 v10, 0x3c6ef372, v13
	v_xor3_b32 v21, v37, v16, v8
	v_mad_u64_u32 v[8:9], null, 0xcd9e8d57, v3, 0
	v_xor3_b32 v3, v18, v13, v12
	v_xor3_b32 v12, v36, v20, v17
	s_delay_alu instid0(VALU_DEP_4) | instskip(NEXT) | instid1(VALU_DEP_3)
	v_mad_u64_u32 v[16:17], null, 0xcd9e8d57, v21, 0
	v_mad_u64_u32 v[20:21], null, 0xd2511f53, v3, 0
	s_delay_alu instid0(VALU_DEP_3) | instskip(SKIP_1) | instid1(VALU_DEP_4)
	v_mad_u64_u32 v[22:23], null, 0xd2511f53, v12, 0
	v_xor3_b32 v3, v2, v9, v36
	v_xor3_b32 v36, v10, v17, v8
	v_add_nc_u32_e32 v12, 0xdaa66d2b, v13
	s_delay_alu instid0(VALU_DEP_3) | instskip(SKIP_4) | instid1(VALU_DEP_4)
	v_mad_u64_u32 v[8:9], null, 0xd2511f53, v3, 0
	v_xor3_b32 v3, v37, v21, v7
	v_xor3_b32 v7, v38, v23, v20
	v_mad_u64_u32 v[17:18], null, 0xd2511f53, v36, 0
	v_add_nc_u32_e32 v23, 0x78dde6e4, v13
	v_mad_u64_u32 v[20:21], null, 0xcd9e8d57, v3, 0
	s_delay_alu instid0(VALU_DEP_4) | instskip(SKIP_2) | instid1(VALU_DEP_2)
	v_mad_u64_u32 v[36:37], null, 0xcd9e8d57, v7, 0
	v_xor3_b32 v3, v38, v9, v15
	v_xor3_b32 v15, v39, v18, v8
	v_mad_u64_u32 v[7:8], null, 0xcd9e8d57, v3, 0
	v_xor3_b32 v3, v10, v21, v19
	v_xor3_b32 v37, v12, v37, v20
	s_delay_alu instid0(VALU_DEP_4) | instskip(NEXT) | instid1(VALU_DEP_3)
	v_mad_u64_u32 v[9:10], null, 0xcd9e8d57, v15, 0
	v_mad_u64_u32 v[18:19], null, 0xd2511f53, v3, 0
	s_delay_alu instid0(VALU_DEP_3) | instskip(SKIP_1) | instid1(VALU_DEP_4)
	v_mad_u64_u32 v[20:21], null, 0xd2511f53, v37, 0
	v_xor3_b32 v3, v12, v8, v16
	v_xor3_b32 v10, v23, v10, v7
	v_add_nc_u32_e32 v12, 0x1715609d, v13
	s_delay_alu instid0(VALU_DEP_3) | instskip(SKIP_3) | instid1(VALU_DEP_3)
	v_mad_u64_u32 v[7:8], null, 0xd2511f53, v3, 0
	v_xor3_b32 v3, v39, v19, v22
	v_xor3_b32 v18, v40, v21, v18
	v_mad_u64_u32 v[21:22], null, 0xd2511f53, v10, 0
	v_mad_u64_u32 v[15:16], null, 0xcd9e8d57, v3, 0
	s_delay_alu instid0(VALU_DEP_3) | instskip(SKIP_1) | instid1(VALU_DEP_4)
	v_mad_u64_u32 v[37:38], null, 0xcd9e8d57, v18, 0
	v_xor3_b32 v3, v40, v8, v17
	v_xor3_b32 v10, v42, v22, v7
	v_add_nc_u32_e32 v17, 0xb54cda56, v13
	s_delay_alu instid0(VALU_DEP_3) | instskip(SKIP_4) | instid1(VALU_DEP_4)
	v_mad_u64_u32 v[7:8], null, 0xcd9e8d57, v3, 0
	v_xor3_b32 v3, v23, v16, v36
	v_xor3_b32 v18, v12, v38, v15
	v_mad_u64_u32 v[38:39], null, 0xcd9e8d57, v10, 0
	v_add_nc_u32_e32 v23, 0x1fd5c5a3, v14
	v_mad_u64_u32 v[15:16], null, 0xd2511f53, v3, 0
	s_delay_alu instid0(VALU_DEP_4) | instskip(SKIP_4) | instid1(VALU_DEP_4)
	v_mad_u64_u32 v[40:41], null, 0xd2511f53, v18, 0
	v_xor3_b32 v3, v12, v8, v9
	v_xor3_b32 v9, v17, v39, v7
	v_add_nc_u32_e32 v12, 0x5384540f, v13
	v_add_co_u32 v36, null, 0xf1bbcdc8, v13
	v_mad_u64_u32 v[7:8], null, 0xd2511f53, v3, 0
	v_xor3_b32 v3, v42, v16, v20
	v_xor3_b32 v20, v43, v41, v15
	v_mad_u64_u32 v[15:16], null, 0xd2511f53, v9, 0
	s_delay_alu instid0(VALU_DEP_3) | instskip(NEXT) | instid1(VALU_DEP_3)
	v_mad_u64_u32 v[9:10], null, 0xcd9e8d57, v3, 0
	v_mad_u64_u32 v[18:19], null, 0xcd9e8d57, v20, 0
	v_xor3_b32 v3, v43, v8, v21
	s_delay_alu instid0(VALU_DEP_4) | instskip(NEXT) | instid1(VALU_DEP_2)
	v_xor3_b32 v20, v23, v16, v7
	v_mad_u64_u32 v[7:8], null, 0xcd9e8d57, v3, 0
	v_xor3_b32 v3, v17, v10, v37
	v_xor3_b32 v19, v12, v19, v9
	s_delay_alu instid0(VALU_DEP_4) | instskip(SKIP_1) | instid1(VALU_DEP_4)
	v_mad_u64_u32 v[16:17], null, 0xcd9e8d57, v20, 0
	v_add_nc_u32_e32 v37, 0xdb3d7428, v14
	v_mad_u64_u32 v[9:10], null, 0xd2511f53, v3, 0
	s_delay_alu instid0(VALU_DEP_4) | instskip(SKIP_2) | instid1(VALU_DEP_2)
	v_mad_u64_u32 v[21:22], null, 0xd2511f53, v19, 0
	v_xor3_b32 v3, v12, v8, v38
	v_xor3_b32 v12, v36, v17, v7
	v_mad_u64_u32 v[19:20], null, 0xd2511f53, v3, 0
	v_xor3_b32 v3, v23, v10, v40
	v_xor3_b32 v17, v37, v22, v9
	s_delay_alu instid0(VALU_DEP_4) | instskip(NEXT) | instid1(VALU_DEP_3)
	v_mad_u64_u32 v[7:8], null, 0xd2511f53, v12, 0
	v_mad_u64_u32 v[22:23], null, 0xcd9e8d57, v3, 0
	s_delay_alu instid0(VALU_DEP_3) | instskip(SKIP_3) | instid1(VALU_DEP_3)
	v_mad_u64_u32 v[9:10], null, 0xcd9e8d57, v17, 0
	v_add_nc_u32_e32 v17, 0x96a522ad, v14
	v_add_nc_u32_e32 v14, 0x8ff34781, v13
	v_and_b32_e32 v13, 3, v11
                                        ; implicit-def: $vgpr3
	v_xor3_b32 v12, v8, v19, v17
	s_delay_alu instid0(VALU_DEP_3) | instskip(NEXT) | instid1(VALU_DEP_3)
	v_xor3_b32 v8, v10, v22, v14
	v_cmpx_lt_i32_e32 1, v13
	s_xor_b32 s4, exec_lo, s4
	s_cbranch_execz .LBB44_11
; %bb.6:                                ;   in Loop: Header=BB44_3 Depth=1
	s_mov_b32 s33, exec_lo
                                        ; implicit-def: $vgpr3
	v_cmpx_lt_i32_e32 2, v13
	s_xor_b32 s33, exec_lo, s33
; %bb.7:                                ;   in Loop: Header=BB44_3 Depth=1
	v_xor3_b32 v3, v36, v23, v18
                                        ; implicit-def: $vgpr12
	s_delay_alu instid0(VALU_DEP_1) | instskip(NEXT) | instid1(VALU_DEP_1)
	v_mul_hi_u32 v3, 0xd2511f53, v3
	v_xor3_b32 v3, v3, v21, v17
; %bb.8:                                ;   in Loop: Header=BB44_3 Depth=1
	s_and_not1_saveexec_b32 s33, s33
; %bb.9:                                ;   in Loop: Header=BB44_3 Depth=1
	v_mov_b32_e32 v3, v9
	v_dual_mov_b32 v9, v8 :: v_dual_mov_b32 v8, v7
	v_mov_b32_e32 v7, v12
; %bb.10:                               ;   in Loop: Header=BB44_3 Depth=1
	s_or_b32 exec_lo, exec_lo, s33
                                        ; implicit-def: $vgpr15_vgpr16
                                        ; implicit-def: $vgpr13
                                        ; implicit-def: $vgpr12
                                        ; implicit-def: $vgpr37
                                        ; implicit-def: $vgpr19_vgpr20
                                        ; implicit-def: $vgpr14
                                        ; implicit-def: $vgpr16_vgpr17
.LBB44_11:                              ;   in Loop: Header=BB44_3 Depth=1
	s_and_not1_saveexec_b32 s4, s4
	s_cbranch_execz .LBB44_15
; %bb.12:                               ;   in Loop: Header=BB44_3 Depth=1
	v_xor3_b32 v3, v37, v20, v15
	v_cmp_eq_u32_e32 vcc_lo, 1, v13
	v_mov_b32_e32 v9, v12
	s_delay_alu instid0(VALU_DEP_3) | instskip(SKIP_1) | instid1(VALU_DEP_2)
	v_mad_u64_u32 v[10:11], null, 0xcd9e8d57, v3, 0
	v_mov_b32_e32 v3, v7
	v_xor3_b32 v13, v11, v16, v14
	s_delay_alu instid0(VALU_DEP_3)
	v_mov_b32_e32 v11, v10
	s_and_saveexec_b32 s33, vcc_lo
; %bb.13:                               ;   in Loop: Header=BB44_3 Depth=1
	v_mov_b32_e32 v3, v8
	v_mov_b32_e32 v9, v7
	;; [unrolled: 1-line block ×4, first 2 shown]
; %bb.14:                               ;   in Loop: Header=BB44_3 Depth=1
	s_or_b32 exec_lo, exec_lo, s33
	s_delay_alu instid0(VALU_DEP_1)
	v_dual_mov_b32 v7, v13 :: v_dual_mov_b32 v8, v11
.LBB44_15:                              ;   in Loop: Header=BB44_3 Depth=1
	s_or_b32 exec_lo, exec_lo, s4
	v_min_i32_e32 v10, 4, v24
	s_mov_b32 s33, 0
	s_mov_b32 s38, 0
	s_mov_b32 s36, exec_lo
                                        ; implicit-def: $sgpr4
                                        ; implicit-def: $sgpr34
                                        ; implicit-def: $sgpr35
	s_delay_alu instid0(VALU_DEP_1)
	v_cmpx_lt_i32_e32 2, v10
	s_xor_b32 s36, exec_lo, s36
	s_cbranch_execz .LBB44_25
; %bb.16:                               ;   in Loop: Header=BB44_3 Depth=1
	s_mov_b32 s37, -1
	s_mov_b32 s35, exec_lo
                                        ; implicit-def: $sgpr34
                                        ; implicit-def: $sgpr4
	v_cmpx_lt_i32_e32 3, v10
	s_cbranch_execz .LBB44_20
; %bb.17:                               ;   in Loop: Header=BB44_3 Depth=1
	v_cmp_le_f32_e32 vcc_lo, 0, v35
	v_cmp_ge_f32_e64 s4, 1.0, v35
	s_mov_b32 s34, 0
	s_mov_b32 s37, 0
	s_delay_alu instid0(VALU_DEP_1) | instskip(NEXT) | instid1(SALU_CYCLE_1)
	s_and_b32 s38, vcc_lo, s4
	s_and_saveexec_b32 s4, s38
	s_cbranch_execz .LBB44_19
; %bb.18:                               ;   in Loop: Header=BB44_3 Depth=1
	v_dual_mov_b32 v14, s16 :: v_dual_add_nc_u32 v11, s25, v27
	v_cvt_f32_u32_e32 v12, v3
	s_mov_b32 s37, exec_lo
	s_delay_alu instid0(VALU_DEP_2) | instskip(NEXT) | instid1(VALU_DEP_2)
	v_cndmask_b32_e64 v3, 0, v11, s3
	v_fmaak_f32 v13, 0x2f800000, v12, 0x2f800000
	s_delay_alu instid0(VALU_DEP_2) | instskip(NEXT) | instid1(VALU_DEP_2)
	v_lshlrev_b64 v[11:12], 3, v[3:4]
	v_cmp_le_f32_e32 vcc_lo, v13, v35
	v_cndmask_b32_e64 v13, 0, 1, vcc_lo
	s_delay_alu instid0(VALU_DEP_3) | instskip(NEXT) | instid1(VALU_DEP_4)
	v_add_co_u32 v11, vcc_lo, s6, v11
	v_add_co_ci_u32_e32 v12, vcc_lo, s7, v12, vcc_lo
	global_store_b64 v[11:12], v[13:14], off
.LBB44_19:                              ;   in Loop: Header=BB44_3 Depth=1
	s_or_b32 exec_lo, exec_lo, s4
	s_mov_b32 s4, -1
	s_or_not1_b32 s37, s37, exec_lo
.LBB44_20:                              ;   in Loop: Header=BB44_3 Depth=1
	s_or_b32 exec_lo, exec_lo, s35
	s_mov_b32 s3, 0
	s_mov_b32 s38, s34
	s_and_saveexec_b32 s35, s37
	s_cbranch_execz .LBB44_24
; %bb.21:                               ;   in Loop: Header=BB44_3 Depth=1
	v_cmp_le_f32_e32 vcc_lo, 0, v34
	v_cmp_ge_f32_e64 s3, 1.0, v34
	s_delay_alu instid0(VALU_DEP_1) | instskip(SKIP_2) | instid1(SALU_CYCLE_1)
	s_and_b32 s37, vcc_lo, s3
	s_mov_b32 s3, 0
	s_and_saveexec_b32 s38, s37
	s_xor_b32 s37, exec_lo, s38
	s_cbranch_execz .LBB44_23
; %bb.22:                               ;   in Loop: Header=BB44_3 Depth=1
	v_dual_mov_b32 v14, s16 :: v_dual_add_nc_u32 v3, s25, v26
	v_cvt_f32_u32_e32 v9, v9
	s_mov_b32 s3, exec_lo
	s_delay_alu instid0(VALU_DEP_2) | instskip(NEXT) | instid1(VALU_DEP_2)
	v_cndmask_b32_e64 v3, 0, v3, s2
	v_fmaak_f32 v9, 0x2f800000, v9, 0x2f800000
	s_delay_alu instid0(VALU_DEP_2) | instskip(NEXT) | instid1(VALU_DEP_2)
	v_lshlrev_b64 v[11:12], 3, v[3:4]
	v_cmp_le_f32_e32 vcc_lo, v9, v34
	v_cndmask_b32_e64 v13, 0, 1, vcc_lo
	s_delay_alu instid0(VALU_DEP_3) | instskip(NEXT) | instid1(VALU_DEP_4)
	v_add_co_u32 v11, vcc_lo, s6, v11
	v_add_co_ci_u32_e32 v12, vcc_lo, s7, v12, vcc_lo
	global_store_b64 v[11:12], v[13:14], off
.LBB44_23:                              ;   in Loop: Header=BB44_3 Depth=1
	s_or_b32 exec_lo, exec_lo, s37
	s_delay_alu instid0(SALU_CYCLE_1)
	s_and_not1_b32 s38, s34, exec_lo
	s_or_b32 s34, s34, exec_lo
	s_and_not1_b32 s4, s4, exec_lo
	s_and_b32 s3, s3, exec_lo
.LBB44_24:                              ;   in Loop: Header=BB44_3 Depth=1
	s_or_b32 exec_lo, exec_lo, s35
	s_delay_alu instid0(SALU_CYCLE_1)
	s_and_b32 s35, s38, exec_lo
	s_and_b32 s34, s34, exec_lo
	;; [unrolled: 1-line block ×4, first 2 shown]
.LBB44_25:                              ;   in Loop: Header=BB44_3 Depth=1
	s_and_not1_saveexec_b32 s2, s36
; %bb.26:                               ;   in Loop: Header=BB44_3 Depth=1
	v_cmp_lt_i32_e32 vcc_lo, 1, v10
	s_and_not1_b32 s3, s38, exec_lo
	s_mov_b32 s33, exec_lo
	s_and_not1_b32 s35, s35, exec_lo
	s_and_not1_b32 s34, s34, exec_lo
	s_and_b32 s36, vcc_lo, exec_lo
	s_and_not1_b32 s4, s4, exec_lo
	s_or_b32 s38, s3, s36
; %bb.27:                               ;   in Loop: Header=BB44_3 Depth=1
	s_or_b32 exec_lo, exec_lo, s2
	s_mov_b32 s3, 0
	s_mov_b32 s36, 0
	;; [unrolled: 1-line block ×3, first 2 shown]
	s_and_saveexec_b32 s37, s38
	s_cbranch_execnz .LBB44_30
; %bb.28:                               ;   in Loop: Header=BB44_3 Depth=1
	s_or_b32 exec_lo, exec_lo, s37
	s_and_saveexec_b32 s1, s33
	s_cbranch_execnz .LBB44_33
.LBB44_29:                              ;   in Loop: Header=BB44_3 Depth=1
	s_or_b32 exec_lo, exec_lo, s1
	s_and_saveexec_b32 s33, s36
	s_cbranch_execnz .LBB44_34
	s_branch .LBB44_37
.LBB44_30:                              ;   in Loop: Header=BB44_3 Depth=1
	v_cmp_le_f32_e32 vcc_lo, 0, v33
	v_cmp_ge_f32_e64 s2, 1.0, v33
	s_delay_alu instid0(VALU_DEP_1) | instskip(NEXT) | instid1(SALU_CYCLE_1)
	s_and_b32 s2, vcc_lo, s2
	s_and_saveexec_b32 s38, s2
	s_delay_alu instid0(SALU_CYCLE_1)
	s_xor_b32 s2, exec_lo, s38
	s_cbranch_execz .LBB44_32
; %bb.31:                               ;   in Loop: Header=BB44_3 Depth=1
	v_dual_mov_b32 v12, s16 :: v_dual_add_nc_u32 v3, s25, v5
	v_cvt_f32_u32_e32 v8, v8
	s_mov_b32 s36, exec_lo
	s_delay_alu instid0(VALU_DEP_2) | instskip(NEXT) | instid1(VALU_DEP_2)
	v_cndmask_b32_e64 v3, 0, v3, s1
	v_fmaak_f32 v11, 0x2f800000, v8, 0x2f800000
	s_delay_alu instid0(VALU_DEP_2) | instskip(NEXT) | instid1(VALU_DEP_2)
	v_lshlrev_b64 v[8:9], 3, v[3:4]
	v_cmp_le_f32_e32 vcc_lo, v11, v33
	v_cndmask_b32_e64 v11, 0, 1, vcc_lo
	s_delay_alu instid0(VALU_DEP_3) | instskip(NEXT) | instid1(VALU_DEP_4)
	v_add_co_u32 v8, vcc_lo, s6, v8
	v_add_co_ci_u32_e32 v9, vcc_lo, s7, v9, vcc_lo
	global_store_b64 v[8:9], v[11:12], off
.LBB44_32:                              ;   in Loop: Header=BB44_3 Depth=1
	s_or_b32 exec_lo, exec_lo, s2
	s_delay_alu instid0(SALU_CYCLE_1)
	s_and_not1_b32 s2, s35, exec_lo
	s_or_b32 s35, s35, exec_lo
	s_and_not1_b32 s34, s34, exec_lo
	s_and_not1_b32 s4, s4, exec_lo
	s_and_b32 s36, s36, exec_lo
	s_and_not1_b32 s33, s33, exec_lo
	s_or_b32 exec_lo, exec_lo, s37
	s_and_saveexec_b32 s1, s33
	s_cbranch_execz .LBB44_29
.LBB44_33:                              ;   in Loop: Header=BB44_3 Depth=1
	v_cmp_eq_u32_e32 vcc_lo, 1, v10
	s_and_not1_b32 s33, s36, exec_lo
	s_mov_b32 s3, exec_lo
	s_and_not1_b32 s2, s2, exec_lo
	s_and_not1_b32 s35, s35, exec_lo
	s_and_b32 s36, vcc_lo, exec_lo
	s_and_not1_b32 s34, s34, exec_lo
	s_and_not1_b32 s4, s4, exec_lo
	s_or_b32 s36, s33, s36
	s_or_b32 exec_lo, exec_lo, s1
	s_and_saveexec_b32 s33, s36
	s_cbranch_execz .LBB44_37
.LBB44_34:                              ;   in Loop: Header=BB44_3 Depth=1
	v_cmp_le_f32_e32 vcc_lo, 0, v32
	v_cmp_ge_f32_e64 s1, 1.0, v32
	s_delay_alu instid0(VALU_DEP_1)
	s_and_b32 s37, vcc_lo, s1
	s_mov_b32 s1, 0
	s_and_saveexec_b32 s36, s37
	s_cbranch_execz .LBB44_36
; %bb.35:                               ;   in Loop: Header=BB44_3 Depth=1
	v_dual_mov_b32 v10, s16 :: v_dual_add_nc_u32 v3, s25, v28
	v_cvt_f32_u32_e32 v7, v7
	s_mov_b32 s1, exec_lo
	s_delay_alu instid0(VALU_DEP_2) | instskip(NEXT) | instid1(VALU_DEP_2)
	v_cndmask_b32_e64 v3, 0, v3, s0
	v_fmaak_f32 v9, 0x2f800000, v7, 0x2f800000
	s_delay_alu instid0(VALU_DEP_2) | instskip(NEXT) | instid1(VALU_DEP_2)
	v_lshlrev_b64 v[7:8], 3, v[3:4]
	v_cmp_le_f32_e32 vcc_lo, v9, v32
	v_cndmask_b32_e64 v9, 0, 1, vcc_lo
	s_delay_alu instid0(VALU_DEP_3) | instskip(NEXT) | instid1(VALU_DEP_4)
	v_add_co_u32 v7, vcc_lo, s6, v7
	v_add_co_ci_u32_e32 v8, vcc_lo, s7, v8, vcc_lo
	global_store_b64 v[7:8], v[9:10], off
.LBB44_36:                              ;   in Loop: Header=BB44_3 Depth=1
	s_or_b32 exec_lo, exec_lo, s36
	s_delay_alu instid0(SALU_CYCLE_1)
	s_and_not1_b32 s0, s3, exec_lo
	s_and_b32 s1, s1, exec_lo
	s_or_b32 s2, s2, exec_lo
	s_and_not1_b32 s35, s35, exec_lo
	s_and_not1_b32 s34, s34, exec_lo
	;; [unrolled: 1-line block ×3, first 2 shown]
	s_or_b32 s3, s0, s1
.LBB44_37:                              ;   in Loop: Header=BB44_3 Depth=1
	s_or_b32 exec_lo, exec_lo, s33
	s_delay_alu instid0(SALU_CYCLE_1)
	s_and_not1_b32 s1, s31, exec_lo
	s_and_b32 s2, s2, exec_lo
	s_and_not1_b32 s29, s29, exec_lo
	s_and_b32 s33, s35, exec_lo
	s_or_b32 s31, s1, s2
	s_and_not1_b32 s1, s30, exec_lo
	s_and_b32 s2, s34, exec_lo
	s_and_not1_b32 s28, s28, exec_lo
	s_and_b32 s4, s4, exec_lo
	s_mov_b32 s0, -1
	s_or_b32 s29, s29, s33
	s_or_b32 s30, s1, s2
	;; [unrolled: 1-line block ×3, first 2 shown]
	s_and_saveexec_b32 s1, s3
	s_cbranch_execz .LBB44_2
; %bb.38:                               ;   in Loop: Header=BB44_3 Depth=1
	v_add_nc_u32_e32 v0, s19, v0
	v_subrev_nc_u32_e32 v24, s19, v24
	s_add_i32 s25, s25, s20
	s_add_i32 s23, s23, s21
	s_and_not1_b32 s31, s31, exec_lo
	v_cmp_le_u32_e32 vcc_lo, s5, v0
	s_and_not1_b32 s29, s29, exec_lo
	s_and_not1_b32 s30, s30, exec_lo
	;; [unrolled: 1-line block ×3, first 2 shown]
	s_or_not1_b32 s0, vcc_lo, exec_lo
	s_branch .LBB44_2
.LBB44_39:
	s_or_b32 exec_lo, exec_lo, s22
	s_xor_b32 s3, s26, -1
	s_xor_b32 s4, s27, -1
	;; [unrolled: 1-line block ×3, first 2 shown]
	s_mov_b32 s1, 0
	s_and_saveexec_b32 s2, s0
	s_delay_alu instid0(SALU_CYCLE_1)
	s_xor_b32 s0, exec_lo, s2
	s_cbranch_execz .LBB44_48
; %bb.40:
	s_mov_b32 s2, 0
	s_and_saveexec_b32 s1, s4
	s_delay_alu instid0(SALU_CYCLE_1)
	s_xor_b32 s1, exec_lo, s1
	s_cbranch_execz .LBB44_46
; %bb.41:
	s_and_saveexec_b32 s4, s3
	s_delay_alu instid0(SALU_CYCLE_1)
	s_xor_b32 s3, exec_lo, s4
	s_cbranch_execz .LBB44_44
; %bb.42:
	s_and_saveexec_b32 s4, s17
	s_delay_alu instid0(SALU_CYCLE_1)
	s_xor_b32 s4, exec_lo, s4
	s_cbranch_execnz .LBB44_62
.LBB44_43:
	s_or_b32 exec_lo, exec_lo, s4
	s_delay_alu instid0(SALU_CYCLE_1)
	s_and_b32 s2, s2, exec_lo
.LBB44_44:
	s_and_not1_saveexec_b32 s3, s3
	s_cbranch_execnz .LBB44_58
.LBB44_45:
	s_or_b32 exec_lo, exec_lo, s3
	s_delay_alu instid0(SALU_CYCLE_1)
	s_and_b32 s2, s2, exec_lo
.LBB44_46:
	s_and_not1_saveexec_b32 s1, s1
	s_cbranch_execnz .LBB44_54
.LBB44_47:
	s_or_b32 exec_lo, exec_lo, s1
	s_delay_alu instid0(SALU_CYCLE_1)
	s_and_b32 s1, s2, exec_lo
.LBB44_48:
	s_and_not1_saveexec_b32 s0, s0
	s_cbranch_execnz .LBB44_52
; %bb.49:
	s_or_b32 exec_lo, exec_lo, s0
	s_delay_alu instid0(SALU_CYCLE_1)
	s_and_b32 exec_lo, exec_lo, s1
.LBB44_50:
	; divergent unreachable
.LBB44_51:
	s_nop 0
	s_sendmsg sendmsg(MSG_DEALLOC_VGPRS)
	s_endpgm
.LBB44_52:
	s_cbranch_execnz .LBB44_56
; %bb.53:
	s_or_b32 s1, s1, exec_lo
	s_or_b32 exec_lo, exec_lo, s0
	s_delay_alu instid0(SALU_CYCLE_1)
	s_and_b32 exec_lo, exec_lo, s1
	s_cbranch_execnz .LBB44_50
	s_branch .LBB44_51
.LBB44_54:
	s_cbranch_execnz .LBB44_60
; %bb.55:
	s_or_b32 s2, s2, exec_lo
	s_branch .LBB44_47
.LBB44_56:
	s_trap 2
	s_sendmsg_rtn_b32 s0, sendmsg(MSG_RTN_GET_DOORBELL)
	s_mov_b32 ttmp2, m0
	s_waitcnt lgkmcnt(0)
	s_and_b32 s0, s0, 0x3ff
	s_delay_alu instid0(SALU_CYCLE_1) | instskip(NEXT) | instid1(SALU_CYCLE_1)
	s_bitset1_b32 s0, 10
	s_mov_b32 m0, s0
	s_sendmsg sendmsg(MSG_INTERRUPT)
	s_mov_b32 m0, ttmp2
.LBB44_57:                              ; =>This Inner Loop Header: Depth=1
	s_sethalt 5
	s_branch .LBB44_57
.LBB44_58:
	s_cbranch_execnz .LBB44_64
; %bb.59:
	s_or_b32 s2, s2, exec_lo
	s_branch .LBB44_45
.LBB44_60:
	s_trap 2
	s_sendmsg_rtn_b32 s0, sendmsg(MSG_RTN_GET_DOORBELL)
	s_mov_b32 ttmp2, m0
	s_waitcnt lgkmcnt(0)
	s_and_b32 s0, s0, 0x3ff
	s_delay_alu instid0(SALU_CYCLE_1) | instskip(NEXT) | instid1(SALU_CYCLE_1)
	s_bitset1_b32 s0, 10
	s_mov_b32 m0, s0
	s_sendmsg sendmsg(MSG_INTERRUPT)
	s_mov_b32 m0, ttmp2
.LBB44_61:                              ; =>This Inner Loop Header: Depth=1
	s_sethalt 5
	s_branch .LBB44_61
.LBB44_62:
	s_cbranch_execnz .LBB44_66
; %bb.63:
	s_mov_b32 s2, exec_lo
	s_branch .LBB44_43
.LBB44_64:
	s_trap 2
	s_sendmsg_rtn_b32 s0, sendmsg(MSG_RTN_GET_DOORBELL)
	s_mov_b32 ttmp2, m0
	s_waitcnt lgkmcnt(0)
	s_and_b32 s0, s0, 0x3ff
	s_delay_alu instid0(SALU_CYCLE_1) | instskip(NEXT) | instid1(SALU_CYCLE_1)
	s_bitset1_b32 s0, 10
	s_mov_b32 m0, s0
	s_sendmsg sendmsg(MSG_INTERRUPT)
	s_mov_b32 m0, ttmp2
.LBB44_65:                              ; =>This Inner Loop Header: Depth=1
	s_sethalt 5
	s_branch .LBB44_65
.LBB44_66:
	s_trap 2
	s_sendmsg_rtn_b32 s0, sendmsg(MSG_RTN_GET_DOORBELL)
	s_mov_b32 ttmp2, m0
	s_waitcnt lgkmcnt(0)
	s_and_b32 s0, s0, 0x3ff
	s_delay_alu instid0(SALU_CYCLE_1) | instskip(NEXT) | instid1(SALU_CYCLE_1)
	s_bitset1_b32 s0, 10
	s_mov_b32 m0, s0
	s_sendmsg sendmsg(MSG_INTERRUPT)
	s_mov_b32 m0, ttmp2
.LBB44_67:                              ; =>This Inner Loop Header: Depth=1
	s_sethalt 5
	s_branch .LBB44_67
	.section	.rodata,"a",@progbits
	.p2align	6, 0x0
	.amdhsa_kernel _ZN2at4cuda12_GLOBAL__N_121kernelPointwiseApply2IZNS_6native9templates4cuda28bernoulli_tensor_cuda_kernelIlfEEvRKNS_10TensorBaseES9_NS_15PhiloxCudaStateEEUliRlSB_SB_SB_RKfSD_SD_SD_E_lSC_jLi1ELi1ELi4ELi512ELi2EEEvNS0_6detail10TensorInfoIT0_T2_EENSG_IT1_SI_EESI_T_
		.amdhsa_group_segment_fixed_size 0
		.amdhsa_private_segment_fixed_size 0
		.amdhsa_kernarg_size 728
		.amdhsa_user_sgpr_count 15
		.amdhsa_user_sgpr_dispatch_ptr 0
		.amdhsa_user_sgpr_queue_ptr 0
		.amdhsa_user_sgpr_kernarg_segment_ptr 1
		.amdhsa_user_sgpr_dispatch_id 0
		.amdhsa_user_sgpr_private_segment_size 0
		.amdhsa_wavefront_size32 1
		.amdhsa_uses_dynamic_stack 0
		.amdhsa_enable_private_segment 0
		.amdhsa_system_sgpr_workgroup_id_x 1
		.amdhsa_system_sgpr_workgroup_id_y 0
		.amdhsa_system_sgpr_workgroup_id_z 0
		.amdhsa_system_sgpr_workgroup_info 0
		.amdhsa_system_vgpr_workitem_id 0
		.amdhsa_next_free_vgpr 44
		.amdhsa_next_free_sgpr 39
		.amdhsa_reserve_vcc 1
		.amdhsa_float_round_mode_32 0
		.amdhsa_float_round_mode_16_64 0
		.amdhsa_float_denorm_mode_32 3
		.amdhsa_float_denorm_mode_16_64 3
		.amdhsa_dx10_clamp 1
		.amdhsa_ieee_mode 1
		.amdhsa_fp16_overflow 0
		.amdhsa_workgroup_processor_mode 1
		.amdhsa_memory_ordered 1
		.amdhsa_forward_progress 0
		.amdhsa_shared_vgpr_count 0
		.amdhsa_exception_fp_ieee_invalid_op 0
		.amdhsa_exception_fp_denorm_src 0
		.amdhsa_exception_fp_ieee_div_zero 0
		.amdhsa_exception_fp_ieee_overflow 0
		.amdhsa_exception_fp_ieee_underflow 0
		.amdhsa_exception_fp_ieee_inexact 0
		.amdhsa_exception_int_div_zero 0
	.end_amdhsa_kernel
	.section	.text._ZN2at4cuda12_GLOBAL__N_121kernelPointwiseApply2IZNS_6native9templates4cuda28bernoulli_tensor_cuda_kernelIlfEEvRKNS_10TensorBaseES9_NS_15PhiloxCudaStateEEUliRlSB_SB_SB_RKfSD_SD_SD_E_lSC_jLi1ELi1ELi4ELi512ELi2EEEvNS0_6detail10TensorInfoIT0_T2_EENSG_IT1_SI_EESI_T_,"axG",@progbits,_ZN2at4cuda12_GLOBAL__N_121kernelPointwiseApply2IZNS_6native9templates4cuda28bernoulli_tensor_cuda_kernelIlfEEvRKNS_10TensorBaseES9_NS_15PhiloxCudaStateEEUliRlSB_SB_SB_RKfSD_SD_SD_E_lSC_jLi1ELi1ELi4ELi512ELi2EEEvNS0_6detail10TensorInfoIT0_T2_EENSG_IT1_SI_EESI_T_,comdat
.Lfunc_end44:
	.size	_ZN2at4cuda12_GLOBAL__N_121kernelPointwiseApply2IZNS_6native9templates4cuda28bernoulli_tensor_cuda_kernelIlfEEvRKNS_10TensorBaseES9_NS_15PhiloxCudaStateEEUliRlSB_SB_SB_RKfSD_SD_SD_E_lSC_jLi1ELi1ELi4ELi512ELi2EEEvNS0_6detail10TensorInfoIT0_T2_EENSG_IT1_SI_EESI_T_, .Lfunc_end44-_ZN2at4cuda12_GLOBAL__N_121kernelPointwiseApply2IZNS_6native9templates4cuda28bernoulli_tensor_cuda_kernelIlfEEvRKNS_10TensorBaseES9_NS_15PhiloxCudaStateEEUliRlSB_SB_SB_RKfSD_SD_SD_E_lSC_jLi1ELi1ELi4ELi512ELi2EEEvNS0_6detail10TensorInfoIT0_T2_EENSG_IT1_SI_EESI_T_
                                        ; -- End function
	.section	.AMDGPU.csdata,"",@progbits
; Kernel info:
; codeLenInByte = 3252
; NumSgprs: 41
; NumVgprs: 44
; ScratchSize: 0
; MemoryBound: 0
; FloatMode: 240
; IeeeMode: 1
; LDSByteSize: 0 bytes/workgroup (compile time only)
; SGPRBlocks: 5
; VGPRBlocks: 5
; NumSGPRsForWavesPerEU: 41
; NumVGPRsForWavesPerEU: 44
; Occupancy: 16
; WaveLimiterHint : 1
; COMPUTE_PGM_RSRC2:SCRATCH_EN: 0
; COMPUTE_PGM_RSRC2:USER_SGPR: 15
; COMPUTE_PGM_RSRC2:TRAP_HANDLER: 0
; COMPUTE_PGM_RSRC2:TGID_X_EN: 1
; COMPUTE_PGM_RSRC2:TGID_Y_EN: 0
; COMPUTE_PGM_RSRC2:TGID_Z_EN: 0
; COMPUTE_PGM_RSRC2:TIDIG_COMP_CNT: 0
	.section	.text._ZN2at4cuda12_GLOBAL__N_121kernelPointwiseApply2IZNS_6native9templates4cuda28bernoulli_tensor_cuda_kernelIlfEEvRKNS_10TensorBaseES9_NS_15PhiloxCudaStateEEUliRlSB_SB_SB_RKfSD_SD_SD_E_lSC_jLi1ELi2ELi4ELi512ELi2EEEvNS0_6detail10TensorInfoIT0_T2_EENSG_IT1_SI_EESI_T_,"axG",@progbits,_ZN2at4cuda12_GLOBAL__N_121kernelPointwiseApply2IZNS_6native9templates4cuda28bernoulli_tensor_cuda_kernelIlfEEvRKNS_10TensorBaseES9_NS_15PhiloxCudaStateEEUliRlSB_SB_SB_RKfSD_SD_SD_E_lSC_jLi1ELi2ELi4ELi512ELi2EEEvNS0_6detail10TensorInfoIT0_T2_EENSG_IT1_SI_EESI_T_,comdat
	.globl	_ZN2at4cuda12_GLOBAL__N_121kernelPointwiseApply2IZNS_6native9templates4cuda28bernoulli_tensor_cuda_kernelIlfEEvRKNS_10TensorBaseES9_NS_15PhiloxCudaStateEEUliRlSB_SB_SB_RKfSD_SD_SD_E_lSC_jLi1ELi2ELi4ELi512ELi2EEEvNS0_6detail10TensorInfoIT0_T2_EENSG_IT1_SI_EESI_T_ ; -- Begin function _ZN2at4cuda12_GLOBAL__N_121kernelPointwiseApply2IZNS_6native9templates4cuda28bernoulli_tensor_cuda_kernelIlfEEvRKNS_10TensorBaseES9_NS_15PhiloxCudaStateEEUliRlSB_SB_SB_RKfSD_SD_SD_E_lSC_jLi1ELi2ELi4ELi512ELi2EEEvNS0_6detail10TensorInfoIT0_T2_EENSG_IT1_SI_EESI_T_
	.p2align	8
	.type	_ZN2at4cuda12_GLOBAL__N_121kernelPointwiseApply2IZNS_6native9templates4cuda28bernoulli_tensor_cuda_kernelIlfEEvRKNS_10TensorBaseES9_NS_15PhiloxCudaStateEEUliRlSB_SB_SB_RKfSD_SD_SD_E_lSC_jLi1ELi2ELi4ELi512ELi2EEEvNS0_6detail10TensorInfoIT0_T2_EENSG_IT1_SI_EESI_T_,@function
_ZN2at4cuda12_GLOBAL__N_121kernelPointwiseApply2IZNS_6native9templates4cuda28bernoulli_tensor_cuda_kernelIlfEEvRKNS_10TensorBaseES9_NS_15PhiloxCudaStateEEUliRlSB_SB_SB_RKfSD_SD_SD_E_lSC_jLi1ELi2ELi4ELi512ELi2EEEvNS0_6detail10TensorInfoIT0_T2_EENSG_IT1_SI_EESI_T_: ; @_ZN2at4cuda12_GLOBAL__N_121kernelPointwiseApply2IZNS_6native9templates4cuda28bernoulli_tensor_cuda_kernelIlfEEvRKNS_10TensorBaseES9_NS_15PhiloxCudaStateEEUliRlSB_SB_SB_RKfSD_SD_SD_E_lSC_jLi1ELi2ELi4ELi512ELi2EEEvNS0_6detail10TensorInfoIT0_T2_EENSG_IT1_SI_EESI_T_
; %bb.0:
	s_clause 0x1
	s_load_b32 s4, s[0:1], 0x1e4
	s_load_b32 s16, s[0:1], 0x1b0
	s_add_u32 s2, s0, 0x1d8
	s_addc_u32 s3, s1, 0
	s_waitcnt lgkmcnt(0)
	s_and_b32 s21, s4, 0xffff
	s_mov_b32 s4, exec_lo
	v_mad_u64_u32 v[1:2], null, s15, s21, v[0:1]
	s_delay_alu instid0(VALU_DEP_1) | instskip(NEXT) | instid1(VALU_DEP_1)
	v_lshlrev_b32_e32 v0, 2, v1
	v_cmpx_gt_u32_e64 s16, v0
	s_cbranch_execz .LBB45_59
; %bb.1:
	s_clause 0x3
	s_load_b32 s17, s[0:1], 0xe4
	s_load_b32 s4, s[0:1], 0x1d0
	;; [unrolled: 1-line block ×3, first 2 shown]
	s_load_b64 s[8:9], s[0:1], 0x0
	s_load_b32 s2, s[2:3], 0x0
	s_clause 0x1
	s_load_b64 s[10:11], s[0:1], 0xd8
	s_load_b64 s[12:13], s[0:1], 0x1c8
	v_add_nc_u32_e32 v8, 3, v0
	v_sub_nc_u32_e32 v25, s16, v0
	s_mov_b32 s20, 0
	s_mov_b32 s24, 0
	;; [unrolled: 1-line block ×3, first 2 shown]
                                        ; implicit-def: $sgpr25
                                        ; implicit-def: $sgpr28
                                        ; implicit-def: $sgpr27
                                        ; implicit-def: $sgpr29
                                        ; implicit-def: $sgpr31
                                        ; implicit-def: $sgpr30
                                        ; implicit-def: $sgpr33
	v_add_nc_u32_e32 v7, 2, v0
	s_waitcnt lgkmcnt(0)
	v_cvt_f32_u32_e32 v2, s17
	s_bitcmp1_b32 s4, 0
	s_clause 0x1
	s_load_b64 s[14:15], s[0:1], 0x144
	s_load_b128 s[4:7], s[0:1], 0x1b8
	s_cselect_b32 s18, -1, 0
	s_sub_i32 s19, 0, s17
	v_rcp_iflag_f32_e32 v2, v2
	v_mul_lo_u32 v24, v0, s23
	v_mul_lo_u32 v28, s23, v8
	s_mul_i32 s2, s2, s21
	v_mov_b32_e32 v4, 0
	s_lshl_b32 s22, s2, 2
                                        ; implicit-def: $sgpr21
	v_mul_lo_u32 v27, s23, v7
	s_waitcnt_depctr 0xfff
	v_dual_mul_f32 v2, 0x4f7ffffe, v2 :: v_dual_add_nc_u32 v29, s23, v24
	s_mul_i32 s23, s22, s23
	s_delay_alu instid0(VALU_DEP_1) | instskip(SKIP_1) | instid1(VALU_DEP_2)
	v_cvt_u32_f32_e32 v5, v2
	v_mad_u64_u32 v[2:3], null, 0xcd9e8d57, v1, 0
	v_mul_lo_u32 v6, s19, v5
	s_delay_alu instid0(VALU_DEP_2) | instskip(NEXT) | instid1(VALU_DEP_2)
	v_mov_b32_e32 v26, v3
	v_mul_hi_u32 v6, v5, v6
	s_delay_alu instid0(VALU_DEP_1)
	v_add_nc_u32_e32 v30, v5, v6
	s_branch .LBB45_3
.LBB45_2:                               ;   in Loop: Header=BB45_3 Depth=1
	s_or_b32 exec_lo, exec_lo, s1
	s_delay_alu instid0(SALU_CYCLE_1) | instskip(NEXT) | instid1(SALU_CYCLE_1)
	s_and_b32 s0, exec_lo, s0
	s_or_b32 s24, s0, s24
	s_and_not1_b32 s0, s21, exec_lo
	s_and_b32 s1, s33, exec_lo
	s_and_not1_b32 s2, s27, exec_lo
	s_and_b32 s3, s30, exec_lo
	s_or_b32 s21, s0, s1
	s_or_b32 s27, s2, s3
	s_and_not1_b32 s0, s28, exec_lo
	s_and_b32 s1, s31, exec_lo
	s_and_not1_b32 s2, s25, exec_lo
	s_and_b32 s3, s29, exec_lo
	s_or_b32 s28, s0, s1
	s_or_b32 s25, s2, s3
	s_and_not1_b32 exec_lo, exec_lo, s24
	s_cbranch_execz .LBB45_47
.LBB45_3:                               ; =>This Inner Loop Header: Depth=1
	v_mov_b32_e32 v5, 0
	v_mov_b32_e32 v6, 0
	v_cmp_lt_i32_e64 s0, 0, v25
	s_delay_alu instid0(VALU_DEP_2) | instskip(NEXT) | instid1(VALU_DEP_2)
	v_dual_mov_b32 v10, v6 :: v_dual_mov_b32 v9, v5
	s_and_saveexec_b32 s1, s0
	s_cbranch_execz .LBB45_5
; %bb.4:                                ;   in Loop: Header=BB45_3 Depth=1
	v_mul_hi_u32 v3, v30, v0
	s_delay_alu instid0(VALU_DEP_1) | instskip(SKIP_2) | instid1(VALU_DEP_3)
	v_not_b32_e32 v10, v3
	v_mad_u64_u32 v[7:8], null, s19, v3, v[0:1]
	v_add_nc_u32_e32 v11, 1, v3
	v_mad_u64_u32 v[8:9], null, s17, v10, v[0:1]
	s_delay_alu instid0(VALU_DEP_3) | instskip(NEXT) | instid1(VALU_DEP_3)
	v_cmp_le_u32_e32 vcc_lo, s17, v7
	v_cndmask_b32_e32 v3, v3, v11, vcc_lo
	s_delay_alu instid0(VALU_DEP_1) | instskip(NEXT) | instid1(VALU_DEP_1)
	v_dual_cndmask_b32 v7, v7, v8 :: v_dual_add_nc_u32 v8, 1, v3
	v_cmp_le_u32_e32 vcc_lo, s17, v7
	s_delay_alu instid0(VALU_DEP_2) | instskip(NEXT) | instid1(VALU_DEP_1)
	v_cndmask_b32_e32 v11, v3, v8, vcc_lo
	v_mad_u64_u32 v[7:8], null, s19, v11, v[0:1]
	s_waitcnt lgkmcnt(0)
	s_delay_alu instid0(VALU_DEP_1) | instskip(NEXT) | instid1(VALU_DEP_1)
	v_mul_lo_u32 v3, v7, s15
	v_mad_u64_u32 v[9:10], null, v11, s14, v[3:4]
	v_mov_b32_e32 v10, v4
.LBB45_5:                               ;   in Loop: Header=BB45_3 Depth=1
	s_or_b32 exec_lo, exec_lo, s1
	v_cmp_lt_i32_e64 s1, 1, v25
	s_delay_alu instid0(VALU_DEP_1)
	s_and_saveexec_b32 s2, s1
	s_cbranch_execz .LBB45_7
; %bb.6:                                ;   in Loop: Header=BB45_3 Depth=1
	v_add_nc_u32_e32 v3, 1, v0
	s_delay_alu instid0(VALU_DEP_1) | instskip(NEXT) | instid1(VALU_DEP_1)
	v_mul_hi_u32 v5, v3, v30
	v_mul_lo_u32 v6, v5, s17
	s_delay_alu instid0(VALU_DEP_1) | instskip(NEXT) | instid1(VALU_DEP_1)
	v_sub_nc_u32_e32 v6, v3, v6
	v_subrev_nc_u32_e32 v8, s17, v6
	v_cmp_le_u32_e32 vcc_lo, s17, v6
	s_delay_alu instid0(VALU_DEP_2) | instskip(NEXT) | instid1(VALU_DEP_1)
	v_dual_cndmask_b32 v6, v6, v8 :: v_dual_add_nc_u32 v7, 1, v5
	v_cndmask_b32_e32 v5, v5, v7, vcc_lo
	s_delay_alu instid0(VALU_DEP_2) | instskip(NEXT) | instid1(VALU_DEP_2)
	v_cmp_le_u32_e32 vcc_lo, s17, v6
	v_add_nc_u32_e32 v7, 1, v5
	s_delay_alu instid0(VALU_DEP_1) | instskip(NEXT) | instid1(VALU_DEP_1)
	v_cndmask_b32_e32 v7, v5, v7, vcc_lo
	v_mul_lo_u32 v5, v7, s17
	s_delay_alu instid0(VALU_DEP_1) | instskip(SKIP_1) | instid1(VALU_DEP_1)
	v_sub_nc_u32_e32 v3, v3, v5
	s_waitcnt lgkmcnt(0)
	v_mul_lo_u32 v3, v3, s15
	s_delay_alu instid0(VALU_DEP_1)
	v_mad_u64_u32 v[5:6], null, v7, s14, v[3:4]
	v_mov_b32_e32 v6, v4
.LBB45_7:                               ;   in Loop: Header=BB45_3 Depth=1
	s_or_b32 exec_lo, exec_lo, s2
	v_mov_b32_e32 v7, 0
	v_mov_b32_e32 v8, 0
	v_cmp_lt_i32_e64 s2, 2, v25
	s_delay_alu instid0(VALU_DEP_2) | instskip(NEXT) | instid1(VALU_DEP_2)
	v_dual_mov_b32 v12, v8 :: v_dual_mov_b32 v11, v7
	s_and_saveexec_b32 s3, s2
	s_cbranch_execz .LBB45_9
; %bb.8:                                ;   in Loop: Header=BB45_3 Depth=1
	v_add_nc_u32_e32 v3, 2, v0
	s_delay_alu instid0(VALU_DEP_1) | instskip(NEXT) | instid1(VALU_DEP_1)
	v_mul_hi_u32 v11, v3, v30
	v_mul_lo_u32 v12, v11, s17
	v_add_nc_u32_e32 v13, 1, v11
	s_delay_alu instid0(VALU_DEP_2) | instskip(NEXT) | instid1(VALU_DEP_1)
	v_sub_nc_u32_e32 v12, v3, v12
	v_subrev_nc_u32_e32 v14, s17, v12
	v_cmp_le_u32_e32 vcc_lo, s17, v12
	s_delay_alu instid0(VALU_DEP_2) | instskip(NEXT) | instid1(VALU_DEP_1)
	v_dual_cndmask_b32 v11, v11, v13 :: v_dual_cndmask_b32 v12, v12, v14
	v_add_nc_u32_e32 v13, 1, v11
	s_delay_alu instid0(VALU_DEP_2) | instskip(NEXT) | instid1(VALU_DEP_2)
	v_cmp_le_u32_e32 vcc_lo, s17, v12
	v_cndmask_b32_e32 v13, v11, v13, vcc_lo
	s_delay_alu instid0(VALU_DEP_1) | instskip(NEXT) | instid1(VALU_DEP_1)
	v_mul_lo_u32 v11, v13, s17
	v_sub_nc_u32_e32 v3, v3, v11
	s_waitcnt lgkmcnt(0)
	s_delay_alu instid0(VALU_DEP_1) | instskip(NEXT) | instid1(VALU_DEP_1)
	v_mul_lo_u32 v3, v3, s15
	v_mad_u64_u32 v[11:12], null, v13, s14, v[3:4]
	v_mov_b32_e32 v12, v4
.LBB45_9:                               ;   in Loop: Header=BB45_3 Depth=1
	s_or_b32 exec_lo, exec_lo, s3
	v_dual_mov_b32 v14, v8 :: v_dual_mov_b32 v13, v7
	s_mov_b32 s3, exec_lo
	v_cmpx_lt_i32_e32 3, v25
	s_cbranch_execz .LBB45_11
; %bb.10:                               ;   in Loop: Header=BB45_3 Depth=1
	v_add_nc_u32_e32 v3, 3, v0
	s_delay_alu instid0(VALU_DEP_1) | instskip(NEXT) | instid1(VALU_DEP_1)
	v_mul_hi_u32 v7, v3, v30
	v_mul_lo_u32 v8, v7, s17
	v_add_nc_u32_e32 v13, 1, v7
	s_delay_alu instid0(VALU_DEP_2) | instskip(NEXT) | instid1(VALU_DEP_1)
	v_sub_nc_u32_e32 v8, v3, v8
	v_subrev_nc_u32_e32 v14, s17, v8
	v_cmp_le_u32_e32 vcc_lo, s17, v8
	s_delay_alu instid0(VALU_DEP_2) | instskip(NEXT) | instid1(VALU_DEP_1)
	v_dual_cndmask_b32 v7, v7, v13 :: v_dual_cndmask_b32 v8, v8, v14
	v_add_nc_u32_e32 v13, 1, v7
	s_delay_alu instid0(VALU_DEP_2) | instskip(NEXT) | instid1(VALU_DEP_2)
	v_cmp_le_u32_e32 vcc_lo, s17, v8
	v_cndmask_b32_e32 v8, v7, v13, vcc_lo
	s_delay_alu instid0(VALU_DEP_1) | instskip(NEXT) | instid1(VALU_DEP_1)
	v_mul_lo_u32 v7, v8, s17
	v_sub_nc_u32_e32 v3, v3, v7
	s_waitcnt lgkmcnt(0)
	s_delay_alu instid0(VALU_DEP_1) | instskip(SKIP_1) | instid1(VALU_DEP_2)
	v_mul_lo_u32 v7, v3, s15
	v_add_nc_u32_e32 v3, s26, v28
	v_mad_u64_u32 v[13:14], null, v8, s14, v[7:8]
	v_mov_b32_e32 v8, v4
	s_delay_alu instid0(VALU_DEP_3)
	v_dual_mov_b32 v14, v4 :: v_dual_mov_b32 v7, v3
.LBB45_11:                              ;   in Loop: Header=BB45_3 Depth=1
	s_or_b32 exec_lo, exec_lo, s3
	v_lshlrev_b64 v[9:10], 2, v[9:10]
	v_lshlrev_b64 v[5:6], 2, v[5:6]
	;; [unrolled: 1-line block ×4, first 2 shown]
	s_delay_alu instid0(VALU_DEP_4)
	v_add_co_u32 v9, vcc_lo, s10, v9
	v_add_co_ci_u32_e32 v10, vcc_lo, s11, v10, vcc_lo
	v_add_co_u32 v5, vcc_lo, s10, v5
	v_add_co_ci_u32_e32 v6, vcc_lo, s11, v6, vcc_lo
	;; [unrolled: 2-line block ×4, first 2 shown]
	s_clause 0x3
	global_load_b32 v31, v[9:10], off
	global_load_b32 v32, v[5:6], off
	;; [unrolled: 1-line block ×4, first 2 shown]
	s_waitcnt lgkmcnt(0)
	v_dual_mov_b32 v12, s7 :: v_dual_mov_b32 v11, s6
	v_dual_mov_b32 v14, s5 :: v_dual_mov_b32 v13, s4
	s_and_not1_b32 vcc_lo, exec_lo, s18
	s_cbranch_vccnz .LBB45_13
; %bb.12:                               ;   in Loop: Header=BB45_3 Depth=1
	v_dual_mov_b32 v5, s6 :: v_dual_mov_b32 v6, s7
	v_dual_mov_b32 v10, s5 :: v_dual_mov_b32 v9, s4
	flat_load_b64 v[5:6], v[5:6]
	flat_load_b64 v[13:14], v[9:10]
	s_waitcnt vmcnt(1) lgkmcnt(1)
	v_add_co_u32 v11, vcc_lo, v5, s12
	v_add_co_ci_u32_e32 v12, vcc_lo, s13, v6, vcc_lo
.LBB45_13:                              ;   in Loop: Header=BB45_3 Depth=1
	s_delay_alu instid0(VALU_DEP_1)
	v_alignbit_b32 v15, v12, v11, 2
	v_lshrrev_b32_e32 v9, 2, v12
	s_waitcnt vmcnt(0) lgkmcnt(0)
	v_add_nc_u32_e32 v34, 0x9e3779b9, v13
	v_add_nc_u32_e32 v36, 0x3c6ef372, v13
	;; [unrolled: 1-line block ×3, first 2 shown]
	v_add_co_u32 v10, vcc_lo, v15, 1
	s_delay_alu instid0(VALU_DEP_1) | instskip(SKIP_4) | instid1(VALU_DEP_4)
	v_cndmask_b32_e64 v5, 0, 1, vcc_lo
	v_add_co_ci_u32_e32 v12, vcc_lo, 0, v9, vcc_lo
	v_xor3_b32 v17, v26, v13, v9
	v_add_nc_u32_e32 v38, 0x32370b8f, v14
	v_add_nc_u32_e32 v39, 0xed9eba14, v14
	v_cmp_eq_u32_e32 vcc_lo, 0, v12
	v_add_nc_u32_e32 v40, 0x1fd5c5a3, v14
	s_mov_b32 s3, exec_lo
	v_dual_cndmask_b32 v16, 0, v5 :: v_dual_add_nc_u32 v35, 0xbb67ae85, v14
	v_mad_u64_u32 v[5:6], null, 0xd2511f53, v10, 0
	v_mad_u64_u32 v[9:10], null, 0xd2511f53, v15, 0
	s_delay_alu instid0(VALU_DEP_3) | instskip(NEXT) | instid1(VALU_DEP_3)
	v_add_nc_u32_e32 v19, v16, v1
	v_xor_b32_e32 v6, v6, v14
	s_delay_alu instid0(VALU_DEP_2) | instskip(SKIP_1) | instid1(VALU_DEP_1)
	v_cmp_eq_u32_e32 vcc_lo, 0, v19
	v_cndmask_b32_e32 v16, 0, v16, vcc_lo
	v_xor_b32_e32 v6, v16, v6
	v_mad_u64_u32 v[15:16], null, 0xd2511f53, v17, 0
	v_mad_u64_u32 v[17:18], null, 0xcd9e8d57, v19, 0
	s_delay_alu instid0(VALU_DEP_3) | instskip(SKIP_1) | instid1(VALU_DEP_4)
	v_mad_u64_u32 v[19:20], null, 0xcd9e8d57, v6, 0
	v_xor_b32_e32 v6, v10, v14
	v_xor3_b32 v21, v35, v16, v9
	s_delay_alu instid0(VALU_DEP_2) | instskip(SKIP_2) | instid1(VALU_DEP_4)
	v_mad_u64_u32 v[9:10], null, 0xcd9e8d57, v6, 0
	v_xor3_b32 v6, v18, v13, v12
	v_xor3_b32 v12, v34, v20, v17
	v_mad_u64_u32 v[16:17], null, 0xcd9e8d57, v21, 0
	s_delay_alu instid0(VALU_DEP_3) | instskip(NEXT) | instid1(VALU_DEP_3)
	v_mad_u64_u32 v[20:21], null, 0xd2511f53, v6, 0
	v_mad_u64_u32 v[22:23], null, 0xd2511f53, v12, 0
	v_xor3_b32 v6, v2, v10, v34
	s_delay_alu instid0(VALU_DEP_4) | instskip(SKIP_2) | instid1(VALU_DEP_4)
	v_xor3_b32 v17, v36, v17, v9
	v_add_nc_u32_e32 v12, 0xdaa66d2b, v13
	v_xor3_b32 v21, v35, v21, v5
	v_mad_u64_u32 v[9:10], null, 0xd2511f53, v6, 0
	v_xor3_b32 v23, v37, v23, v20
	v_mad_u64_u32 v[5:6], null, 0xd2511f53, v17, 0
	s_delay_alu instid0(VALU_DEP_4) | instskip(NEXT) | instid1(VALU_DEP_3)
	v_mad_u64_u32 v[17:18], null, 0xcd9e8d57, v21, 0
	v_mad_u64_u32 v[20:21], null, 0xcd9e8d57, v23, 0
	v_xor3_b32 v15, v37, v10, v15
	v_add_nc_u32_e32 v23, 0x78dde6e4, v13
	v_xor3_b32 v6, v38, v6, v9
	s_delay_alu instid0(VALU_DEP_3) | instskip(SKIP_2) | instid1(VALU_DEP_4)
	v_mad_u64_u32 v[9:10], null, 0xcd9e8d57, v15, 0
	v_xor3_b32 v15, v36, v18, v19
	v_xor3_b32 v19, v12, v21, v17
	v_mad_u64_u32 v[17:18], null, 0xcd9e8d57, v6, 0
	s_delay_alu instid0(VALU_DEP_3) | instskip(NEXT) | instid1(VALU_DEP_3)
	v_mad_u64_u32 v[34:35], null, 0xd2511f53, v15, 0
	v_mad_u64_u32 v[36:37], null, 0xd2511f53, v19, 0
	v_xor3_b32 v6, v12, v10, v16
	s_delay_alu instid0(VALU_DEP_4) | instskip(SKIP_2) | instid1(VALU_DEP_4)
	v_xor3_b32 v15, v23, v18, v9
	v_add_nc_u32_e32 v12, 0x1715609d, v13
	v_add_nc_u32_e32 v19, 0xa9066899, v14
	v_mad_u64_u32 v[9:10], null, 0xd2511f53, v6, 0
	v_xor3_b32 v6, v38, v35, v22
	v_xor3_b32 v18, v39, v37, v34
	v_mad_u64_u32 v[21:22], null, 0xd2511f53, v15, 0
	v_add_nc_u32_e32 v35, 0xb54cda56, v13
	s_delay_alu instid0(VALU_DEP_4) | instskip(NEXT) | instid1(VALU_DEP_4)
	v_mad_u64_u32 v[15:16], null, 0xcd9e8d57, v6, 0
	v_mad_u64_u32 v[37:38], null, 0xcd9e8d57, v18, 0
	v_xor3_b32 v10, v39, v10, v5
	v_xor3_b32 v18, v19, v22, v9
	v_add_nc_u32_e32 v34, 0x646e171e, v14
	v_xor3_b32 v20, v23, v16, v20
	s_delay_alu instid0(VALU_DEP_4) | instskip(SKIP_2) | instid1(VALU_DEP_4)
	v_mad_u64_u32 v[5:6], null, 0xcd9e8d57, v10, 0
	v_xor3_b32 v22, v12, v38, v15
	v_mad_u64_u32 v[9:10], null, 0xcd9e8d57, v18, 0
	v_mad_u64_u32 v[15:16], null, 0xd2511f53, v20, 0
	s_delay_alu instid0(VALU_DEP_3) | instskip(SKIP_3) | instid1(VALU_DEP_3)
	v_mad_u64_u32 v[38:39], null, 0xd2511f53, v22, 0
	v_xor3_b32 v12, v12, v6, v17
	v_add_nc_u32_e32 v20, 0x5384540f, v13
	v_xor3_b32 v10, v35, v10, v5
	v_mad_u64_u32 v[5:6], null, 0xd2511f53, v12, 0
	v_xor3_b32 v12, v19, v16, v36
	v_xor3_b32 v17, v34, v39, v15
	s_delay_alu instid0(VALU_DEP_4) | instskip(NEXT) | instid1(VALU_DEP_3)
	v_mad_u64_u32 v[15:16], null, 0xd2511f53, v10, 0
	v_mad_u64_u32 v[22:23], null, 0xcd9e8d57, v12, 0
	s_delay_alu instid0(VALU_DEP_3) | instskip(SKIP_1) | instid1(VALU_DEP_4)
	v_mad_u64_u32 v[18:19], null, 0xcd9e8d57, v17, 0
	v_xor3_b32 v10, v34, v6, v21
	v_xor3_b32 v12, v40, v16, v5
	v_add_co_u32 v34, null, 0xf1bbcdc8, v13
	s_delay_alu instid0(VALU_DEP_3) | instskip(SKIP_4) | instid1(VALU_DEP_4)
	v_mad_u64_u32 v[5:6], null, 0xcd9e8d57, v10, 0
	v_xor3_b32 v10, v35, v23, v37
	v_xor3_b32 v19, v20, v19, v22
	v_mad_u64_u32 v[16:17], null, 0xcd9e8d57, v12, 0
	v_add_nc_u32_e32 v35, 0xdb3d7428, v14
	v_mad_u64_u32 v[36:37], null, 0xd2511f53, v10, 0
	s_delay_alu instid0(VALU_DEP_4) | instskip(SKIP_4) | instid1(VALU_DEP_4)
	v_mad_u64_u32 v[21:22], null, 0xd2511f53, v19, 0
	v_xor3_b32 v6, v20, v6, v9
	v_xor3_b32 v9, v34, v17, v5
	v_add_nc_u32_e32 v17, 0x8ff34781, v13
	v_xor3_b32 v10, v40, v37, v38
	v_mad_u64_u32 v[19:20], null, 0xd2511f53, v6, 0
	v_xor3_b32 v12, v35, v22, v36
	v_mad_u64_u32 v[5:6], null, 0xd2511f53, v9, 0
	s_delay_alu instid0(VALU_DEP_4) | instskip(NEXT) | instid1(VALU_DEP_3)
	v_mad_u64_u32 v[22:23], null, 0xcd9e8d57, v10, 0
	v_mad_u64_u32 v[9:10], null, 0xcd9e8d57, v12, 0
	v_add_nc_u32_e32 v36, 0x96a522ad, v14
	v_and_b32_e32 v14, 3, v11
                                        ; implicit-def: $vgpr12
	s_delay_alu instid0(VALU_DEP_2) | instskip(NEXT) | instid1(VALU_DEP_4)
	v_xor3_b32 v13, v6, v19, v36
	v_xor3_b32 v6, v10, v22, v17
	s_delay_alu instid0(VALU_DEP_3)
	v_cmpx_lt_i32_e32 1, v14
	s_xor_b32 s3, exec_lo, s3
	s_cbranch_execz .LBB45_19
; %bb.14:                               ;   in Loop: Header=BB45_3 Depth=1
	s_mov_b32 s34, exec_lo
                                        ; implicit-def: $vgpr12
	v_cmpx_lt_i32_e32 2, v14
	s_xor_b32 s34, exec_lo, s34
; %bb.15:                               ;   in Loop: Header=BB45_3 Depth=1
	v_xor3_b32 v10, v34, v23, v18
                                        ; implicit-def: $vgpr13
	s_delay_alu instid0(VALU_DEP_1) | instskip(NEXT) | instid1(VALU_DEP_1)
	v_mul_hi_u32 v10, 0xd2511f53, v10
	v_xor3_b32 v12, v10, v21, v36
; %bb.16:                               ;   in Loop: Header=BB45_3 Depth=1
	s_and_not1_saveexec_b32 s34, s34
; %bb.17:                               ;   in Loop: Header=BB45_3 Depth=1
	v_dual_mov_b32 v12, v9 :: v_dual_mov_b32 v9, v6
	v_mov_b32_e32 v6, v5
	v_mov_b32_e32 v5, v13
; %bb.18:                               ;   in Loop: Header=BB45_3 Depth=1
	s_or_b32 exec_lo, exec_lo, s34
                                        ; implicit-def: $vgpr15_vgpr16
                                        ; implicit-def: $vgpr14
                                        ; implicit-def: $vgpr13
                                        ; implicit-def: $vgpr35
                                        ; implicit-def: $vgpr19_vgpr20
                                        ; implicit-def: $vgpr16_vgpr17
                                        ; implicit-def: $vgpr17
.LBB45_19:                              ;   in Loop: Header=BB45_3 Depth=1
	s_and_not1_saveexec_b32 s3, s3
	s_cbranch_execz .LBB45_23
; %bb.20:                               ;   in Loop: Header=BB45_3 Depth=1
	v_xor3_b32 v9, v35, v20, v15
	v_cmp_eq_u32_e32 vcc_lo, 1, v14
	s_delay_alu instid0(VALU_DEP_2) | instskip(SKIP_2) | instid1(VALU_DEP_3)
	v_mad_u64_u32 v[10:11], null, 0xcd9e8d57, v9, 0
	v_mov_b32_e32 v12, v5
	v_mov_b32_e32 v9, v13
	v_xor3_b32 v14, v11, v16, v17
	s_delay_alu instid0(VALU_DEP_4)
	v_mov_b32_e32 v11, v10
	s_and_saveexec_b32 s34, vcc_lo
; %bb.21:                               ;   in Loop: Header=BB45_3 Depth=1
	v_dual_mov_b32 v12, v6 :: v_dual_mov_b32 v9, v5
	v_dual_mov_b32 v11, v13 :: v_dual_mov_b32 v14, v10
; %bb.22:                               ;   in Loop: Header=BB45_3 Depth=1
	s_or_b32 exec_lo, exec_lo, s34
	s_delay_alu instid0(VALU_DEP_1)
	v_dual_mov_b32 v5, v14 :: v_dual_mov_b32 v6, v11
.LBB45_23:                              ;   in Loop: Header=BB45_3 Depth=1
	s_or_b32 exec_lo, exec_lo, s3
	v_min_i32_e32 v10, 4, v25
	s_mov_b32 s34, 0
	s_mov_b32 s40, 0
	s_mov_b32 s37, exec_lo
                                        ; implicit-def: $sgpr3
                                        ; implicit-def: $sgpr35
                                        ; implicit-def: $sgpr36
	s_delay_alu instid0(VALU_DEP_1)
	v_cmpx_lt_i32_e32 2, v10
	s_xor_b32 s37, exec_lo, s37
	s_cbranch_execz .LBB45_33
; %bb.24:                               ;   in Loop: Header=BB45_3 Depth=1
	s_mov_b32 s3, -1
	s_mov_b32 s36, exec_lo
                                        ; implicit-def: $sgpr35
                                        ; implicit-def: $sgpr38
	v_cmpx_lt_i32_e32 3, v10
	s_cbranch_execz .LBB45_28
; %bb.25:                               ;   in Loop: Header=BB45_3 Depth=1
	v_cmp_le_f32_e32 vcc_lo, 0, v3
	v_cmp_ge_f32_e64 s3, 1.0, v3
	s_mov_b32 s35, 0
	s_delay_alu instid0(VALU_DEP_1)
	s_and_b32 s39, vcc_lo, s3
	s_mov_b32 s3, 0
	s_and_saveexec_b32 s38, s39
	s_cbranch_execz .LBB45_27
; %bb.26:                               ;   in Loop: Header=BB45_3 Depth=1
	v_cvt_f32_u32_e32 v11, v12
	v_lshlrev_b64 v[7:8], 3, v[7:8]
	s_mov_b32 s3, exec_lo
	s_delay_alu instid0(VALU_DEP_2) | instskip(NEXT) | instid1(VALU_DEP_2)
	v_dual_mov_b32 v12, s20 :: v_dual_fmaak_f32 v11, 0x2f800000, v11, 0x2f800000
	v_add_co_u32 v7, vcc_lo, s8, v7
	s_delay_alu instid0(VALU_DEP_3) | instskip(NEXT) | instid1(VALU_DEP_3)
	v_add_co_ci_u32_e32 v8, vcc_lo, s9, v8, vcc_lo
	v_cmp_le_f32_e32 vcc_lo, v11, v3
	v_cndmask_b32_e64 v11, 0, 1, vcc_lo
	global_store_b64 v[7:8], v[11:12], off
.LBB45_27:                              ;   in Loop: Header=BB45_3 Depth=1
	s_or_b32 exec_lo, exec_lo, s38
	s_mov_b32 s38, -1
	s_or_not1_b32 s3, s3, exec_lo
.LBB45_28:                              ;   in Loop: Header=BB45_3 Depth=1
	s_or_b32 exec_lo, exec_lo, s36
	s_mov_b32 s39, 0
	s_mov_b32 s40, s35
	s_and_saveexec_b32 s36, s3
	s_cbranch_execz .LBB45_32
; %bb.29:                               ;   in Loop: Header=BB45_3 Depth=1
	v_cmp_le_f32_e32 vcc_lo, 0, v33
	v_cmp_ge_f32_e64 s3, 1.0, v33
	s_delay_alu instid0(VALU_DEP_1) | instskip(SKIP_2) | instid1(SALU_CYCLE_1)
	s_and_b32 s39, vcc_lo, s3
	s_mov_b32 s3, 0
	s_and_saveexec_b32 s40, s39
	s_xor_b32 s39, exec_lo, s40
	s_cbranch_execz .LBB45_31
; %bb.30:                               ;   in Loop: Header=BB45_3 Depth=1
	v_dual_mov_b32 v12, s20 :: v_dual_add_nc_u32 v3, s26, v27
	v_cvt_f32_u32_e32 v7, v9
	s_mov_b32 s3, exec_lo
	s_delay_alu instid0(VALU_DEP_2) | instskip(NEXT) | instid1(VALU_DEP_2)
	v_cndmask_b32_e64 v3, 0, v3, s2
	v_fmaak_f32 v9, 0x2f800000, v7, 0x2f800000
	s_delay_alu instid0(VALU_DEP_2) | instskip(NEXT) | instid1(VALU_DEP_2)
	v_lshlrev_b64 v[7:8], 3, v[3:4]
	v_cmp_le_f32_e32 vcc_lo, v9, v33
	v_cndmask_b32_e64 v11, 0, 1, vcc_lo
	s_delay_alu instid0(VALU_DEP_3) | instskip(NEXT) | instid1(VALU_DEP_4)
	v_add_co_u32 v7, vcc_lo, s8, v7
	v_add_co_ci_u32_e32 v8, vcc_lo, s9, v8, vcc_lo
	global_store_b64 v[7:8], v[11:12], off
.LBB45_31:                              ;   in Loop: Header=BB45_3 Depth=1
	s_or_b32 exec_lo, exec_lo, s39
	s_delay_alu instid0(SALU_CYCLE_1)
	s_and_not1_b32 s40, s35, exec_lo
	s_or_b32 s35, s35, exec_lo
	s_and_not1_b32 s38, s38, exec_lo
	s_and_b32 s39, s3, exec_lo
.LBB45_32:                              ;   in Loop: Header=BB45_3 Depth=1
	s_or_b32 exec_lo, exec_lo, s36
	s_delay_alu instid0(SALU_CYCLE_1)
	s_and_b32 s36, s40, exec_lo
	s_and_b32 s35, s35, exec_lo
	;; [unrolled: 1-line block ×4, first 2 shown]
.LBB45_33:                              ;   in Loop: Header=BB45_3 Depth=1
	s_and_not1_saveexec_b32 s2, s37
; %bb.34:                               ;   in Loop: Header=BB45_3 Depth=1
	v_cmp_lt_i32_e32 vcc_lo, 1, v10
	s_and_not1_b32 s37, s40, exec_lo
	s_mov_b32 s34, exec_lo
	s_and_not1_b32 s36, s36, exec_lo
	s_and_not1_b32 s35, s35, exec_lo
	s_and_b32 s38, vcc_lo, exec_lo
	s_and_not1_b32 s3, s3, exec_lo
	s_or_b32 s40, s37, s38
; %bb.35:                               ;   in Loop: Header=BB45_3 Depth=1
	s_or_b32 exec_lo, exec_lo, s2
	s_mov_b32 s37, 0
	s_mov_b32 s38, 0
	;; [unrolled: 1-line block ×3, first 2 shown]
	s_and_saveexec_b32 s39, s40
	s_cbranch_execnz .LBB45_38
; %bb.36:                               ;   in Loop: Header=BB45_3 Depth=1
	s_or_b32 exec_lo, exec_lo, s39
	s_and_saveexec_b32 s1, s34
	s_cbranch_execnz .LBB45_41
.LBB45_37:                              ;   in Loop: Header=BB45_3 Depth=1
	s_or_b32 exec_lo, exec_lo, s1
	s_and_saveexec_b32 s34, s38
	s_cbranch_execnz .LBB45_42
	s_branch .LBB45_45
.LBB45_38:                              ;   in Loop: Header=BB45_3 Depth=1
	v_cmp_le_f32_e32 vcc_lo, 0, v32
	v_cmp_ge_f32_e64 s2, 1.0, v32
	s_delay_alu instid0(VALU_DEP_1) | instskip(NEXT) | instid1(SALU_CYCLE_1)
	s_and_b32 s2, vcc_lo, s2
	s_and_saveexec_b32 s40, s2
	s_delay_alu instid0(SALU_CYCLE_1)
	s_xor_b32 s2, exec_lo, s40
	s_cbranch_execz .LBB45_40
; %bb.39:                               ;   in Loop: Header=BB45_3 Depth=1
	v_cvt_f32_u32_e32 v6, v6
	v_add_nc_u32_e32 v3, s26, v29
	v_mov_b32_e32 v9, s20
	s_mov_b32 s38, exec_lo
	s_delay_alu instid0(VALU_DEP_3) | instskip(NEXT) | instid1(VALU_DEP_3)
	v_fmaak_f32 v8, 0x2f800000, v6, 0x2f800000
	v_cndmask_b32_e64 v3, 0, v3, s1
	s_delay_alu instid0(VALU_DEP_2) | instskip(NEXT) | instid1(VALU_DEP_2)
	v_cmp_le_f32_e32 vcc_lo, v8, v32
	v_lshlrev_b64 v[6:7], 3, v[3:4]
	v_cndmask_b32_e64 v8, 0, 1, vcc_lo
	s_delay_alu instid0(VALU_DEP_2) | instskip(NEXT) | instid1(VALU_DEP_3)
	v_add_co_u32 v6, vcc_lo, s8, v6
	v_add_co_ci_u32_e32 v7, vcc_lo, s9, v7, vcc_lo
	global_store_b64 v[6:7], v[8:9], off
.LBB45_40:                              ;   in Loop: Header=BB45_3 Depth=1
	s_or_b32 exec_lo, exec_lo, s2
	s_delay_alu instid0(SALU_CYCLE_1)
	s_and_not1_b32 s2, s36, exec_lo
	s_or_b32 s36, s36, exec_lo
	s_and_not1_b32 s35, s35, exec_lo
	s_and_not1_b32 s3, s3, exec_lo
	s_and_b32 s38, s38, exec_lo
	s_and_not1_b32 s34, s34, exec_lo
	s_or_b32 exec_lo, exec_lo, s39
	s_and_saveexec_b32 s1, s34
	s_cbranch_execz .LBB45_37
.LBB45_41:                              ;   in Loop: Header=BB45_3 Depth=1
	v_cmp_eq_u32_e32 vcc_lo, 1, v10
	s_and_not1_b32 s34, s38, exec_lo
	s_mov_b32 s37, exec_lo
	s_and_not1_b32 s2, s2, exec_lo
	s_and_not1_b32 s36, s36, exec_lo
	s_and_b32 s38, vcc_lo, exec_lo
	s_and_not1_b32 s35, s35, exec_lo
	s_and_not1_b32 s3, s3, exec_lo
	s_or_b32 s38, s34, s38
	s_or_b32 exec_lo, exec_lo, s1
	s_and_saveexec_b32 s34, s38
	s_cbranch_execz .LBB45_45
.LBB45_42:                              ;   in Loop: Header=BB45_3 Depth=1
	v_cmp_le_f32_e32 vcc_lo, 0, v31
	v_cmp_ge_f32_e64 s1, 1.0, v31
	s_delay_alu instid0(VALU_DEP_1)
	s_and_b32 s39, vcc_lo, s1
	s_mov_b32 s1, 0
	s_and_saveexec_b32 s38, s39
	s_cbranch_execz .LBB45_44
; %bb.43:                               ;   in Loop: Header=BB45_3 Depth=1
	v_dual_mov_b32 v8, s20 :: v_dual_add_nc_u32 v3, s26, v24
	v_cvt_f32_u32_e32 v5, v5
	s_mov_b32 s1, exec_lo
	s_delay_alu instid0(VALU_DEP_2) | instskip(NEXT) | instid1(VALU_DEP_2)
	v_cndmask_b32_e64 v3, 0, v3, s0
	v_fmaak_f32 v7, 0x2f800000, v5, 0x2f800000
	s_delay_alu instid0(VALU_DEP_2) | instskip(NEXT) | instid1(VALU_DEP_2)
	v_lshlrev_b64 v[5:6], 3, v[3:4]
	v_cmp_le_f32_e32 vcc_lo, v7, v31
	v_cndmask_b32_e64 v7, 0, 1, vcc_lo
	s_delay_alu instid0(VALU_DEP_3) | instskip(NEXT) | instid1(VALU_DEP_4)
	v_add_co_u32 v5, vcc_lo, s8, v5
	v_add_co_ci_u32_e32 v6, vcc_lo, s9, v6, vcc_lo
	global_store_b64 v[5:6], v[7:8], off
.LBB45_44:                              ;   in Loop: Header=BB45_3 Depth=1
	s_or_b32 exec_lo, exec_lo, s38
	s_delay_alu instid0(SALU_CYCLE_1)
	s_and_not1_b32 s0, s37, exec_lo
	s_and_b32 s1, s1, exec_lo
	s_or_b32 s2, s2, exec_lo
	s_and_not1_b32 s36, s36, exec_lo
	s_and_not1_b32 s35, s35, exec_lo
	;; [unrolled: 1-line block ×3, first 2 shown]
	s_or_b32 s37, s0, s1
.LBB45_45:                              ;   in Loop: Header=BB45_3 Depth=1
	s_or_b32 exec_lo, exec_lo, s34
	s_delay_alu instid0(SALU_CYCLE_1)
	s_and_not1_b32 s1, s33, exec_lo
	s_and_b32 s2, s2, exec_lo
	s_and_not1_b32 s30, s30, exec_lo
	s_and_b32 s34, s36, exec_lo
	s_or_b32 s33, s1, s2
	s_and_not1_b32 s1, s31, exec_lo
	s_and_b32 s2, s35, exec_lo
	s_and_not1_b32 s29, s29, exec_lo
	s_and_b32 s3, s3, exec_lo
	s_mov_b32 s0, -1
	s_or_b32 s30, s30, s34
	s_or_b32 s31, s1, s2
	;; [unrolled: 1-line block ×3, first 2 shown]
	s_and_saveexec_b32 s1, s37
	s_cbranch_execz .LBB45_2
; %bb.46:                               ;   in Loop: Header=BB45_3 Depth=1
	v_add_nc_u32_e32 v0, s22, v0
	v_subrev_nc_u32_e32 v25, s22, v25
	s_add_i32 s26, s26, s23
	s_and_not1_b32 s33, s33, exec_lo
	s_and_not1_b32 s30, s30, exec_lo
	v_cmp_le_u32_e32 vcc_lo, s16, v0
	s_and_not1_b32 s31, s31, exec_lo
	s_and_not1_b32 s29, s29, exec_lo
	s_or_not1_b32 s0, vcc_lo, exec_lo
	s_branch .LBB45_2
.LBB45_47:
	s_or_b32 exec_lo, exec_lo, s24
	s_xor_b32 s3, s27, -1
	s_xor_b32 s4, s28, -1
	;; [unrolled: 1-line block ×3, first 2 shown]
	s_mov_b32 s1, 0
	s_and_saveexec_b32 s2, s0
	s_delay_alu instid0(SALU_CYCLE_1)
	s_xor_b32 s0, exec_lo, s2
	s_cbranch_execz .LBB45_56
; %bb.48:
	s_mov_b32 s2, 0
	s_and_saveexec_b32 s1, s4
	s_delay_alu instid0(SALU_CYCLE_1)
	s_xor_b32 s1, exec_lo, s1
	s_cbranch_execz .LBB45_54
; %bb.49:
	s_and_saveexec_b32 s4, s3
	s_delay_alu instid0(SALU_CYCLE_1)
	s_xor_b32 s3, exec_lo, s4
	s_cbranch_execz .LBB45_52
; %bb.50:
	s_and_saveexec_b32 s4, s21
	s_delay_alu instid0(SALU_CYCLE_1)
	s_xor_b32 s4, exec_lo, s4
	s_cbranch_execnz .LBB45_70
.LBB45_51:
	s_or_b32 exec_lo, exec_lo, s4
	s_delay_alu instid0(SALU_CYCLE_1)
	s_and_b32 s2, s2, exec_lo
.LBB45_52:
	s_and_not1_saveexec_b32 s3, s3
	s_cbranch_execnz .LBB45_66
.LBB45_53:
	s_or_b32 exec_lo, exec_lo, s3
	s_delay_alu instid0(SALU_CYCLE_1)
	s_and_b32 s2, s2, exec_lo
.LBB45_54:
	s_and_not1_saveexec_b32 s1, s1
	s_cbranch_execnz .LBB45_62
.LBB45_55:
	s_or_b32 exec_lo, exec_lo, s1
	s_delay_alu instid0(SALU_CYCLE_1)
	s_and_b32 s1, s2, exec_lo
.LBB45_56:
	s_and_not1_saveexec_b32 s0, s0
	s_cbranch_execnz .LBB45_60
; %bb.57:
	s_or_b32 exec_lo, exec_lo, s0
	s_delay_alu instid0(SALU_CYCLE_1)
	s_and_b32 exec_lo, exec_lo, s1
.LBB45_58:
	; divergent unreachable
.LBB45_59:
	s_nop 0
	s_sendmsg sendmsg(MSG_DEALLOC_VGPRS)
	s_endpgm
.LBB45_60:
	s_cbranch_execnz .LBB45_64
; %bb.61:
	s_or_b32 s1, s1, exec_lo
	s_or_b32 exec_lo, exec_lo, s0
	s_delay_alu instid0(SALU_CYCLE_1)
	s_and_b32 exec_lo, exec_lo, s1
	s_cbranch_execnz .LBB45_58
	s_branch .LBB45_59
.LBB45_62:
	s_cbranch_execnz .LBB45_68
; %bb.63:
	s_or_b32 s2, s2, exec_lo
	s_branch .LBB45_55
.LBB45_64:
	s_trap 2
	s_sendmsg_rtn_b32 s0, sendmsg(MSG_RTN_GET_DOORBELL)
	s_mov_b32 ttmp2, m0
	s_waitcnt lgkmcnt(0)
	s_and_b32 s0, s0, 0x3ff
	s_delay_alu instid0(SALU_CYCLE_1) | instskip(NEXT) | instid1(SALU_CYCLE_1)
	s_bitset1_b32 s0, 10
	s_mov_b32 m0, s0
	s_sendmsg sendmsg(MSG_INTERRUPT)
	s_mov_b32 m0, ttmp2
.LBB45_65:                              ; =>This Inner Loop Header: Depth=1
	s_sethalt 5
	s_branch .LBB45_65
.LBB45_66:
	s_cbranch_execnz .LBB45_72
; %bb.67:
	s_or_b32 s2, s2, exec_lo
	s_branch .LBB45_53
.LBB45_68:
	s_trap 2
	s_sendmsg_rtn_b32 s0, sendmsg(MSG_RTN_GET_DOORBELL)
	s_mov_b32 ttmp2, m0
	s_waitcnt lgkmcnt(0)
	s_and_b32 s0, s0, 0x3ff
	s_delay_alu instid0(SALU_CYCLE_1) | instskip(NEXT) | instid1(SALU_CYCLE_1)
	s_bitset1_b32 s0, 10
	s_mov_b32 m0, s0
	s_sendmsg sendmsg(MSG_INTERRUPT)
	s_mov_b32 m0, ttmp2
.LBB45_69:                              ; =>This Inner Loop Header: Depth=1
	s_sethalt 5
	s_branch .LBB45_69
.LBB45_70:
	s_cbranch_execnz .LBB45_74
; %bb.71:
	s_mov_b32 s2, exec_lo
	s_branch .LBB45_51
.LBB45_72:
	s_trap 2
	s_sendmsg_rtn_b32 s0, sendmsg(MSG_RTN_GET_DOORBELL)
	s_mov_b32 ttmp2, m0
	s_waitcnt lgkmcnt(0)
	s_and_b32 s0, s0, 0x3ff
	s_delay_alu instid0(SALU_CYCLE_1) | instskip(NEXT) | instid1(SALU_CYCLE_1)
	s_bitset1_b32 s0, 10
	s_mov_b32 m0, s0
	s_sendmsg sendmsg(MSG_INTERRUPT)
	s_mov_b32 m0, ttmp2
.LBB45_73:                              ; =>This Inner Loop Header: Depth=1
	s_sethalt 5
	s_branch .LBB45_73
.LBB45_74:
	s_trap 2
	s_sendmsg_rtn_b32 s0, sendmsg(MSG_RTN_GET_DOORBELL)
	s_mov_b32 ttmp2, m0
	s_waitcnt lgkmcnt(0)
	s_and_b32 s0, s0, 0x3ff
	s_delay_alu instid0(SALU_CYCLE_1) | instskip(NEXT) | instid1(SALU_CYCLE_1)
	s_bitset1_b32 s0, 10
	s_mov_b32 m0, s0
	s_sendmsg sendmsg(MSG_INTERRUPT)
	s_mov_b32 m0, ttmp2
.LBB45_75:                              ; =>This Inner Loop Header: Depth=1
	s_sethalt 5
	s_branch .LBB45_75
	.section	.rodata,"a",@progbits
	.p2align	6, 0x0
	.amdhsa_kernel _ZN2at4cuda12_GLOBAL__N_121kernelPointwiseApply2IZNS_6native9templates4cuda28bernoulli_tensor_cuda_kernelIlfEEvRKNS_10TensorBaseES9_NS_15PhiloxCudaStateEEUliRlSB_SB_SB_RKfSD_SD_SD_E_lSC_jLi1ELi2ELi4ELi512ELi2EEEvNS0_6detail10TensorInfoIT0_T2_EENSG_IT1_SI_EESI_T_
		.amdhsa_group_segment_fixed_size 0
		.amdhsa_private_segment_fixed_size 0
		.amdhsa_kernarg_size 728
		.amdhsa_user_sgpr_count 15
		.amdhsa_user_sgpr_dispatch_ptr 0
		.amdhsa_user_sgpr_queue_ptr 0
		.amdhsa_user_sgpr_kernarg_segment_ptr 1
		.amdhsa_user_sgpr_dispatch_id 0
		.amdhsa_user_sgpr_private_segment_size 0
		.amdhsa_wavefront_size32 1
		.amdhsa_uses_dynamic_stack 0
		.amdhsa_enable_private_segment 0
		.amdhsa_system_sgpr_workgroup_id_x 1
		.amdhsa_system_sgpr_workgroup_id_y 0
		.amdhsa_system_sgpr_workgroup_id_z 0
		.amdhsa_system_sgpr_workgroup_info 0
		.amdhsa_system_vgpr_workitem_id 0
		.amdhsa_next_free_vgpr 41
		.amdhsa_next_free_sgpr 41
		.amdhsa_reserve_vcc 1
		.amdhsa_float_round_mode_32 0
		.amdhsa_float_round_mode_16_64 0
		.amdhsa_float_denorm_mode_32 3
		.amdhsa_float_denorm_mode_16_64 3
		.amdhsa_dx10_clamp 1
		.amdhsa_ieee_mode 1
		.amdhsa_fp16_overflow 0
		.amdhsa_workgroup_processor_mode 1
		.amdhsa_memory_ordered 1
		.amdhsa_forward_progress 0
		.amdhsa_shared_vgpr_count 0
		.amdhsa_exception_fp_ieee_invalid_op 0
		.amdhsa_exception_fp_denorm_src 0
		.amdhsa_exception_fp_ieee_div_zero 0
		.amdhsa_exception_fp_ieee_overflow 0
		.amdhsa_exception_fp_ieee_underflow 0
		.amdhsa_exception_fp_ieee_inexact 0
		.amdhsa_exception_int_div_zero 0
	.end_amdhsa_kernel
	.section	.text._ZN2at4cuda12_GLOBAL__N_121kernelPointwiseApply2IZNS_6native9templates4cuda28bernoulli_tensor_cuda_kernelIlfEEvRKNS_10TensorBaseES9_NS_15PhiloxCudaStateEEUliRlSB_SB_SB_RKfSD_SD_SD_E_lSC_jLi1ELi2ELi4ELi512ELi2EEEvNS0_6detail10TensorInfoIT0_T2_EENSG_IT1_SI_EESI_T_,"axG",@progbits,_ZN2at4cuda12_GLOBAL__N_121kernelPointwiseApply2IZNS_6native9templates4cuda28bernoulli_tensor_cuda_kernelIlfEEvRKNS_10TensorBaseES9_NS_15PhiloxCudaStateEEUliRlSB_SB_SB_RKfSD_SD_SD_E_lSC_jLi1ELi2ELi4ELi512ELi2EEEvNS0_6detail10TensorInfoIT0_T2_EENSG_IT1_SI_EESI_T_,comdat
.Lfunc_end45:
	.size	_ZN2at4cuda12_GLOBAL__N_121kernelPointwiseApply2IZNS_6native9templates4cuda28bernoulli_tensor_cuda_kernelIlfEEvRKNS_10TensorBaseES9_NS_15PhiloxCudaStateEEUliRlSB_SB_SB_RKfSD_SD_SD_E_lSC_jLi1ELi2ELi4ELi512ELi2EEEvNS0_6detail10TensorInfoIT0_T2_EENSG_IT1_SI_EESI_T_, .Lfunc_end45-_ZN2at4cuda12_GLOBAL__N_121kernelPointwiseApply2IZNS_6native9templates4cuda28bernoulli_tensor_cuda_kernelIlfEEvRKNS_10TensorBaseES9_NS_15PhiloxCudaStateEEUliRlSB_SB_SB_RKfSD_SD_SD_E_lSC_jLi1ELi2ELi4ELi512ELi2EEEvNS0_6detail10TensorInfoIT0_T2_EENSG_IT1_SI_EESI_T_
                                        ; -- End function
	.section	.AMDGPU.csdata,"",@progbits
; Kernel info:
; codeLenInByte = 3756
; NumSgprs: 43
; NumVgprs: 41
; ScratchSize: 0
; MemoryBound: 0
; FloatMode: 240
; IeeeMode: 1
; LDSByteSize: 0 bytes/workgroup (compile time only)
; SGPRBlocks: 5
; VGPRBlocks: 5
; NumSGPRsForWavesPerEU: 43
; NumVGPRsForWavesPerEU: 41
; Occupancy: 16
; WaveLimiterHint : 1
; COMPUTE_PGM_RSRC2:SCRATCH_EN: 0
; COMPUTE_PGM_RSRC2:USER_SGPR: 15
; COMPUTE_PGM_RSRC2:TRAP_HANDLER: 0
; COMPUTE_PGM_RSRC2:TGID_X_EN: 1
; COMPUTE_PGM_RSRC2:TGID_Y_EN: 0
; COMPUTE_PGM_RSRC2:TGID_Z_EN: 0
; COMPUTE_PGM_RSRC2:TIDIG_COMP_CNT: 0
	.section	.text._ZN2at4cuda12_GLOBAL__N_121kernelPointwiseApply2IZNS_6native9templates4cuda28bernoulli_tensor_cuda_kernelIlfEEvRKNS_10TensorBaseES9_NS_15PhiloxCudaStateEEUliRlSB_SB_SB_RKfSD_SD_SD_E_lSC_jLi1ELin1ELi4ELi512ELi2EEEvNS0_6detail10TensorInfoIT0_T2_EENSG_IT1_SI_EESI_T_,"axG",@progbits,_ZN2at4cuda12_GLOBAL__N_121kernelPointwiseApply2IZNS_6native9templates4cuda28bernoulli_tensor_cuda_kernelIlfEEvRKNS_10TensorBaseES9_NS_15PhiloxCudaStateEEUliRlSB_SB_SB_RKfSD_SD_SD_E_lSC_jLi1ELin1ELi4ELi512ELi2EEEvNS0_6detail10TensorInfoIT0_T2_EENSG_IT1_SI_EESI_T_,comdat
	.globl	_ZN2at4cuda12_GLOBAL__N_121kernelPointwiseApply2IZNS_6native9templates4cuda28bernoulli_tensor_cuda_kernelIlfEEvRKNS_10TensorBaseES9_NS_15PhiloxCudaStateEEUliRlSB_SB_SB_RKfSD_SD_SD_E_lSC_jLi1ELin1ELi4ELi512ELi2EEEvNS0_6detail10TensorInfoIT0_T2_EENSG_IT1_SI_EESI_T_ ; -- Begin function _ZN2at4cuda12_GLOBAL__N_121kernelPointwiseApply2IZNS_6native9templates4cuda28bernoulli_tensor_cuda_kernelIlfEEvRKNS_10TensorBaseES9_NS_15PhiloxCudaStateEEUliRlSB_SB_SB_RKfSD_SD_SD_E_lSC_jLi1ELin1ELi4ELi512ELi2EEEvNS0_6detail10TensorInfoIT0_T2_EENSG_IT1_SI_EESI_T_
	.p2align	8
	.type	_ZN2at4cuda12_GLOBAL__N_121kernelPointwiseApply2IZNS_6native9templates4cuda28bernoulli_tensor_cuda_kernelIlfEEvRKNS_10TensorBaseES9_NS_15PhiloxCudaStateEEUliRlSB_SB_SB_RKfSD_SD_SD_E_lSC_jLi1ELin1ELi4ELi512ELi2EEEvNS0_6detail10TensorInfoIT0_T2_EENSG_IT1_SI_EESI_T_,@function
_ZN2at4cuda12_GLOBAL__N_121kernelPointwiseApply2IZNS_6native9templates4cuda28bernoulli_tensor_cuda_kernelIlfEEvRKNS_10TensorBaseES9_NS_15PhiloxCudaStateEEUliRlSB_SB_SB_RKfSD_SD_SD_E_lSC_jLi1ELin1ELi4ELi512ELi2EEEvNS0_6detail10TensorInfoIT0_T2_EENSG_IT1_SI_EESI_T_: ; @_ZN2at4cuda12_GLOBAL__N_121kernelPointwiseApply2IZNS_6native9templates4cuda28bernoulli_tensor_cuda_kernelIlfEEvRKNS_10TensorBaseES9_NS_15PhiloxCudaStateEEUliRlSB_SB_SB_RKfSD_SD_SD_E_lSC_jLi1ELin1ELi4ELi512ELi2EEEvNS0_6detail10TensorInfoIT0_T2_EENSG_IT1_SI_EESI_T_
; %bb.0:
	s_clause 0x1
	s_load_b32 s4, s[0:1], 0x1e4
	s_load_b32 s20, s[0:1], 0x1b0
	s_add_u32 s2, s0, 0x1d8
	s_addc_u32 s3, s1, 0
	s_waitcnt lgkmcnt(0)
	s_and_b32 s14, s4, 0xffff
	s_mov_b32 s4, exec_lo
	v_mad_u64_u32 v[1:2], null, s15, s14, v[0:1]
	s_delay_alu instid0(VALU_DEP_1) | instskip(NEXT) | instid1(VALU_DEP_1)
	v_lshlrev_b32_e32 v24, 2, v1
	v_cmpx_gt_u32_e64 s20, v24
	s_cbranch_execz .LBB46_73
; %bb.1:
	s_load_b32 s16, s[0:1], 0x1a8
	s_load_b32 s2, s[2:3], 0x0
	s_clause 0x6
	s_load_b32 s3, s[0:1], 0x1d0
	s_load_b128 s[4:7], s[0:1], 0x1b8
	s_load_b64 s[8:9], s[0:1], 0x1c8
	s_load_b64 s[10:11], s[0:1], 0x0
	s_load_b32 s21, s[0:1], 0x6c
	s_load_b32 s22, s[0:1], 0x144
	s_load_b64 s[12:13], s[0:1], 0xd8
	s_add_u32 s17, s0, 0xd8
	s_addc_u32 s18, s1, 0
	v_mad_u64_u32 v[2:3], null, 0xcd9e8d57, v1, 0
	s_mov_b32 s15, 0
	v_mov_b32_e32 v4, 0
	s_mov_b32 s27, 0
                                        ; implicit-def: $sgpr28
                                        ; implicit-def: $sgpr30
                                        ; implicit-def: $sgpr29
                                        ; implicit-def: $sgpr31
                                        ; implicit-def: $sgpr34
                                        ; implicit-def: $sgpr33
                                        ; implicit-def: $sgpr35
	s_delay_alu instid0(VALU_DEP_2)
	v_mov_b32_e32 v25, v3
	s_waitcnt lgkmcnt(0)
	s_cmp_gt_i32 s16, 1
	s_mul_i32 s2, s2, s14
	s_cselect_b32 s23, -1, 0
	s_bitcmp1_b32 s3, 0
	s_cselect_b32 s24, -1, 0
	s_add_i32 s14, s16, -1
	s_lshl_b32 s25, s2, 2
	s_lshl_b64 s[0:1], s[14:15], 2
	s_add_i32 s26, s16, 1
	s_add_u32 s0, s0, s17
	s_addc_u32 s1, s1, s18
	s_add_u32 s16, s0, 8
	s_addc_u32 s17, s1, 0
                                        ; implicit-def: $sgpr14
	s_branch .LBB46_3
.LBB46_2:                               ;   in Loop: Header=BB46_3 Depth=1
	s_or_b32 exec_lo, exec_lo, s1
	s_delay_alu instid0(SALU_CYCLE_1) | instskip(NEXT) | instid1(SALU_CYCLE_1)
	s_and_b32 s0, exec_lo, s0
	s_or_b32 s27, s0, s27
	s_and_not1_b32 s0, s14, exec_lo
	s_and_b32 s1, s35, exec_lo
	s_and_not1_b32 s2, s29, exec_lo
	s_and_b32 s3, s33, exec_lo
	s_or_b32 s14, s0, s1
	s_or_b32 s29, s2, s3
	s_and_not1_b32 s0, s30, exec_lo
	s_and_b32 s1, s34, exec_lo
	s_and_not1_b32 s2, s28, exec_lo
	s_and_b32 s3, s31, exec_lo
	s_or_b32 s30, s0, s1
	s_or_b32 s28, s2, s3
	s_and_not1_b32 exec_lo, exec_lo, s27
	s_cbranch_execz .LBB46_61
.LBB46_3:                               ; =>This Loop Header: Depth=1
                                        ;     Child Loop BB46_6 Depth 2
                                        ;     Child Loop BB46_11 Depth 2
	;; [unrolled: 1-line block ×4, first 2 shown]
	v_sub_nc_u32_e32 v27, s20, v24
	v_mov_b32_e32 v3, 0
	s_delay_alu instid0(VALU_DEP_2) | instskip(NEXT) | instid1(VALU_DEP_1)
	v_cmp_lt_i32_e64 s0, 0, v27
	s_and_saveexec_b32 s1, s0
	s_cbranch_execz .LBB46_8
; %bb.4:                                ;   in Loop: Header=BB46_3 Depth=1
	v_dual_mov_b32 v0, 0 :: v_dual_mov_b32 v3, v24
	s_and_not1_b32 vcc_lo, exec_lo, s23
	s_cbranch_vccnz .LBB46_7
; %bb.5:                                ;   in Loop: Header=BB46_3 Depth=1
	v_dual_mov_b32 v0, 0 :: v_dual_mov_b32 v3, v24
	s_mov_b64 s[2:3], s[16:17]
	s_mov_b32 s18, s26
	s_set_inst_prefetch_distance 0x1
	.p2align	6
.LBB46_6:                               ;   Parent Loop BB46_3 Depth=1
                                        ; =>  This Inner Loop Header: Depth=2
	s_clause 0x1
	s_load_b32 s19, s[2:3], 0x0
	s_load_b32 s36, s[2:3], 0x64
	v_mov_b32_e32 v7, v3
	s_add_i32 s18, s18, -1
	s_waitcnt lgkmcnt(0)
	v_cvt_f32_u32_e32 v5, s19
	s_sub_i32 s37, 0, s19
	s_add_u32 s2, s2, -4
	s_addc_u32 s3, s3, -1
	s_cmp_gt_u32 s18, 2
	v_rcp_iflag_f32_e32 v5, v5
	s_waitcnt_depctr 0xfff
	v_mul_f32_e32 v5, 0x4f7ffffe, v5
	s_delay_alu instid0(VALU_DEP_1) | instskip(NEXT) | instid1(VALU_DEP_1)
	v_cvt_u32_f32_e32 v5, v5
	v_mul_lo_u32 v6, s37, v5
	s_delay_alu instid0(VALU_DEP_1) | instskip(NEXT) | instid1(VALU_DEP_1)
	v_mul_hi_u32 v6, v5, v6
	v_add_nc_u32_e32 v3, v5, v6
	s_delay_alu instid0(VALU_DEP_1) | instskip(NEXT) | instid1(VALU_DEP_1)
	v_mul_hi_u32 v3, v7, v3
	v_add_nc_u32_e32 v6, 1, v3
	v_mul_lo_u32 v5, v3, s19
	s_delay_alu instid0(VALU_DEP_1) | instskip(NEXT) | instid1(VALU_DEP_1)
	v_sub_nc_u32_e32 v5, v7, v5
	v_subrev_nc_u32_e32 v8, s19, v5
	v_cmp_le_u32_e32 vcc_lo, s19, v5
	v_cndmask_b32_e32 v3, v3, v6, vcc_lo
	s_delay_alu instid0(VALU_DEP_1) | instskip(NEXT) | instid1(VALU_DEP_1)
	v_dual_cndmask_b32 v5, v5, v8 :: v_dual_add_nc_u32 v6, 1, v3
	v_cmp_le_u32_e32 vcc_lo, s19, v5
	s_delay_alu instid0(VALU_DEP_2) | instskip(NEXT) | instid1(VALU_DEP_1)
	v_cndmask_b32_e32 v3, v3, v6, vcc_lo
	v_mul_lo_u32 v5, v3, s19
	s_delay_alu instid0(VALU_DEP_1) | instskip(NEXT) | instid1(VALU_DEP_1)
	v_sub_nc_u32_e32 v7, v7, v5
	v_mad_u64_u32 v[5:6], null, s36, v7, v[0:1]
	s_delay_alu instid0(VALU_DEP_1)
	v_mov_b32_e32 v0, v5
	s_cbranch_scc1 .LBB46_6
.LBB46_7:                               ;   in Loop: Header=BB46_3 Depth=1
	s_set_inst_prefetch_distance 0x2
	s_delay_alu instid0(VALU_DEP_1) | instskip(NEXT) | instid1(VALU_DEP_1)
	v_mad_u64_u32 v[5:6], null, s22, v3, v[0:1]
	v_mov_b32_e32 v3, v5
.LBB46_8:                               ;   in Loop: Header=BB46_3 Depth=1
	s_or_b32 exec_lo, exec_lo, s1
	v_mov_b32_e32 v5, 0
	v_mov_b32_e32 v6, 0
	v_cmp_lt_i32_e64 s1, 1, v27
	s_delay_alu instid0(VALU_DEP_1)
	s_and_saveexec_b32 s18, s1
	s_cbranch_execz .LBB46_13
; %bb.9:                                ;   in Loop: Header=BB46_3 Depth=1
	v_or_b32_e32 v7, 1, v24
	v_mov_b32_e32 v0, 0
	s_and_not1_b32 vcc_lo, exec_lo, s23
	s_cbranch_vccnz .LBB46_12
; %bb.10:                               ;   in Loop: Header=BB46_3 Depth=1
	v_mov_b32_e32 v0, 0
	s_mov_b64 s[2:3], s[16:17]
	s_mov_b32 s19, s26
	s_set_inst_prefetch_distance 0x1
	.p2align	6
.LBB46_11:                              ;   Parent Loop BB46_3 Depth=1
                                        ; =>  This Inner Loop Header: Depth=2
	s_clause 0x1
	s_load_b32 s36, s[2:3], 0x0
	s_load_b32 s37, s[2:3], 0x64
	s_add_i32 s19, s19, -1
	v_mov_b32_e32 v8, v7
	s_waitcnt lgkmcnt(0)
	v_cvt_f32_u32_e32 v5, s36
	s_sub_i32 s38, 0, s36
	s_add_u32 s2, s2, -4
	s_addc_u32 s3, s3, -1
	s_cmp_gt_u32 s19, 2
	v_rcp_iflag_f32_e32 v5, v5
	s_waitcnt_depctr 0xfff
	v_mul_f32_e32 v5, 0x4f7ffffe, v5
	s_delay_alu instid0(VALU_DEP_1) | instskip(NEXT) | instid1(VALU_DEP_1)
	v_cvt_u32_f32_e32 v5, v5
	v_mul_lo_u32 v6, s38, v5
	s_delay_alu instid0(VALU_DEP_1) | instskip(NEXT) | instid1(VALU_DEP_1)
	v_mul_hi_u32 v6, v5, v6
	v_add_nc_u32_e32 v5, v5, v6
	s_delay_alu instid0(VALU_DEP_1) | instskip(NEXT) | instid1(VALU_DEP_1)
	v_mul_hi_u32 v5, v8, v5
	v_mul_lo_u32 v6, v5, s36
	v_add_nc_u32_e32 v7, 1, v5
	s_delay_alu instid0(VALU_DEP_2) | instskip(NEXT) | instid1(VALU_DEP_1)
	v_sub_nc_u32_e32 v6, v8, v6
	v_subrev_nc_u32_e32 v9, s36, v6
	v_cmp_le_u32_e32 vcc_lo, s36, v6
	s_delay_alu instid0(VALU_DEP_2) | instskip(NEXT) | instid1(VALU_DEP_1)
	v_dual_cndmask_b32 v5, v5, v7 :: v_dual_cndmask_b32 v6, v6, v9
	v_add_nc_u32_e32 v7, 1, v5
	s_delay_alu instid0(VALU_DEP_2) | instskip(NEXT) | instid1(VALU_DEP_2)
	v_cmp_le_u32_e32 vcc_lo, s36, v6
	v_cndmask_b32_e32 v7, v5, v7, vcc_lo
	s_delay_alu instid0(VALU_DEP_1) | instskip(NEXT) | instid1(VALU_DEP_1)
	v_mul_lo_u32 v5, v7, s36
	v_sub_nc_u32_e32 v8, v8, v5
	s_delay_alu instid0(VALU_DEP_1) | instskip(NEXT) | instid1(VALU_DEP_1)
	v_mad_u64_u32 v[5:6], null, s37, v8, v[0:1]
	v_mov_b32_e32 v0, v5
	s_cbranch_scc1 .LBB46_11
.LBB46_12:                              ;   in Loop: Header=BB46_3 Depth=1
	s_set_inst_prefetch_distance 0x2
	s_delay_alu instid0(VALU_DEP_1)
	v_mad_u64_u32 v[5:6], null, s22, v7, v[0:1]
	v_mov_b32_e32 v6, v4
.LBB46_13:                              ;   in Loop: Header=BB46_3 Depth=1
	s_or_b32 exec_lo, exec_lo, s18
	v_mov_b32_e32 v9, 0
	v_mov_b32_e32 v10, 0
	v_cmp_lt_i32_e64 s2, 2, v27
	s_delay_alu instid0(VALU_DEP_1)
	s_and_saveexec_b32 s3, s2
	s_cbranch_execz .LBB46_18
; %bb.14:                               ;   in Loop: Header=BB46_3 Depth=1
	v_or_b32_e32 v7, 2, v24
	v_mov_b32_e32 v0, 0
	s_and_not1_b32 vcc_lo, exec_lo, s23
	s_cbranch_vccnz .LBB46_17
; %bb.15:                               ;   in Loop: Header=BB46_3 Depth=1
	v_mov_b32_e32 v0, 0
	s_mov_b64 s[18:19], s[16:17]
	s_mov_b32 s36, s26
	s_set_inst_prefetch_distance 0x1
	.p2align	6
.LBB46_16:                              ;   Parent Loop BB46_3 Depth=1
                                        ; =>  This Inner Loop Header: Depth=2
	s_clause 0x1
	s_load_b32 s37, s[18:19], 0x0
	s_load_b32 s38, s[18:19], 0x64
	s_add_i32 s36, s36, -1
	s_waitcnt lgkmcnt(0)
	v_cvt_f32_u32_e32 v8, s37
	s_sub_i32 s39, 0, s37
	s_add_u32 s18, s18, -4
	s_addc_u32 s19, s19, -1
	s_cmp_gt_u32 s36, 2
	v_rcp_iflag_f32_e32 v8, v8
	s_waitcnt_depctr 0xfff
	v_mul_f32_e32 v8, 0x4f7ffffe, v8
	s_delay_alu instid0(VALU_DEP_1) | instskip(NEXT) | instid1(VALU_DEP_1)
	v_cvt_u32_f32_e32 v8, v8
	v_mul_lo_u32 v9, s39, v8
	s_delay_alu instid0(VALU_DEP_1) | instskip(NEXT) | instid1(VALU_DEP_1)
	v_mul_hi_u32 v9, v8, v9
	v_dual_mov_b32 v10, v7 :: v_dual_add_nc_u32 v7, v8, v9
	s_delay_alu instid0(VALU_DEP_1) | instskip(NEXT) | instid1(VALU_DEP_1)
	v_mul_hi_u32 v7, v10, v7
	v_mul_lo_u32 v8, v7, s37
	v_add_nc_u32_e32 v9, 1, v7
	s_delay_alu instid0(VALU_DEP_2) | instskip(NEXT) | instid1(VALU_DEP_1)
	v_sub_nc_u32_e32 v8, v10, v8
	v_subrev_nc_u32_e32 v11, s37, v8
	v_cmp_le_u32_e32 vcc_lo, s37, v8
	s_delay_alu instid0(VALU_DEP_2) | instskip(NEXT) | instid1(VALU_DEP_1)
	v_dual_cndmask_b32 v7, v7, v9 :: v_dual_cndmask_b32 v8, v8, v11
	v_add_nc_u32_e32 v9, 1, v7
	s_delay_alu instid0(VALU_DEP_2) | instskip(NEXT) | instid1(VALU_DEP_2)
	v_cmp_le_u32_e32 vcc_lo, s37, v8
	v_cndmask_b32_e32 v7, v7, v9, vcc_lo
	s_delay_alu instid0(VALU_DEP_1) | instskip(NEXT) | instid1(VALU_DEP_1)
	v_mul_lo_u32 v8, v7, s37
	v_sub_nc_u32_e32 v10, v10, v8
	s_delay_alu instid0(VALU_DEP_1) | instskip(NEXT) | instid1(VALU_DEP_1)
	v_mad_u64_u32 v[8:9], null, s38, v10, v[0:1]
	v_mov_b32_e32 v0, v8
	s_cbranch_scc1 .LBB46_16
.LBB46_17:                              ;   in Loop: Header=BB46_3 Depth=1
	s_set_inst_prefetch_distance 0x2
	s_delay_alu instid0(VALU_DEP_1)
	v_mad_u64_u32 v[9:10], null, s22, v7, v[0:1]
	v_mov_b32_e32 v10, v4
.LBB46_18:                              ;   in Loop: Header=BB46_3 Depth=1
	s_or_b32 exec_lo, exec_lo, s3
	v_mul_lo_u32 v26, v24, s21
	v_mov_b32_e32 v11, 0
	s_mov_b32 s3, exec_lo
	s_delay_alu instid0(VALU_DEP_2) | instskip(NEXT) | instid1(VALU_DEP_1)
	v_add_nc_u32_e32 v28, s21, v26
	v_dual_mov_b32 v12, 0 :: v_dual_add_nc_u32 v29, s21, v28
	s_delay_alu instid0(VALU_DEP_1)
	v_dual_mov_b32 v7, v11 :: v_dual_mov_b32 v8, v12
	v_cmpx_lt_i32_e32 3, v27
	s_cbranch_execz .LBB46_23
; %bb.19:                               ;   in Loop: Header=BB46_3 Depth=1
	v_or_b32_e32 v7, 3, v24
	v_mov_b32_e32 v0, 0
	s_and_not1_b32 vcc_lo, exec_lo, s23
	s_cbranch_vccnz .LBB46_22
; %bb.20:                               ;   in Loop: Header=BB46_3 Depth=1
	v_mov_b32_e32 v0, 0
	s_mov_b64 s[18:19], s[16:17]
	s_mov_b32 s36, s26
	s_set_inst_prefetch_distance 0x1
	.p2align	6
.LBB46_21:                              ;   Parent Loop BB46_3 Depth=1
                                        ; =>  This Inner Loop Header: Depth=2
	s_clause 0x1
	s_load_b32 s37, s[18:19], 0x0
	s_load_b32 s38, s[18:19], 0x64
	s_add_i32 s36, s36, -1
	s_waitcnt lgkmcnt(0)
	v_cvt_f32_u32_e32 v8, s37
	s_sub_i32 s39, 0, s37
	s_add_u32 s18, s18, -4
	s_addc_u32 s19, s19, -1
	s_cmp_gt_u32 s36, 2
	v_rcp_iflag_f32_e32 v8, v8
	s_waitcnt_depctr 0xfff
	v_mul_f32_e32 v8, 0x4f7ffffe, v8
	s_delay_alu instid0(VALU_DEP_1) | instskip(NEXT) | instid1(VALU_DEP_1)
	v_cvt_u32_f32_e32 v8, v8
	v_mul_lo_u32 v11, s39, v8
	s_delay_alu instid0(VALU_DEP_1) | instskip(NEXT) | instid1(VALU_DEP_1)
	v_mul_hi_u32 v11, v8, v11
	v_dual_mov_b32 v12, v7 :: v_dual_add_nc_u32 v7, v8, v11
	s_delay_alu instid0(VALU_DEP_1) | instskip(NEXT) | instid1(VALU_DEP_1)
	v_mul_hi_u32 v7, v12, v7
	v_mul_lo_u32 v8, v7, s37
	v_add_nc_u32_e32 v11, 1, v7
	s_delay_alu instid0(VALU_DEP_2) | instskip(NEXT) | instid1(VALU_DEP_1)
	v_sub_nc_u32_e32 v8, v12, v8
	v_subrev_nc_u32_e32 v13, s37, v8
	v_cmp_le_u32_e32 vcc_lo, s37, v8
	s_delay_alu instid0(VALU_DEP_2) | instskip(NEXT) | instid1(VALU_DEP_1)
	v_dual_cndmask_b32 v7, v7, v11 :: v_dual_cndmask_b32 v8, v8, v13
	v_add_nc_u32_e32 v11, 1, v7
	s_delay_alu instid0(VALU_DEP_2) | instskip(NEXT) | instid1(VALU_DEP_2)
	v_cmp_le_u32_e32 vcc_lo, s37, v8
	v_cndmask_b32_e32 v7, v7, v11, vcc_lo
	s_delay_alu instid0(VALU_DEP_1) | instskip(NEXT) | instid1(VALU_DEP_1)
	v_mul_lo_u32 v8, v7, s37
	v_sub_nc_u32_e32 v8, v12, v8
	s_delay_alu instid0(VALU_DEP_1) | instskip(NEXT) | instid1(VALU_DEP_1)
	v_mad_u64_u32 v[11:12], null, s38, v8, v[0:1]
	v_mov_b32_e32 v0, v11
	s_cbranch_scc1 .LBB46_21
.LBB46_22:                              ;   in Loop: Header=BB46_3 Depth=1
	s_set_inst_prefetch_distance 0x2
	s_delay_alu instid0(VALU_DEP_1)
	v_mad_u64_u32 v[11:12], null, s22, v7, v[0:1]
	v_dual_mov_b32 v8, v4 :: v_dual_add_nc_u32 v7, s21, v29
	v_mov_b32_e32 v12, v4
.LBB46_23:                              ;   in Loop: Header=BB46_3 Depth=1
	s_or_b32 exec_lo, exec_lo, s3
	v_lshlrev_b64 v[13:14], 2, v[3:4]
	v_lshlrev_b64 v[5:6], 2, v[5:6]
	;; [unrolled: 1-line block ×4, first 2 shown]
	s_delay_alu instid0(VALU_DEP_4)
	v_add_co_u32 v13, vcc_lo, s12, v13
	v_add_co_ci_u32_e32 v14, vcc_lo, s13, v14, vcc_lo
	v_add_co_u32 v5, vcc_lo, s12, v5
	v_add_co_ci_u32_e32 v6, vcc_lo, s13, v6, vcc_lo
	v_add_co_u32 v9, vcc_lo, s12, v9
	v_add_co_ci_u32_e32 v10, vcc_lo, s13, v10, vcc_lo
	v_add_co_u32 v11, vcc_lo, s12, v11
	v_add_co_ci_u32_e32 v12, vcc_lo, s13, v12, vcc_lo
	s_clause 0x3
	global_load_b32 v0, v[13:14], off
	global_load_b32 v30, v[5:6], off
	;; [unrolled: 1-line block ×4, first 2 shown]
	v_dual_mov_b32 v12, s7 :: v_dual_mov_b32 v11, s6
	v_dual_mov_b32 v14, s5 :: v_dual_mov_b32 v13, s4
	s_and_not1_b32 vcc_lo, exec_lo, s24
	s_cbranch_vccnz .LBB46_25
; %bb.24:                               ;   in Loop: Header=BB46_3 Depth=1
	v_dual_mov_b32 v5, s6 :: v_dual_mov_b32 v6, s7
	v_dual_mov_b32 v10, s5 :: v_dual_mov_b32 v9, s4
	flat_load_b64 v[5:6], v[5:6]
	flat_load_b64 v[13:14], v[9:10]
	s_waitcnt vmcnt(1) lgkmcnt(1)
	v_add_co_u32 v11, vcc_lo, v5, s8
	v_add_co_ci_u32_e32 v12, vcc_lo, s9, v6, vcc_lo
.LBB46_25:                              ;   in Loop: Header=BB46_3 Depth=1
	s_delay_alu instid0(VALU_DEP_1)
	v_alignbit_b32 v15, v12, v11, 2
	v_lshrrev_b32_e32 v9, 2, v12
	s_waitcnt vmcnt(0) lgkmcnt(0)
	v_add_nc_u32_e32 v32, 0x9e3779b9, v13
	v_add_nc_u32_e32 v34, 0x3c6ef372, v13
	;; [unrolled: 1-line block ×3, first 2 shown]
	v_add_co_u32 v10, vcc_lo, v15, 1
	s_delay_alu instid0(VALU_DEP_1) | instskip(SKIP_4) | instid1(VALU_DEP_4)
	v_cndmask_b32_e64 v5, 0, 1, vcc_lo
	v_add_co_ci_u32_e32 v12, vcc_lo, 0, v9, vcc_lo
	v_xor3_b32 v17, v25, v13, v9
	v_add_nc_u32_e32 v36, 0x32370b8f, v14
	v_add_nc_u32_e32 v37, 0xed9eba14, v14
	v_cmp_eq_u32_e32 vcc_lo, 0, v12
	v_add_nc_u32_e32 v38, 0x1fd5c5a3, v14
	s_mov_b32 s3, exec_lo
	v_dual_cndmask_b32 v16, 0, v5 :: v_dual_add_nc_u32 v33, 0xbb67ae85, v14
	v_mad_u64_u32 v[5:6], null, 0xd2511f53, v10, 0
	v_mad_u64_u32 v[9:10], null, 0xd2511f53, v15, 0
	s_delay_alu instid0(VALU_DEP_3) | instskip(NEXT) | instid1(VALU_DEP_3)
	v_add_nc_u32_e32 v19, v16, v1
	v_xor_b32_e32 v6, v6, v14
	s_delay_alu instid0(VALU_DEP_2) | instskip(SKIP_1) | instid1(VALU_DEP_1)
	v_cmp_eq_u32_e32 vcc_lo, 0, v19
	v_cndmask_b32_e32 v16, 0, v16, vcc_lo
	v_xor_b32_e32 v6, v16, v6
	v_mad_u64_u32 v[15:16], null, 0xd2511f53, v17, 0
	v_mad_u64_u32 v[17:18], null, 0xcd9e8d57, v19, 0
	s_delay_alu instid0(VALU_DEP_3) | instskip(SKIP_1) | instid1(VALU_DEP_4)
	v_mad_u64_u32 v[19:20], null, 0xcd9e8d57, v6, 0
	v_xor_b32_e32 v6, v10, v14
	v_xor3_b32 v21, v33, v16, v9
	s_delay_alu instid0(VALU_DEP_2) | instskip(SKIP_2) | instid1(VALU_DEP_4)
	v_mad_u64_u32 v[9:10], null, 0xcd9e8d57, v6, 0
	v_xor3_b32 v6, v18, v13, v12
	v_xor3_b32 v12, v32, v20, v17
	v_mad_u64_u32 v[16:17], null, 0xcd9e8d57, v21, 0
	s_delay_alu instid0(VALU_DEP_3) | instskip(NEXT) | instid1(VALU_DEP_3)
	v_mad_u64_u32 v[20:21], null, 0xd2511f53, v6, 0
	v_mad_u64_u32 v[22:23], null, 0xd2511f53, v12, 0
	v_xor3_b32 v6, v2, v10, v32
	s_delay_alu instid0(VALU_DEP_4) | instskip(SKIP_2) | instid1(VALU_DEP_4)
	v_xor3_b32 v17, v34, v17, v9
	v_add_nc_u32_e32 v12, 0xdaa66d2b, v13
	v_xor3_b32 v21, v33, v21, v5
	v_mad_u64_u32 v[9:10], null, 0xd2511f53, v6, 0
	v_xor3_b32 v23, v35, v23, v20
	v_mad_u64_u32 v[5:6], null, 0xd2511f53, v17, 0
	s_delay_alu instid0(VALU_DEP_4) | instskip(NEXT) | instid1(VALU_DEP_3)
	v_mad_u64_u32 v[17:18], null, 0xcd9e8d57, v21, 0
	v_mad_u64_u32 v[20:21], null, 0xcd9e8d57, v23, 0
	v_xor3_b32 v15, v35, v10, v15
	v_add_nc_u32_e32 v23, 0x78dde6e4, v13
	v_xor3_b32 v6, v36, v6, v9
	s_delay_alu instid0(VALU_DEP_3) | instskip(SKIP_2) | instid1(VALU_DEP_4)
	v_mad_u64_u32 v[9:10], null, 0xcd9e8d57, v15, 0
	v_xor3_b32 v15, v34, v18, v19
	v_xor3_b32 v19, v12, v21, v17
	v_mad_u64_u32 v[17:18], null, 0xcd9e8d57, v6, 0
	s_delay_alu instid0(VALU_DEP_3) | instskip(NEXT) | instid1(VALU_DEP_3)
	v_mad_u64_u32 v[32:33], null, 0xd2511f53, v15, 0
	v_mad_u64_u32 v[34:35], null, 0xd2511f53, v19, 0
	v_xor3_b32 v6, v12, v10, v16
	s_delay_alu instid0(VALU_DEP_4) | instskip(SKIP_2) | instid1(VALU_DEP_4)
	v_xor3_b32 v15, v23, v18, v9
	v_add_nc_u32_e32 v12, 0x1715609d, v13
	v_add_nc_u32_e32 v19, 0xa9066899, v14
	v_mad_u64_u32 v[9:10], null, 0xd2511f53, v6, 0
	v_xor3_b32 v6, v36, v33, v22
	v_xor3_b32 v18, v37, v35, v32
	v_mad_u64_u32 v[21:22], null, 0xd2511f53, v15, 0
	v_add_nc_u32_e32 v33, 0xb54cda56, v13
	s_delay_alu instid0(VALU_DEP_4) | instskip(NEXT) | instid1(VALU_DEP_4)
	v_mad_u64_u32 v[15:16], null, 0xcd9e8d57, v6, 0
	v_mad_u64_u32 v[35:36], null, 0xcd9e8d57, v18, 0
	v_xor3_b32 v10, v37, v10, v5
	v_xor3_b32 v18, v19, v22, v9
	v_add_nc_u32_e32 v32, 0x646e171e, v14
	v_xor3_b32 v20, v23, v16, v20
	s_delay_alu instid0(VALU_DEP_4) | instskip(SKIP_2) | instid1(VALU_DEP_4)
	v_mad_u64_u32 v[5:6], null, 0xcd9e8d57, v10, 0
	v_xor3_b32 v22, v12, v36, v15
	v_mad_u64_u32 v[9:10], null, 0xcd9e8d57, v18, 0
	v_mad_u64_u32 v[15:16], null, 0xd2511f53, v20, 0
	s_delay_alu instid0(VALU_DEP_3) | instskip(SKIP_3) | instid1(VALU_DEP_3)
	v_mad_u64_u32 v[36:37], null, 0xd2511f53, v22, 0
	v_xor3_b32 v12, v12, v6, v17
	v_add_nc_u32_e32 v20, 0x5384540f, v13
	v_xor3_b32 v10, v33, v10, v5
	v_mad_u64_u32 v[5:6], null, 0xd2511f53, v12, 0
	v_xor3_b32 v12, v19, v16, v34
	v_xor3_b32 v17, v32, v37, v15
	s_delay_alu instid0(VALU_DEP_4) | instskip(NEXT) | instid1(VALU_DEP_3)
	v_mad_u64_u32 v[15:16], null, 0xd2511f53, v10, 0
	v_mad_u64_u32 v[22:23], null, 0xcd9e8d57, v12, 0
	s_delay_alu instid0(VALU_DEP_3) | instskip(SKIP_1) | instid1(VALU_DEP_4)
	v_mad_u64_u32 v[18:19], null, 0xcd9e8d57, v17, 0
	v_xor3_b32 v10, v32, v6, v21
	v_xor3_b32 v12, v38, v16, v5
	v_add_co_u32 v32, null, 0xf1bbcdc8, v13
	s_delay_alu instid0(VALU_DEP_3) | instskip(SKIP_4) | instid1(VALU_DEP_4)
	v_mad_u64_u32 v[5:6], null, 0xcd9e8d57, v10, 0
	v_xor3_b32 v10, v33, v23, v35
	v_xor3_b32 v19, v20, v19, v22
	v_mad_u64_u32 v[16:17], null, 0xcd9e8d57, v12, 0
	v_add_nc_u32_e32 v33, 0xdb3d7428, v14
	v_mad_u64_u32 v[34:35], null, 0xd2511f53, v10, 0
	s_delay_alu instid0(VALU_DEP_4) | instskip(SKIP_4) | instid1(VALU_DEP_4)
	v_mad_u64_u32 v[21:22], null, 0xd2511f53, v19, 0
	v_xor3_b32 v6, v20, v6, v9
	v_xor3_b32 v9, v32, v17, v5
	v_add_nc_u32_e32 v17, 0x8ff34781, v13
	v_xor3_b32 v10, v38, v35, v36
	v_mad_u64_u32 v[19:20], null, 0xd2511f53, v6, 0
	v_xor3_b32 v12, v33, v22, v34
	v_mad_u64_u32 v[5:6], null, 0xd2511f53, v9, 0
	s_delay_alu instid0(VALU_DEP_4) | instskip(NEXT) | instid1(VALU_DEP_3)
	v_mad_u64_u32 v[22:23], null, 0xcd9e8d57, v10, 0
	v_mad_u64_u32 v[9:10], null, 0xcd9e8d57, v12, 0
	v_add_nc_u32_e32 v34, 0x96a522ad, v14
	v_and_b32_e32 v14, 3, v11
                                        ; implicit-def: $vgpr12
	s_delay_alu instid0(VALU_DEP_2) | instskip(NEXT) | instid1(VALU_DEP_4)
	v_xor3_b32 v13, v6, v19, v34
	v_xor3_b32 v6, v10, v22, v17
	s_delay_alu instid0(VALU_DEP_3)
	v_cmpx_lt_i32_e32 1, v14
	s_xor_b32 s3, exec_lo, s3
	s_cbranch_execz .LBB46_31
; %bb.26:                               ;   in Loop: Header=BB46_3 Depth=1
	s_mov_b32 s18, exec_lo
                                        ; implicit-def: $vgpr12
	v_cmpx_lt_i32_e32 2, v14
	s_xor_b32 s18, exec_lo, s18
; %bb.27:                               ;   in Loop: Header=BB46_3 Depth=1
	v_xor3_b32 v10, v32, v23, v18
                                        ; implicit-def: $vgpr13
	s_delay_alu instid0(VALU_DEP_1) | instskip(NEXT) | instid1(VALU_DEP_1)
	v_mul_hi_u32 v10, 0xd2511f53, v10
	v_xor3_b32 v12, v10, v21, v34
; %bb.28:                               ;   in Loop: Header=BB46_3 Depth=1
	s_and_not1_saveexec_b32 s18, s18
; %bb.29:                               ;   in Loop: Header=BB46_3 Depth=1
	v_dual_mov_b32 v12, v9 :: v_dual_mov_b32 v9, v6
	v_mov_b32_e32 v6, v5
	v_mov_b32_e32 v5, v13
; %bb.30:                               ;   in Loop: Header=BB46_3 Depth=1
	s_or_b32 exec_lo, exec_lo, s18
                                        ; implicit-def: $vgpr15_vgpr16
                                        ; implicit-def: $vgpr14
                                        ; implicit-def: $vgpr13
                                        ; implicit-def: $vgpr33
                                        ; implicit-def: $vgpr19_vgpr20
                                        ; implicit-def: $vgpr16_vgpr17
                                        ; implicit-def: $vgpr17
.LBB46_31:                              ;   in Loop: Header=BB46_3 Depth=1
	s_and_not1_saveexec_b32 s3, s3
	s_cbranch_execz .LBB46_35
; %bb.32:                               ;   in Loop: Header=BB46_3 Depth=1
	v_xor3_b32 v9, v33, v20, v15
	v_cmp_eq_u32_e32 vcc_lo, 1, v14
	s_delay_alu instid0(VALU_DEP_2) | instskip(SKIP_2) | instid1(VALU_DEP_3)
	v_mad_u64_u32 v[10:11], null, 0xcd9e8d57, v9, 0
	v_mov_b32_e32 v12, v5
	v_mov_b32_e32 v9, v13
	v_xor3_b32 v14, v11, v16, v17
	s_delay_alu instid0(VALU_DEP_4)
	v_mov_b32_e32 v11, v10
	s_and_saveexec_b32 s18, vcc_lo
; %bb.33:                               ;   in Loop: Header=BB46_3 Depth=1
	v_dual_mov_b32 v12, v6 :: v_dual_mov_b32 v9, v5
	v_dual_mov_b32 v11, v13 :: v_dual_mov_b32 v14, v10
; %bb.34:                               ;   in Loop: Header=BB46_3 Depth=1
	s_or_b32 exec_lo, exec_lo, s18
	s_delay_alu instid0(VALU_DEP_1)
	v_dual_mov_b32 v5, v14 :: v_dual_mov_b32 v6, v11
.LBB46_35:                              ;   in Loop: Header=BB46_3 Depth=1
	s_or_b32 exec_lo, exec_lo, s3
	v_min_i32_e32 v10, 4, v27
	s_mov_b32 s18, 0
	s_mov_b32 s39, 0
	;; [unrolled: 1-line block ×3, first 2 shown]
	s_mov_b32 s38, exec_lo
                                        ; implicit-def: $sgpr19
                                        ; implicit-def: $sgpr36
                                        ; implicit-def: $sgpr37
	v_cmpx_lt_i32_e32 2, v10
	s_xor_b32 s38, exec_lo, s38
	s_cbranch_execz .LBB46_47
; %bb.36:                               ;   in Loop: Header=BB46_3 Depth=1
	s_mov_b32 s3, -1
	s_mov_b32 s41, 0
	s_mov_b32 s36, exec_lo
                                        ; implicit-def: $sgpr19
                                        ; implicit-def: $sgpr40
	v_cmpx_lt_i32_e32 3, v10
	s_cbranch_execz .LBB46_42
; %bb.37:                               ;   in Loop: Header=BB46_3 Depth=1
	s_mov_b32 s3, 0
	s_mov_b32 s41, -1
	s_mov_b32 s37, exec_lo
                                        ; implicit-def: $sgpr19
                                        ; implicit-def: $sgpr40
	v_cmpx_eq_u32_e32 4, v10
	s_cbranch_execz .LBB46_41
; %bb.38:                               ;   in Loop: Header=BB46_3 Depth=1
	v_cmp_le_f32_e32 vcc_lo, 0, v3
	v_cmp_ge_f32_e64 s3, 1.0, v3
	s_mov_b32 s19, 0
	s_delay_alu instid0(VALU_DEP_1)
	s_and_b32 s41, vcc_lo, s3
	s_mov_b32 s3, 0
	s_and_saveexec_b32 s40, s41
	s_cbranch_execz .LBB46_40
; %bb.39:                               ;   in Loop: Header=BB46_3 Depth=1
	v_cvt_f32_u32_e32 v11, v12
	v_lshlrev_b64 v[7:8], 3, v[7:8]
	s_mov_b32 s3, exec_lo
	s_delay_alu instid0(VALU_DEP_2) | instskip(NEXT) | instid1(VALU_DEP_2)
	v_dual_mov_b32 v12, s15 :: v_dual_fmaak_f32 v11, 0x2f800000, v11, 0x2f800000
	v_add_co_u32 v7, vcc_lo, s10, v7
	s_delay_alu instid0(VALU_DEP_3) | instskip(NEXT) | instid1(VALU_DEP_3)
	v_add_co_ci_u32_e32 v8, vcc_lo, s11, v8, vcc_lo
	v_cmp_le_f32_e32 vcc_lo, v11, v3
	v_cndmask_b32_e64 v11, 0, 1, vcc_lo
	global_store_b64 v[7:8], v[11:12], off
.LBB46_40:                              ;   in Loop: Header=BB46_3 Depth=1
	s_or_b32 exec_lo, exec_lo, s40
	s_mov_b32 s40, -1
	s_xor_b32 s41, exec_lo, -1
	s_and_b32 s3, s3, exec_lo
.LBB46_41:                              ;   in Loop: Header=BB46_3 Depth=1
	s_or_b32 exec_lo, exec_lo, s37
	s_delay_alu instid0(SALU_CYCLE_1)
	s_and_b32 s41, s41, exec_lo
	s_or_not1_b32 s3, s3, exec_lo
.LBB46_42:                              ;   in Loop: Header=BB46_3 Depth=1
	s_or_b32 exec_lo, exec_lo, s36
	s_mov_b32 s37, s19
	s_and_saveexec_b32 s36, s3
	s_cbranch_execz .LBB46_46
; %bb.43:                               ;   in Loop: Header=BB46_3 Depth=1
	v_cmp_le_f32_e32 vcc_lo, 0, v31
	v_cmp_ge_f32_e64 s3, 1.0, v31
	s_delay_alu instid0(VALU_DEP_1) | instskip(SKIP_2) | instid1(SALU_CYCLE_1)
	s_and_b32 s37, vcc_lo, s3
	s_mov_b32 s3, 0
	s_and_saveexec_b32 s39, s37
	s_xor_b32 s37, exec_lo, s39
	s_cbranch_execz .LBB46_45
; %bb.44:                               ;   in Loop: Header=BB46_3 Depth=1
	v_cvt_f32_u32_e32 v7, v9
	v_cndmask_b32_e64 v3, 0, v29, s2
	s_mov_b32 s3, exec_lo
	s_delay_alu instid0(VALU_DEP_2) | instskip(NEXT) | instid1(VALU_DEP_2)
	v_dual_mov_b32 v12, s15 :: v_dual_fmaak_f32 v9, 0x2f800000, v7, 0x2f800000
	v_lshlrev_b64 v[7:8], 3, v[3:4]
	s_delay_alu instid0(VALU_DEP_2) | instskip(SKIP_1) | instid1(VALU_DEP_3)
	v_cmp_le_f32_e32 vcc_lo, v9, v31
	v_cndmask_b32_e64 v11, 0, 1, vcc_lo
	v_add_co_u32 v7, vcc_lo, s10, v7
	s_delay_alu instid0(VALU_DEP_4)
	v_add_co_ci_u32_e32 v8, vcc_lo, s11, v8, vcc_lo
	global_store_b64 v[7:8], v[11:12], off
.LBB46_45:                              ;   in Loop: Header=BB46_3 Depth=1
	s_or_b32 exec_lo, exec_lo, s37
	s_delay_alu instid0(SALU_CYCLE_1)
	s_and_not1_b32 s37, s19, exec_lo
	s_or_b32 s19, s19, exec_lo
	s_and_not1_b32 s40, s40, exec_lo
	s_and_b32 s39, s3, exec_lo
.LBB46_46:                              ;   in Loop: Header=BB46_3 Depth=1
	s_or_b32 exec_lo, exec_lo, s36
	s_delay_alu instid0(SALU_CYCLE_1)
	s_and_b32 s37, s37, exec_lo
	s_and_b32 s36, s19, exec_lo
	;; [unrolled: 1-line block ×5, first 2 shown]
.LBB46_47:                              ;   in Loop: Header=BB46_3 Depth=1
	s_and_not1_saveexec_b32 s2, s38
; %bb.48:                               ;   in Loop: Header=BB46_3 Depth=1
	v_cmp_lt_i32_e32 vcc_lo, 1, v10
	s_and_not1_b32 s38, s39, exec_lo
	s_mov_b32 s18, exec_lo
	s_and_not1_b32 s37, s37, exec_lo
	s_and_not1_b32 s36, s36, exec_lo
	s_and_b32 s39, vcc_lo, exec_lo
	s_and_not1_b32 s19, s19, exec_lo
	s_or_b32 s39, s38, s39
; %bb.49:                               ;   in Loop: Header=BB46_3 Depth=1
	s_or_b32 exec_lo, exec_lo, s2
	s_mov_b32 s38, 0
	s_mov_b32 s2, s37
	s_and_saveexec_b32 s40, s39
	s_cbranch_execnz .LBB46_52
; %bb.50:                               ;   in Loop: Header=BB46_3 Depth=1
	s_or_b32 exec_lo, exec_lo, s40
	s_and_saveexec_b32 s1, s18
	s_cbranch_execnz .LBB46_55
.LBB46_51:                              ;   in Loop: Header=BB46_3 Depth=1
	s_or_b32 exec_lo, exec_lo, s1
	s_and_saveexec_b32 s18, s38
	s_cbranch_execnz .LBB46_56
	s_branch .LBB46_59
.LBB46_52:                              ;   in Loop: Header=BB46_3 Depth=1
	v_cmp_le_f32_e32 vcc_lo, 0, v30
	v_cmp_ge_f32_e64 s2, 1.0, v30
	s_delay_alu instid0(VALU_DEP_1) | instskip(NEXT) | instid1(SALU_CYCLE_1)
	s_and_b32 s2, vcc_lo, s2
	s_and_saveexec_b32 s39, s2
	s_delay_alu instid0(SALU_CYCLE_1)
	s_xor_b32 s2, exec_lo, s39
	s_cbranch_execz .LBB46_54
; %bb.53:                               ;   in Loop: Header=BB46_3 Depth=1
	v_cvt_f32_u32_e32 v6, v6
	v_cndmask_b32_e64 v3, 0, v28, s1
	s_mov_b32 s38, exec_lo
	s_delay_alu instid0(VALU_DEP_2) | instskip(NEXT) | instid1(VALU_DEP_2)
	v_dual_mov_b32 v9, s15 :: v_dual_fmaak_f32 v8, 0x2f800000, v6, 0x2f800000
	v_lshlrev_b64 v[6:7], 3, v[3:4]
	s_delay_alu instid0(VALU_DEP_2) | instskip(SKIP_1) | instid1(VALU_DEP_3)
	v_cmp_le_f32_e32 vcc_lo, v8, v30
	v_cndmask_b32_e64 v8, 0, 1, vcc_lo
	v_add_co_u32 v6, vcc_lo, s10, v6
	s_delay_alu instid0(VALU_DEP_4)
	v_add_co_ci_u32_e32 v7, vcc_lo, s11, v7, vcc_lo
	global_store_b64 v[6:7], v[8:9], off
.LBB46_54:                              ;   in Loop: Header=BB46_3 Depth=1
	s_or_b32 exec_lo, exec_lo, s2
	s_delay_alu instid0(SALU_CYCLE_1)
	s_and_not1_b32 s2, s37, exec_lo
	s_or_b32 s37, s37, exec_lo
	s_and_not1_b32 s36, s36, exec_lo
	s_and_not1_b32 s19, s19, exec_lo
	s_and_b32 s38, s38, exec_lo
	s_and_not1_b32 s18, s18, exec_lo
	s_or_b32 exec_lo, exec_lo, s40
	s_and_saveexec_b32 s1, s18
	s_cbranch_execz .LBB46_51
.LBB46_55:                              ;   in Loop: Header=BB46_3 Depth=1
	v_cmp_eq_u32_e32 vcc_lo, 1, v10
	s_and_not1_b32 s18, s38, exec_lo
	s_and_not1_b32 s2, s2, exec_lo
	;; [unrolled: 1-line block ×4, first 2 shown]
	s_and_b32 s38, vcc_lo, exec_lo
	s_and_not1_b32 s19, s19, exec_lo
	s_or_b32 s3, s3, exec_lo
	s_or_b32 s38, s18, s38
	s_or_b32 exec_lo, exec_lo, s1
	s_and_saveexec_b32 s18, s38
	s_cbranch_execz .LBB46_59
.LBB46_56:                              ;   in Loop: Header=BB46_3 Depth=1
	v_cmp_le_f32_e32 vcc_lo, 0, v0
	v_cmp_ge_f32_e64 s1, 1.0, v0
	s_delay_alu instid0(VALU_DEP_1)
	s_and_b32 s39, vcc_lo, s1
	s_mov_b32 s1, 0
	s_and_saveexec_b32 s38, s39
	s_cbranch_execz .LBB46_58
; %bb.57:                               ;   in Loop: Header=BB46_3 Depth=1
	v_cvt_f32_u32_e32 v5, v5
	v_cndmask_b32_e64 v3, 0, v26, s0
	s_mov_b32 s1, exec_lo
	s_delay_alu instid0(VALU_DEP_2) | instskip(NEXT) | instid1(VALU_DEP_2)
	v_dual_mov_b32 v8, s15 :: v_dual_fmaak_f32 v7, 0x2f800000, v5, 0x2f800000
	v_lshlrev_b64 v[5:6], 3, v[3:4]
	s_delay_alu instid0(VALU_DEP_2) | instskip(SKIP_1) | instid1(VALU_DEP_3)
	v_cmp_le_f32_e32 vcc_lo, v7, v0
	v_cndmask_b32_e64 v7, 0, 1, vcc_lo
	v_add_co_u32 v5, vcc_lo, s10, v5
	s_delay_alu instid0(VALU_DEP_4)
	v_add_co_ci_u32_e32 v6, vcc_lo, s11, v6, vcc_lo
	global_store_b64 v[5:6], v[7:8], off
.LBB46_58:                              ;   in Loop: Header=BB46_3 Depth=1
	s_or_b32 exec_lo, exec_lo, s38
	s_delay_alu instid0(SALU_CYCLE_1)
	s_and_not1_b32 s0, s3, exec_lo
	s_and_b32 s1, s1, exec_lo
	s_or_b32 s2, s2, exec_lo
	s_and_not1_b32 s37, s37, exec_lo
	s_and_not1_b32 s36, s36, exec_lo
	;; [unrolled: 1-line block ×3, first 2 shown]
	s_or_b32 s3, s0, s1
.LBB46_59:                              ;   in Loop: Header=BB46_3 Depth=1
	s_or_b32 exec_lo, exec_lo, s18
	s_delay_alu instid0(SALU_CYCLE_1)
	s_and_not1_b32 s1, s35, exec_lo
	s_and_b32 s2, s2, exec_lo
	s_and_not1_b32 s18, s33, exec_lo
	s_and_b32 s33, s37, exec_lo
	s_or_b32 s35, s1, s2
	s_or_b32 s33, s18, s33
	s_and_not1_b32 s1, s34, exec_lo
	s_and_b32 s2, s36, exec_lo
	s_and_not1_b32 s18, s31, exec_lo
	s_and_b32 s19, s19, exec_lo
	s_mov_b32 s0, -1
	s_or_b32 s34, s1, s2
	s_or_b32 s31, s18, s19
	s_and_saveexec_b32 s1, s3
	s_cbranch_execz .LBB46_2
; %bb.60:                               ;   in Loop: Header=BB46_3 Depth=1
	v_add_nc_u32_e32 v24, s25, v24
	s_and_not1_b32 s35, s35, exec_lo
	s_and_not1_b32 s33, s33, exec_lo
	;; [unrolled: 1-line block ×4, first 2 shown]
	v_cmp_le_u32_e32 vcc_lo, s20, v24
	s_or_not1_b32 s0, vcc_lo, exec_lo
	s_branch .LBB46_2
.LBB46_61:
	s_or_b32 exec_lo, exec_lo, s27
	s_xor_b32 s3, s29, -1
	s_xor_b32 s4, s30, -1
	;; [unrolled: 1-line block ×3, first 2 shown]
	s_mov_b32 s1, 0
	s_and_saveexec_b32 s2, s0
	s_delay_alu instid0(SALU_CYCLE_1)
	s_xor_b32 s0, exec_lo, s2
	s_cbranch_execz .LBB46_70
; %bb.62:
	s_mov_b32 s2, 0
	s_and_saveexec_b32 s1, s4
	s_delay_alu instid0(SALU_CYCLE_1)
	s_xor_b32 s1, exec_lo, s1
	s_cbranch_execz .LBB46_68
; %bb.63:
	s_and_saveexec_b32 s4, s3
	s_delay_alu instid0(SALU_CYCLE_1)
	s_xor_b32 s3, exec_lo, s4
	s_cbranch_execz .LBB46_66
; %bb.64:
	s_and_saveexec_b32 s4, s14
	s_delay_alu instid0(SALU_CYCLE_1)
	s_xor_b32 s4, exec_lo, s4
	s_cbranch_execnz .LBB46_84
.LBB46_65:
	s_or_b32 exec_lo, exec_lo, s4
	s_delay_alu instid0(SALU_CYCLE_1)
	s_and_b32 s2, s2, exec_lo
.LBB46_66:
	s_and_not1_saveexec_b32 s3, s3
	s_cbranch_execnz .LBB46_80
.LBB46_67:
	s_or_b32 exec_lo, exec_lo, s3
	s_delay_alu instid0(SALU_CYCLE_1)
	s_and_b32 s2, s2, exec_lo
.LBB46_68:
	s_and_not1_saveexec_b32 s1, s1
	s_cbranch_execnz .LBB46_76
.LBB46_69:
	s_or_b32 exec_lo, exec_lo, s1
	s_delay_alu instid0(SALU_CYCLE_1)
	s_and_b32 s1, s2, exec_lo
.LBB46_70:
	s_and_not1_saveexec_b32 s0, s0
	s_cbranch_execnz .LBB46_74
; %bb.71:
	s_or_b32 exec_lo, exec_lo, s0
	s_delay_alu instid0(SALU_CYCLE_1)
	s_and_b32 exec_lo, exec_lo, s1
.LBB46_72:
	; divergent unreachable
.LBB46_73:
	s_nop 0
	s_sendmsg sendmsg(MSG_DEALLOC_VGPRS)
	s_endpgm
.LBB46_74:
	s_cbranch_execnz .LBB46_78
; %bb.75:
	s_or_b32 s1, s1, exec_lo
	s_or_b32 exec_lo, exec_lo, s0
	s_delay_alu instid0(SALU_CYCLE_1)
	s_and_b32 exec_lo, exec_lo, s1
	s_cbranch_execnz .LBB46_72
	s_branch .LBB46_73
.LBB46_76:
	s_cbranch_execnz .LBB46_82
; %bb.77:
	s_or_b32 s2, s2, exec_lo
	s_branch .LBB46_69
.LBB46_78:
	s_trap 2
	s_sendmsg_rtn_b32 s0, sendmsg(MSG_RTN_GET_DOORBELL)
	s_mov_b32 ttmp2, m0
	s_waitcnt lgkmcnt(0)
	s_and_b32 s0, s0, 0x3ff
	s_delay_alu instid0(SALU_CYCLE_1) | instskip(NEXT) | instid1(SALU_CYCLE_1)
	s_bitset1_b32 s0, 10
	s_mov_b32 m0, s0
	s_sendmsg sendmsg(MSG_INTERRUPT)
	s_mov_b32 m0, ttmp2
.LBB46_79:                              ; =>This Inner Loop Header: Depth=1
	s_sethalt 5
	s_branch .LBB46_79
.LBB46_80:
	s_cbranch_execnz .LBB46_86
; %bb.81:
	s_or_b32 s2, s2, exec_lo
	s_branch .LBB46_67
.LBB46_82:
	s_trap 2
	s_sendmsg_rtn_b32 s0, sendmsg(MSG_RTN_GET_DOORBELL)
	s_mov_b32 ttmp2, m0
	s_waitcnt lgkmcnt(0)
	s_and_b32 s0, s0, 0x3ff
	s_delay_alu instid0(SALU_CYCLE_1) | instskip(NEXT) | instid1(SALU_CYCLE_1)
	s_bitset1_b32 s0, 10
	s_mov_b32 m0, s0
	s_sendmsg sendmsg(MSG_INTERRUPT)
	s_mov_b32 m0, ttmp2
.LBB46_83:                              ; =>This Inner Loop Header: Depth=1
	s_sethalt 5
	s_branch .LBB46_83
.LBB46_84:
	s_cbranch_execnz .LBB46_88
; %bb.85:
	s_mov_b32 s2, exec_lo
	s_branch .LBB46_65
.LBB46_86:
	s_trap 2
	s_sendmsg_rtn_b32 s0, sendmsg(MSG_RTN_GET_DOORBELL)
	s_mov_b32 ttmp2, m0
	s_waitcnt lgkmcnt(0)
	s_and_b32 s0, s0, 0x3ff
	s_delay_alu instid0(SALU_CYCLE_1) | instskip(NEXT) | instid1(SALU_CYCLE_1)
	s_bitset1_b32 s0, 10
	s_mov_b32 m0, s0
	s_sendmsg sendmsg(MSG_INTERRUPT)
	s_mov_b32 m0, ttmp2
.LBB46_87:                              ; =>This Inner Loop Header: Depth=1
	s_sethalt 5
	s_branch .LBB46_87
.LBB46_88:
	s_trap 2
	s_sendmsg_rtn_b32 s0, sendmsg(MSG_RTN_GET_DOORBELL)
	s_mov_b32 ttmp2, m0
	s_waitcnt lgkmcnt(0)
	s_and_b32 s0, s0, 0x3ff
	s_delay_alu instid0(SALU_CYCLE_1) | instskip(NEXT) | instid1(SALU_CYCLE_1)
	s_bitset1_b32 s0, 10
	s_mov_b32 m0, s0
	s_sendmsg sendmsg(MSG_INTERRUPT)
	s_mov_b32 m0, ttmp2
.LBB46_89:                              ; =>This Inner Loop Header: Depth=1
	s_sethalt 5
	s_branch .LBB46_89
	.section	.rodata,"a",@progbits
	.p2align	6, 0x0
	.amdhsa_kernel _ZN2at4cuda12_GLOBAL__N_121kernelPointwiseApply2IZNS_6native9templates4cuda28bernoulli_tensor_cuda_kernelIlfEEvRKNS_10TensorBaseES9_NS_15PhiloxCudaStateEEUliRlSB_SB_SB_RKfSD_SD_SD_E_lSC_jLi1ELin1ELi4ELi512ELi2EEEvNS0_6detail10TensorInfoIT0_T2_EENSG_IT1_SI_EESI_T_
		.amdhsa_group_segment_fixed_size 0
		.amdhsa_private_segment_fixed_size 0
		.amdhsa_kernarg_size 728
		.amdhsa_user_sgpr_count 15
		.amdhsa_user_sgpr_dispatch_ptr 0
		.amdhsa_user_sgpr_queue_ptr 0
		.amdhsa_user_sgpr_kernarg_segment_ptr 1
		.amdhsa_user_sgpr_dispatch_id 0
		.amdhsa_user_sgpr_private_segment_size 0
		.amdhsa_wavefront_size32 1
		.amdhsa_uses_dynamic_stack 0
		.amdhsa_enable_private_segment 0
		.amdhsa_system_sgpr_workgroup_id_x 1
		.amdhsa_system_sgpr_workgroup_id_y 0
		.amdhsa_system_sgpr_workgroup_id_z 0
		.amdhsa_system_sgpr_workgroup_info 0
		.amdhsa_system_vgpr_workitem_id 0
		.amdhsa_next_free_vgpr 39
		.amdhsa_next_free_sgpr 42
		.amdhsa_reserve_vcc 1
		.amdhsa_float_round_mode_32 0
		.amdhsa_float_round_mode_16_64 0
		.amdhsa_float_denorm_mode_32 3
		.amdhsa_float_denorm_mode_16_64 3
		.amdhsa_dx10_clamp 1
		.amdhsa_ieee_mode 1
		.amdhsa_fp16_overflow 0
		.amdhsa_workgroup_processor_mode 1
		.amdhsa_memory_ordered 1
		.amdhsa_forward_progress 0
		.amdhsa_shared_vgpr_count 0
		.amdhsa_exception_fp_ieee_invalid_op 0
		.amdhsa_exception_fp_denorm_src 0
		.amdhsa_exception_fp_ieee_div_zero 0
		.amdhsa_exception_fp_ieee_overflow 0
		.amdhsa_exception_fp_ieee_underflow 0
		.amdhsa_exception_fp_ieee_inexact 0
		.amdhsa_exception_int_div_zero 0
	.end_amdhsa_kernel
	.section	.text._ZN2at4cuda12_GLOBAL__N_121kernelPointwiseApply2IZNS_6native9templates4cuda28bernoulli_tensor_cuda_kernelIlfEEvRKNS_10TensorBaseES9_NS_15PhiloxCudaStateEEUliRlSB_SB_SB_RKfSD_SD_SD_E_lSC_jLi1ELin1ELi4ELi512ELi2EEEvNS0_6detail10TensorInfoIT0_T2_EENSG_IT1_SI_EESI_T_,"axG",@progbits,_ZN2at4cuda12_GLOBAL__N_121kernelPointwiseApply2IZNS_6native9templates4cuda28bernoulli_tensor_cuda_kernelIlfEEvRKNS_10TensorBaseES9_NS_15PhiloxCudaStateEEUliRlSB_SB_SB_RKfSD_SD_SD_E_lSC_jLi1ELin1ELi4ELi512ELi2EEEvNS0_6detail10TensorInfoIT0_T2_EENSG_IT1_SI_EESI_T_,comdat
.Lfunc_end46:
	.size	_ZN2at4cuda12_GLOBAL__N_121kernelPointwiseApply2IZNS_6native9templates4cuda28bernoulli_tensor_cuda_kernelIlfEEvRKNS_10TensorBaseES9_NS_15PhiloxCudaStateEEUliRlSB_SB_SB_RKfSD_SD_SD_E_lSC_jLi1ELin1ELi4ELi512ELi2EEEvNS0_6detail10TensorInfoIT0_T2_EENSG_IT1_SI_EESI_T_, .Lfunc_end46-_ZN2at4cuda12_GLOBAL__N_121kernelPointwiseApply2IZNS_6native9templates4cuda28bernoulli_tensor_cuda_kernelIlfEEvRKNS_10TensorBaseES9_NS_15PhiloxCudaStateEEUliRlSB_SB_SB_RKfSD_SD_SD_E_lSC_jLi1ELin1ELi4ELi512ELi2EEEvNS0_6detail10TensorInfoIT0_T2_EENSG_IT1_SI_EESI_T_
                                        ; -- End function
	.section	.AMDGPU.csdata,"",@progbits
; Kernel info:
; codeLenInByte = 4292
; NumSgprs: 44
; NumVgprs: 39
; ScratchSize: 0
; MemoryBound: 0
; FloatMode: 240
; IeeeMode: 1
; LDSByteSize: 0 bytes/workgroup (compile time only)
; SGPRBlocks: 5
; VGPRBlocks: 4
; NumSGPRsForWavesPerEU: 44
; NumVGPRsForWavesPerEU: 39
; Occupancy: 16
; WaveLimiterHint : 1
; COMPUTE_PGM_RSRC2:SCRATCH_EN: 0
; COMPUTE_PGM_RSRC2:USER_SGPR: 15
; COMPUTE_PGM_RSRC2:TRAP_HANDLER: 0
; COMPUTE_PGM_RSRC2:TGID_X_EN: 1
; COMPUTE_PGM_RSRC2:TGID_Y_EN: 0
; COMPUTE_PGM_RSRC2:TGID_Z_EN: 0
; COMPUTE_PGM_RSRC2:TIDIG_COMP_CNT: 0
	.section	.text._ZN2at4cuda12_GLOBAL__N_121kernelPointwiseApply2IZNS_6native9templates4cuda28bernoulli_tensor_cuda_kernelIlfEEvRKNS_10TensorBaseES9_NS_15PhiloxCudaStateEEUliRlSB_SB_SB_RKfSD_SD_SD_E_lSC_jLi2ELi1ELi4ELi512ELi2EEEvNS0_6detail10TensorInfoIT0_T2_EENSG_IT1_SI_EESI_T_,"axG",@progbits,_ZN2at4cuda12_GLOBAL__N_121kernelPointwiseApply2IZNS_6native9templates4cuda28bernoulli_tensor_cuda_kernelIlfEEvRKNS_10TensorBaseES9_NS_15PhiloxCudaStateEEUliRlSB_SB_SB_RKfSD_SD_SD_E_lSC_jLi2ELi1ELi4ELi512ELi2EEEvNS0_6detail10TensorInfoIT0_T2_EENSG_IT1_SI_EESI_T_,comdat
	.globl	_ZN2at4cuda12_GLOBAL__N_121kernelPointwiseApply2IZNS_6native9templates4cuda28bernoulli_tensor_cuda_kernelIlfEEvRKNS_10TensorBaseES9_NS_15PhiloxCudaStateEEUliRlSB_SB_SB_RKfSD_SD_SD_E_lSC_jLi2ELi1ELi4ELi512ELi2EEEvNS0_6detail10TensorInfoIT0_T2_EENSG_IT1_SI_EESI_T_ ; -- Begin function _ZN2at4cuda12_GLOBAL__N_121kernelPointwiseApply2IZNS_6native9templates4cuda28bernoulli_tensor_cuda_kernelIlfEEvRKNS_10TensorBaseES9_NS_15PhiloxCudaStateEEUliRlSB_SB_SB_RKfSD_SD_SD_E_lSC_jLi2ELi1ELi4ELi512ELi2EEEvNS0_6detail10TensorInfoIT0_T2_EENSG_IT1_SI_EESI_T_
	.p2align	8
	.type	_ZN2at4cuda12_GLOBAL__N_121kernelPointwiseApply2IZNS_6native9templates4cuda28bernoulli_tensor_cuda_kernelIlfEEvRKNS_10TensorBaseES9_NS_15PhiloxCudaStateEEUliRlSB_SB_SB_RKfSD_SD_SD_E_lSC_jLi2ELi1ELi4ELi512ELi2EEEvNS0_6detail10TensorInfoIT0_T2_EENSG_IT1_SI_EESI_T_,@function
_ZN2at4cuda12_GLOBAL__N_121kernelPointwiseApply2IZNS_6native9templates4cuda28bernoulli_tensor_cuda_kernelIlfEEvRKNS_10TensorBaseES9_NS_15PhiloxCudaStateEEUliRlSB_SB_SB_RKfSD_SD_SD_E_lSC_jLi2ELi1ELi4ELi512ELi2EEEvNS0_6detail10TensorInfoIT0_T2_EENSG_IT1_SI_EESI_T_: ; @_ZN2at4cuda12_GLOBAL__N_121kernelPointwiseApply2IZNS_6native9templates4cuda28bernoulli_tensor_cuda_kernelIlfEEvRKNS_10TensorBaseES9_NS_15PhiloxCudaStateEEUliRlSB_SB_SB_RKfSD_SD_SD_E_lSC_jLi2ELi1ELi4ELi512ELi2EEEvNS0_6detail10TensorInfoIT0_T2_EENSG_IT1_SI_EESI_T_
; %bb.0:
	s_clause 0x1
	s_load_b32 s4, s[0:1], 0x1e4
	s_load_b32 s16, s[0:1], 0x1b0
	s_add_u32 s2, s0, 0x1d8
	s_addc_u32 s3, s1, 0
	s_waitcnt lgkmcnt(0)
	s_and_b32 s21, s4, 0xffff
	s_mov_b32 s4, exec_lo
	v_mad_u64_u32 v[1:2], null, s15, s21, v[0:1]
	s_delay_alu instid0(VALU_DEP_1) | instskip(NEXT) | instid1(VALU_DEP_1)
	v_lshlrev_b32_e32 v0, 2, v1
	v_cmpx_gt_u32_e64 s16, v0
	s_cbranch_execz .LBB47_59
; %bb.1:
	s_clause 0x4
	s_load_b32 s17, s[0:1], 0xc
	s_load_b64 s[8:9], s[0:1], 0x6c
	s_load_b64 s[10:11], s[0:1], 0xd8
	s_load_b32 s4, s[0:1], 0x1d0
	s_load_b32 s23, s[0:1], 0x144
	s_load_b32 s2, s[2:3], 0x0
	s_clause 0x1
	s_load_b64 s[12:13], s[0:1], 0x0
	s_load_b64 s[14:15], s[0:1], 0x1c8
	v_add_nc_u32_e32 v8, 3, v0
	v_sub_nc_u32_e32 v31, s16, v0
	s_mov_b32 s20, 0
	s_mov_b32 s24, 0
	;; [unrolled: 1-line block ×3, first 2 shown]
                                        ; implicit-def: $sgpr25
                                        ; implicit-def: $sgpr28
                                        ; implicit-def: $sgpr27
                                        ; implicit-def: $sgpr29
                                        ; implicit-def: $sgpr31
                                        ; implicit-def: $sgpr30
                                        ; implicit-def: $sgpr33
	v_add_nc_u32_e32 v7, 2, v0
	s_waitcnt lgkmcnt(0)
	v_cvt_f32_u32_e32 v2, s17
	s_bitcmp1_b32 s4, 0
	s_load_b128 s[4:7], s[0:1], 0x1b8
	s_delay_alu instid0(VALU_DEP_1)
	v_rcp_iflag_f32_e32 v2, v2
	s_cselect_b32 s18, -1, 0
	s_sub_i32 s19, 0, s17
	v_mul_lo_u32 v30, v0, s23
	v_mul_lo_u32 v34, s23, v8
	s_mul_i32 s2, s2, s21
	v_mov_b32_e32 v4, 0
	s_lshl_b32 s22, s2, 2
                                        ; implicit-def: $sgpr21
	v_mul_lo_u32 v33, s23, v7
	s_waitcnt_depctr 0xfff
	v_mul_f32_e32 v2, 0x4f7ffffe, v2
	v_add_nc_u32_e32 v35, s23, v30
	s_mul_i32 s23, s22, s23
	s_delay_alu instid0(VALU_DEP_2) | instskip(SKIP_1) | instid1(VALU_DEP_2)
	v_cvt_u32_f32_e32 v5, v2
	v_mad_u64_u32 v[2:3], null, 0xcd9e8d57, v1, 0
	v_mul_lo_u32 v6, s19, v5
	s_delay_alu instid0(VALU_DEP_2) | instskip(NEXT) | instid1(VALU_DEP_2)
	v_mov_b32_e32 v32, v3
	v_mul_hi_u32 v6, v5, v6
	s_delay_alu instid0(VALU_DEP_1)
	v_add_nc_u32_e32 v36, v5, v6
	s_branch .LBB47_3
.LBB47_2:                               ;   in Loop: Header=BB47_3 Depth=1
	s_or_b32 exec_lo, exec_lo, s1
	s_delay_alu instid0(SALU_CYCLE_1) | instskip(NEXT) | instid1(SALU_CYCLE_1)
	s_and_b32 s0, exec_lo, s0
	s_or_b32 s24, s0, s24
	s_and_not1_b32 s0, s21, exec_lo
	s_and_b32 s1, s33, exec_lo
	s_and_not1_b32 s2, s27, exec_lo
	s_and_b32 s3, s30, exec_lo
	s_or_b32 s21, s0, s1
	s_or_b32 s27, s2, s3
	s_and_not1_b32 s0, s28, exec_lo
	s_and_b32 s1, s31, exec_lo
	s_and_not1_b32 s2, s25, exec_lo
	s_and_b32 s3, s29, exec_lo
	s_or_b32 s28, s0, s1
	s_or_b32 s25, s2, s3
	s_and_not1_b32 exec_lo, exec_lo, s24
	s_cbranch_execz .LBB47_47
.LBB47_3:                               ; =>This Inner Loop Header: Depth=1
	v_mov_b32_e32 v7, 0
	v_mov_b32_e32 v8, 0
	v_cmp_lt_i32_e32 vcc_lo, 0, v31
	s_delay_alu instid0(VALU_DEP_2)
	v_dual_mov_b32 v5, v7 :: v_dual_mov_b32 v6, v8
	s_and_saveexec_b32 s1, vcc_lo
	s_cbranch_execz .LBB47_5
; %bb.4:                                ;   in Loop: Header=BB47_3 Depth=1
	v_mul_hi_u32 v3, v36, v0
	s_delay_alu instid0(VALU_DEP_1) | instskip(SKIP_2) | instid1(VALU_DEP_3)
	v_not_b32_e32 v11, v3
	v_mad_u64_u32 v[5:6], null, s19, v3, v[0:1]
	v_add_nc_u32_e32 v6, 1, v3
	v_mad_u64_u32 v[9:10], null, s17, v11, v[0:1]
	s_delay_alu instid0(VALU_DEP_3) | instskip(NEXT) | instid1(VALU_DEP_1)
	v_cmp_le_u32_e64 s0, s17, v5
	v_cndmask_b32_e64 v3, v3, v6, s0
	s_delay_alu instid0(VALU_DEP_3) | instskip(NEXT) | instid1(VALU_DEP_2)
	v_cndmask_b32_e64 v5, v5, v9, s0
	v_add_nc_u32_e32 v6, 1, v3
	s_delay_alu instid0(VALU_DEP_2) | instskip(NEXT) | instid1(VALU_DEP_1)
	v_cmp_le_u32_e64 s0, s17, v5
	v_cndmask_b32_e64 v9, v3, v6, s0
	s_delay_alu instid0(VALU_DEP_1) | instskip(NEXT) | instid1(VALU_DEP_1)
	v_mad_u64_u32 v[5:6], null, s19, v9, v[0:1]
	v_mul_lo_u32 v3, v5, s9
	s_delay_alu instid0(VALU_DEP_1)
	v_mad_u64_u32 v[5:6], null, v9, s8, v[3:4]
	v_mov_b32_e32 v6, v4
.LBB47_5:                               ;   in Loop: Header=BB47_3 Depth=1
	s_or_b32 exec_lo, exec_lo, s1
	v_cmp_lt_i32_e64 s0, 1, v31
	s_delay_alu instid0(VALU_DEP_1)
	s_and_saveexec_b32 s2, s0
	s_cbranch_execz .LBB47_7
; %bb.6:                                ;   in Loop: Header=BB47_3 Depth=1
	v_add_nc_u32_e32 v3, 1, v0
	s_delay_alu instid0(VALU_DEP_1) | instskip(NEXT) | instid1(VALU_DEP_1)
	v_mul_hi_u32 v7, v3, v36
	v_mul_lo_u32 v8, v7, s17
	v_add_nc_u32_e32 v9, 1, v7
	s_delay_alu instid0(VALU_DEP_2) | instskip(NEXT) | instid1(VALU_DEP_1)
	v_sub_nc_u32_e32 v8, v3, v8
	v_subrev_nc_u32_e32 v10, s17, v8
	v_cmp_le_u32_e64 s1, s17, v8
	s_delay_alu instid0(VALU_DEP_1) | instskip(NEXT) | instid1(VALU_DEP_3)
	v_cndmask_b32_e64 v7, v7, v9, s1
	v_cndmask_b32_e64 v8, v8, v10, s1
	s_delay_alu instid0(VALU_DEP_2) | instskip(NEXT) | instid1(VALU_DEP_2)
	v_add_nc_u32_e32 v9, 1, v7
	v_cmp_le_u32_e64 s1, s17, v8
	s_delay_alu instid0(VALU_DEP_1) | instskip(NEXT) | instid1(VALU_DEP_1)
	v_cndmask_b32_e64 v9, v7, v9, s1
	v_mul_lo_u32 v7, v9, s17
	s_delay_alu instid0(VALU_DEP_1) | instskip(NEXT) | instid1(VALU_DEP_1)
	v_sub_nc_u32_e32 v3, v3, v7
	v_mul_lo_u32 v3, v3, s9
	s_delay_alu instid0(VALU_DEP_1)
	v_mad_u64_u32 v[7:8], null, v9, s8, v[3:4]
	v_mov_b32_e32 v8, v4
.LBB47_7:                               ;   in Loop: Header=BB47_3 Depth=1
	s_or_b32 exec_lo, exec_lo, s2
	v_mov_b32_e32 v11, 0
	v_mov_b32_e32 v12, 0
	v_cmp_lt_i32_e64 s1, 2, v31
	s_delay_alu instid0(VALU_DEP_2) | instskip(NEXT) | instid1(VALU_DEP_2)
	v_dual_mov_b32 v9, v11 :: v_dual_mov_b32 v10, v12
	s_and_saveexec_b32 s3, s1
	s_cbranch_execz .LBB47_9
; %bb.8:                                ;   in Loop: Header=BB47_3 Depth=1
	v_add_nc_u32_e32 v3, 2, v0
	s_delay_alu instid0(VALU_DEP_1) | instskip(NEXT) | instid1(VALU_DEP_1)
	v_mul_hi_u32 v9, v3, v36
	v_mul_lo_u32 v10, v9, s17
	v_add_nc_u32_e32 v13, 1, v9
	s_delay_alu instid0(VALU_DEP_2) | instskip(NEXT) | instid1(VALU_DEP_1)
	v_sub_nc_u32_e32 v10, v3, v10
	v_subrev_nc_u32_e32 v14, s17, v10
	v_cmp_le_u32_e64 s2, s17, v10
	s_delay_alu instid0(VALU_DEP_1) | instskip(NEXT) | instid1(VALU_DEP_3)
	v_cndmask_b32_e64 v9, v9, v13, s2
	v_cndmask_b32_e64 v10, v10, v14, s2
	s_delay_alu instid0(VALU_DEP_2) | instskip(NEXT) | instid1(VALU_DEP_2)
	v_add_nc_u32_e32 v13, 1, v9
	v_cmp_le_u32_e64 s2, s17, v10
	s_delay_alu instid0(VALU_DEP_1) | instskip(NEXT) | instid1(VALU_DEP_1)
	v_cndmask_b32_e64 v13, v9, v13, s2
	v_mul_lo_u32 v9, v13, s17
	s_delay_alu instid0(VALU_DEP_1) | instskip(NEXT) | instid1(VALU_DEP_1)
	v_sub_nc_u32_e32 v3, v3, v9
	v_mul_lo_u32 v3, v3, s9
	s_delay_alu instid0(VALU_DEP_1)
	v_mad_u64_u32 v[9:10], null, v13, s8, v[3:4]
	v_mov_b32_e32 v10, v4
.LBB47_9:                               ;   in Loop: Header=BB47_3 Depth=1
	s_or_b32 exec_lo, exec_lo, s3
	v_cmp_lt_i32_e64 s2, 3, v31
	s_delay_alu instid0(VALU_DEP_1)
	s_and_saveexec_b32 s34, s2
	s_cbranch_execz .LBB47_11
; %bb.10:                               ;   in Loop: Header=BB47_3 Depth=1
	v_add_nc_u32_e32 v3, 3, v0
	s_delay_alu instid0(VALU_DEP_1) | instskip(NEXT) | instid1(VALU_DEP_1)
	v_mul_hi_u32 v11, v3, v36
	v_mul_lo_u32 v12, v11, s17
	v_add_nc_u32_e32 v13, 1, v11
	s_delay_alu instid0(VALU_DEP_2) | instskip(NEXT) | instid1(VALU_DEP_1)
	v_sub_nc_u32_e32 v12, v3, v12
	v_subrev_nc_u32_e32 v14, s17, v12
	v_cmp_le_u32_e64 s3, s17, v12
	s_delay_alu instid0(VALU_DEP_1) | instskip(NEXT) | instid1(VALU_DEP_3)
	v_cndmask_b32_e64 v11, v11, v13, s3
	v_cndmask_b32_e64 v12, v12, v14, s3
	s_delay_alu instid0(VALU_DEP_2) | instskip(NEXT) | instid1(VALU_DEP_2)
	v_add_nc_u32_e32 v13, 1, v11
	v_cmp_le_u32_e64 s3, s17, v12
	s_delay_alu instid0(VALU_DEP_1) | instskip(NEXT) | instid1(VALU_DEP_1)
	v_cndmask_b32_e64 v13, v11, v13, s3
	v_mul_lo_u32 v11, v13, s17
	s_delay_alu instid0(VALU_DEP_1) | instskip(NEXT) | instid1(VALU_DEP_1)
	v_sub_nc_u32_e32 v3, v3, v11
	v_mul_lo_u32 v3, v3, s9
	s_delay_alu instid0(VALU_DEP_1)
	v_mad_u64_u32 v[11:12], null, v13, s8, v[3:4]
	v_mov_b32_e32 v12, v4
.LBB47_11:                              ;   in Loop: Header=BB47_3 Depth=1
	s_or_b32 exec_lo, exec_lo, s34
	v_add_nc_u32_e32 v3, s26, v30
	v_add_nc_u32_e32 v15, s26, v35
	v_add_nc_u32_e32 v17, s26, v33
	v_add_nc_u32_e32 v19, s26, v34
	s_delay_alu instid0(VALU_DEP_4) | instskip(NEXT) | instid1(VALU_DEP_1)
	v_cndmask_b32_e32 v3, 0, v3, vcc_lo
	v_lshlrev_b64 v[13:14], 2, v[3:4]
	v_cndmask_b32_e64 v3, 0, v15, s0
	s_delay_alu instid0(VALU_DEP_1) | instskip(SKIP_1) | instid1(VALU_DEP_4)
	v_lshlrev_b64 v[15:16], 2, v[3:4]
	v_cndmask_b32_e64 v3, 0, v17, s1
	v_add_co_u32 v13, vcc_lo, s10, v13
	v_add_co_ci_u32_e32 v14, vcc_lo, s11, v14, vcc_lo
	s_delay_alu instid0(VALU_DEP_3) | instskip(SKIP_3) | instid1(VALU_DEP_3)
	v_lshlrev_b64 v[17:18], 2, v[3:4]
	v_cndmask_b32_e64 v3, 0, v19, s2
	v_add_co_u32 v15, vcc_lo, s10, v15
	v_add_co_ci_u32_e32 v16, vcc_lo, s11, v16, vcc_lo
	v_lshlrev_b64 v[19:20], 2, v[3:4]
	v_add_co_u32 v17, vcc_lo, s10, v17
	v_add_co_ci_u32_e32 v18, vcc_lo, s11, v18, vcc_lo
	s_delay_alu instid0(VALU_DEP_3) | instskip(NEXT) | instid1(VALU_DEP_4)
	v_add_co_u32 v19, vcc_lo, s10, v19
	v_add_co_ci_u32_e32 v20, vcc_lo, s11, v20, vcc_lo
	s_clause 0x3
	global_load_b32 v3, v[13:14], off
	global_load_b32 v37, v[15:16], off
	global_load_b32 v38, v[17:18], off
	global_load_b32 v39, v[19:20], off
	s_waitcnt lgkmcnt(0)
	v_mov_b32_e32 v20, s5
	v_dual_mov_b32 v18, s7 :: v_dual_mov_b32 v17, s6
	v_mov_b32_e32 v19, s4
	s_and_not1_b32 vcc_lo, exec_lo, s18
	s_cbranch_vccnz .LBB47_13
; %bb.12:                               ;   in Loop: Header=BB47_3 Depth=1
	v_dual_mov_b32 v14, s7 :: v_dual_mov_b32 v13, s6
	v_dual_mov_b32 v16, s5 :: v_dual_mov_b32 v15, s4
	flat_load_b64 v[13:14], v[13:14]
	flat_load_b64 v[19:20], v[15:16]
	s_waitcnt vmcnt(1) lgkmcnt(1)
	v_add_co_u32 v17, vcc_lo, v13, s14
	v_add_co_ci_u32_e32 v18, vcc_lo, s15, v14, vcc_lo
.LBB47_13:                              ;   in Loop: Header=BB47_3 Depth=1
	s_delay_alu instid0(VALU_DEP_1)
	v_alignbit_b32 v16, v18, v17, 2
	v_lshrrev_b32_e32 v15, 2, v18
	s_waitcnt vmcnt(0) lgkmcnt(0)
	v_add_nc_u32_e32 v41, 0xbb67ae85, v20
	v_add_nc_u32_e32 v42, 0x76cf5d0a, v20
	;; [unrolled: 1-line block ×3, first 2 shown]
	v_add_co_u32 v18, vcc_lo, v16, 1
	s_delay_alu instid0(VALU_DEP_1) | instskip(SKIP_4) | instid1(VALU_DEP_4)
	v_cndmask_b32_e64 v13, 0, 1, vcc_lo
	v_add_co_ci_u32_e32 v27, vcc_lo, 0, v15, vcc_lo
	v_xor3_b32 v23, v32, v19, v15
	v_add_nc_u32_e32 v44, 0x32370b8f, v20
	v_add_nc_u32_e32 v45, 0xed9eba14, v20
	v_cmp_eq_u32_e32 vcc_lo, 0, v27
	v_add_nc_u32_e32 v46, 0x1715609d, v19
	v_add_nc_u32_e32 v47, 0xa9066899, v20
	s_mov_b32 s0, exec_lo
	v_dual_cndmask_b32 v21, 0, v13 :: v_dual_add_nc_u32 v40, 0x9e3779b9, v19
	v_mad_u64_u32 v[13:14], null, 0xd2511f53, v18, 0
	s_delay_alu instid0(VALU_DEP_2) | instskip(NEXT) | instid1(VALU_DEP_2)
	v_add_nc_u32_e32 v18, v21, v1
	v_xor_b32_e32 v22, v14, v20
	s_delay_alu instid0(VALU_DEP_2) | instskip(SKIP_2) | instid1(VALU_DEP_1)
	v_cmp_eq_u32_e32 vcc_lo, 0, v18
	v_mad_u64_u32 v[14:15], null, 0xd2511f53, v16, 0
	v_cndmask_b32_e32 v21, 0, v21, vcc_lo
	v_xor_b32_e32 v16, v21, v22
	v_mad_u64_u32 v[21:22], null, 0xd2511f53, v23, 0
	v_mad_u64_u32 v[23:24], null, 0xcd9e8d57, v18, 0
	v_add_nc_u32_e32 v18, 0x3c6ef372, v19
	s_delay_alu instid0(VALU_DEP_4) | instskip(SKIP_2) | instid1(VALU_DEP_2)
	v_mad_u64_u32 v[25:26], null, 0xcd9e8d57, v16, 0
	v_xor_b32_e32 v16, v15, v20
	v_xor3_b32 v28, v41, v22, v14
	v_mad_u64_u32 v[14:15], null, 0xcd9e8d57, v16, 0
	v_xor3_b32 v16, v24, v19, v27
	v_xor3_b32 v24, v40, v26, v23
	s_delay_alu instid0(VALU_DEP_4) | instskip(NEXT) | instid1(VALU_DEP_3)
	v_mad_u64_u32 v[22:23], null, 0xcd9e8d57, v28, 0
	v_mad_u64_u32 v[26:27], null, 0xd2511f53, v16, 0
	s_delay_alu instid0(VALU_DEP_3) | instskip(SKIP_1) | instid1(VALU_DEP_4)
	v_mad_u64_u32 v[28:29], null, 0xd2511f53, v24, 0
	v_xor3_b32 v16, v2, v15, v40
	v_xor3_b32 v40, v18, v23, v14
	s_delay_alu instid0(VALU_DEP_4) | instskip(NEXT) | instid1(VALU_DEP_3)
	v_xor3_b32 v13, v41, v27, v13
	v_mad_u64_u32 v[14:15], null, 0xd2511f53, v16, 0
	v_xor3_b32 v16, v42, v29, v26
	s_delay_alu instid0(VALU_DEP_4) | instskip(NEXT) | instid1(VALU_DEP_4)
	v_mad_u64_u32 v[23:24], null, 0xd2511f53, v40, 0
	v_mad_u64_u32 v[26:27], null, 0xcd9e8d57, v13, 0
	s_delay_alu instid0(VALU_DEP_3) | instskip(SKIP_4) | instid1(VALU_DEP_4)
	v_mad_u64_u32 v[40:41], null, 0xcd9e8d57, v16, 0
	v_xor3_b32 v15, v42, v15, v21
	v_add_nc_u32_e32 v29, 0x78dde6e4, v19
	v_xor3_b32 v21, v44, v24, v14
	v_xor3_b32 v18, v18, v27, v25
	v_mad_u64_u32 v[13:14], null, 0xcd9e8d57, v15, 0
	v_xor3_b32 v41, v43, v41, v26
	s_delay_alu instid0(VALU_DEP_4) | instskip(NEXT) | instid1(VALU_DEP_4)
	v_mad_u64_u32 v[15:16], null, 0xcd9e8d57, v21, 0
	v_mad_u64_u32 v[24:25], null, 0xd2511f53, v18, 0
	s_delay_alu instid0(VALU_DEP_3) | instskip(SKIP_1) | instid1(VALU_DEP_4)
	v_mad_u64_u32 v[26:27], null, 0xd2511f53, v41, 0
	v_xor3_b32 v18, v43, v14, v22
	v_xor3_b32 v16, v29, v16, v13
	s_delay_alu instid0(VALU_DEP_2) | instskip(SKIP_2) | instid1(VALU_DEP_4)
	v_mad_u64_u32 v[13:14], null, 0xd2511f53, v18, 0
	v_xor3_b32 v18, v44, v25, v28
	v_xor3_b32 v24, v45, v27, v24
	v_mad_u64_u32 v[27:28], null, 0xd2511f53, v16, 0
	s_delay_alu instid0(VALU_DEP_3) | instskip(NEXT) | instid1(VALU_DEP_3)
	v_mad_u64_u32 v[21:22], null, 0xcd9e8d57, v18, 0
	v_mad_u64_u32 v[41:42], null, 0xcd9e8d57, v24, 0
	v_xor3_b32 v16, v45, v14, v23
	s_delay_alu instid0(VALU_DEP_4) | instskip(SKIP_2) | instid1(VALU_DEP_4)
	v_xor3_b32 v24, v47, v28, v13
	v_add_nc_u32_e32 v18, 0xb54cda56, v19
	v_add_nc_u32_e32 v23, 0x646e171e, v20
	v_mad_u64_u32 v[13:14], null, 0xcd9e8d57, v16, 0
	v_xor3_b32 v16, v29, v22, v40
	v_xor3_b32 v25, v46, v42, v21
	v_mad_u64_u32 v[42:43], null, 0xcd9e8d57, v24, 0
	v_add_nc_u32_e32 v29, 0x5384540f, v19
	s_delay_alu instid0(VALU_DEP_4) | instskip(NEXT) | instid1(VALU_DEP_4)
	v_mad_u64_u32 v[21:22], null, 0xd2511f53, v16, 0
	v_mad_u64_u32 v[44:45], null, 0xd2511f53, v25, 0
	v_xor3_b32 v15, v46, v14, v15
	v_xor3_b32 v16, v18, v43, v13
	v_add_nc_u32_e32 v46, 0x1fd5c5a3, v20
	v_add_co_u32 v40, null, 0xf1bbcdc8, v19
	v_xor3_b32 v24, v47, v22, v26
	v_xor3_b32 v26, v23, v45, v21
	v_mad_u64_u32 v[13:14], null, 0xd2511f53, v15, 0
	v_mad_u64_u32 v[21:22], null, 0xd2511f53, v16, 0
	s_delay_alu instid0(VALU_DEP_4) | instskip(NEXT) | instid1(VALU_DEP_4)
	v_mad_u64_u32 v[15:16], null, 0xcd9e8d57, v24, 0
	v_mad_u64_u32 v[24:25], null, 0xcd9e8d57, v26, 0
	s_delay_alu instid0(VALU_DEP_4) | instskip(NEXT) | instid1(VALU_DEP_4)
	v_xor3_b32 v23, v23, v14, v27
	v_xor3_b32 v26, v46, v22, v13
	s_delay_alu instid0(VALU_DEP_4) | instskip(NEXT) | instid1(VALU_DEP_3)
	v_xor3_b32 v18, v18, v16, v41
	v_mad_u64_u32 v[13:14], null, 0xcd9e8d57, v23, 0
	v_xor3_b32 v25, v29, v25, v15
	s_delay_alu instid0(VALU_DEP_4) | instskip(NEXT) | instid1(VALU_DEP_4)
	v_mad_u64_u32 v[22:23], null, 0xcd9e8d57, v26, 0
	v_mad_u64_u32 v[15:16], null, 0xd2511f53, v18, 0
	s_delay_alu instid0(VALU_DEP_3)
	v_mad_u64_u32 v[27:28], null, 0xd2511f53, v25, 0
	v_add_nc_u32_e32 v41, 0xdb3d7428, v20
	v_xor3_b32 v14, v29, v14, v42
	v_xor3_b32 v18, v40, v23, v13
	v_add_nc_u32_e32 v42, 0x96a522ad, v20
	v_xor3_b32 v16, v46, v16, v44
	v_and_b32_e32 v20, 3, v17
	v_xor3_b32 v23, v41, v28, v15
	v_mad_u64_u32 v[25:26], null, 0xd2511f53, v14, 0
	v_mad_u64_u32 v[13:14], null, 0xd2511f53, v18, 0
	;; [unrolled: 1-line block ×3, first 2 shown]
	s_delay_alu instid0(VALU_DEP_4) | instskip(SKIP_1) | instid1(VALU_DEP_4)
	v_mad_u64_u32 v[15:16], null, 0xcd9e8d57, v23, 0
	v_add_nc_u32_e32 v23, 0x8ff34781, v19
                                        ; implicit-def: $vgpr18
	v_xor3_b32 v19, v14, v25, v42
	s_delay_alu instid0(VALU_DEP_2)
	v_xor3_b32 v14, v16, v28, v23
	v_cmpx_lt_i32_e32 1, v20
	s_xor_b32 s0, exec_lo, s0
	s_cbranch_execz .LBB47_19
; %bb.14:                               ;   in Loop: Header=BB47_3 Depth=1
	s_mov_b32 s1, exec_lo
                                        ; implicit-def: $vgpr18
	v_cmpx_lt_i32_e32 2, v20
	s_xor_b32 s1, exec_lo, s1
; %bb.15:                               ;   in Loop: Header=BB47_3 Depth=1
	v_xor3_b32 v16, v40, v29, v24
                                        ; implicit-def: $vgpr19
	s_delay_alu instid0(VALU_DEP_1) | instskip(NEXT) | instid1(VALU_DEP_1)
	v_mul_hi_u32 v16, 0xd2511f53, v16
	v_xor3_b32 v18, v16, v27, v42
; %bb.16:                               ;   in Loop: Header=BB47_3 Depth=1
	s_and_not1_saveexec_b32 s1, s1
; %bb.17:                               ;   in Loop: Header=BB47_3 Depth=1
	v_dual_mov_b32 v18, v15 :: v_dual_mov_b32 v15, v14
	v_dual_mov_b32 v14, v13 :: v_dual_mov_b32 v13, v19
; %bb.18:                               ;   in Loop: Header=BB47_3 Depth=1
	s_or_b32 exec_lo, exec_lo, s1
                                        ; implicit-def: $vgpr21_vgpr22
                                        ; implicit-def: $vgpr20
                                        ; implicit-def: $vgpr19
                                        ; implicit-def: $vgpr41
                                        ; implicit-def: $vgpr25_vgpr26
                                        ; implicit-def: $vgpr22_vgpr23
                                        ; implicit-def: $vgpr23
.LBB47_19:                              ;   in Loop: Header=BB47_3 Depth=1
	s_and_not1_saveexec_b32 s0, s0
	s_cbranch_execz .LBB47_23
; %bb.20:                               ;   in Loop: Header=BB47_3 Depth=1
	v_xor3_b32 v15, v41, v26, v21
	v_cmp_eq_u32_e32 vcc_lo, 1, v20
	v_mov_b32_e32 v18, v13
	s_delay_alu instid0(VALU_DEP_3) | instskip(SKIP_1) | instid1(VALU_DEP_2)
	v_mad_u64_u32 v[16:17], null, 0xcd9e8d57, v15, 0
	v_mov_b32_e32 v15, v19
	v_xor3_b32 v20, v17, v22, v23
	s_delay_alu instid0(VALU_DEP_3)
	v_mov_b32_e32 v17, v16
	s_and_saveexec_b32 s1, vcc_lo
; %bb.21:                               ;   in Loop: Header=BB47_3 Depth=1
	v_dual_mov_b32 v18, v14 :: v_dual_mov_b32 v15, v13
	v_dual_mov_b32 v17, v19 :: v_dual_mov_b32 v20, v16
; %bb.22:                               ;   in Loop: Header=BB47_3 Depth=1
	s_or_b32 exec_lo, exec_lo, s1
	s_delay_alu instid0(VALU_DEP_1)
	v_dual_mov_b32 v13, v20 :: v_dual_mov_b32 v14, v17
.LBB47_23:                              ;   in Loop: Header=BB47_3 Depth=1
	s_or_b32 exec_lo, exec_lo, s0
	v_min_i32_e32 v16, 4, v31
	s_mov_b32 s1, 0
	s_mov_b32 s37, 0
                                        ; implicit-def: $sgpr2
                                        ; implicit-def: $sgpr3
                                        ; implicit-def: $sgpr34
	s_mov_b32 s0, exec_lo
	s_delay_alu instid0(VALU_DEP_1)
	v_cmpx_lt_i32_e32 2, v16
	s_xor_b32 s35, exec_lo, s0
	s_cbranch_execz .LBB47_33
; %bb.24:                               ;   in Loop: Header=BB47_3 Depth=1
	s_mov_b32 s34, -1
	s_mov_b32 s3, exec_lo
                                        ; implicit-def: $sgpr2
                                        ; implicit-def: $sgpr36
	v_cmpx_lt_i32_e32 3, v16
	s_cbranch_execz .LBB47_28
; %bb.25:                               ;   in Loop: Header=BB47_3 Depth=1
	v_cmp_le_f32_e32 vcc_lo, 0, v39
	v_cmp_ge_f32_e64 s0, 1.0, v39
	s_mov_b32 s2, 0
	s_delay_alu instid0(VALU_DEP_1)
	s_and_b32 s36, vcc_lo, s0
	s_mov_b32 s0, 0
	s_and_saveexec_b32 s34, s36
	s_cbranch_execz .LBB47_27
; %bb.26:                               ;   in Loop: Header=BB47_3 Depth=1
	v_cvt_f32_u32_e32 v17, v18
	v_lshlrev_b64 v[11:12], 3, v[11:12]
	s_mov_b32 s0, exec_lo
	s_delay_alu instid0(VALU_DEP_2) | instskip(NEXT) | instid1(VALU_DEP_2)
	v_dual_mov_b32 v18, s20 :: v_dual_fmaak_f32 v17, 0x2f800000, v17, 0x2f800000
	v_add_co_u32 v11, vcc_lo, s12, v11
	s_delay_alu instid0(VALU_DEP_3) | instskip(NEXT) | instid1(VALU_DEP_3)
	v_add_co_ci_u32_e32 v12, vcc_lo, s13, v12, vcc_lo
	v_cmp_le_f32_e32 vcc_lo, v17, v39
	v_cndmask_b32_e64 v17, 0, 1, vcc_lo
	global_store_b64 v[11:12], v[17:18], off
.LBB47_27:                              ;   in Loop: Header=BB47_3 Depth=1
	s_or_b32 exec_lo, exec_lo, s34
	s_mov_b32 s36, -1
	s_or_not1_b32 s34, s0, exec_lo
.LBB47_28:                              ;   in Loop: Header=BB47_3 Depth=1
	s_or_b32 exec_lo, exec_lo, s3
	s_mov_b32 s0, 0
	s_mov_b32 s37, s2
	s_and_saveexec_b32 s3, s34
	s_cbranch_execz .LBB47_32
; %bb.29:                               ;   in Loop: Header=BB47_3 Depth=1
	v_cmp_le_f32_e32 vcc_lo, 0, v38
	v_cmp_ge_f32_e64 s0, 1.0, v38
	s_delay_alu instid0(VALU_DEP_1) | instskip(SKIP_2) | instid1(SALU_CYCLE_1)
	s_and_b32 s34, vcc_lo, s0
	s_mov_b32 s0, 0
	s_and_saveexec_b32 s37, s34
	s_xor_b32 s34, exec_lo, s37
	s_cbranch_execz .LBB47_31
; %bb.30:                               ;   in Loop: Header=BB47_3 Depth=1
	v_cvt_f32_u32_e32 v11, v15
	v_lshlrev_b64 v[9:10], 3, v[9:10]
	s_mov_b32 s0, exec_lo
	s_delay_alu instid0(VALU_DEP_2) | instskip(NEXT) | instid1(VALU_DEP_2)
	v_dual_mov_b32 v12, s20 :: v_dual_fmaak_f32 v11, 0x2f800000, v11, 0x2f800000
	v_add_co_u32 v9, vcc_lo, s12, v9
	s_delay_alu instid0(VALU_DEP_3) | instskip(NEXT) | instid1(VALU_DEP_3)
	v_add_co_ci_u32_e32 v10, vcc_lo, s13, v10, vcc_lo
	v_cmp_le_f32_e32 vcc_lo, v11, v38
	v_cndmask_b32_e64 v11, 0, 1, vcc_lo
	global_store_b64 v[9:10], v[11:12], off
.LBB47_31:                              ;   in Loop: Header=BB47_3 Depth=1
	s_or_b32 exec_lo, exec_lo, s34
	s_delay_alu instid0(SALU_CYCLE_1)
	s_and_not1_b32 s37, s2, exec_lo
	s_or_b32 s2, s2, exec_lo
	s_and_not1_b32 s36, s36, exec_lo
	s_and_b32 s0, s0, exec_lo
.LBB47_32:                              ;   in Loop: Header=BB47_3 Depth=1
	s_or_b32 exec_lo, exec_lo, s3
	s_delay_alu instid0(SALU_CYCLE_1)
	s_and_b32 s34, s37, exec_lo
	s_and_b32 s3, s2, exec_lo
	;; [unrolled: 1-line block ×4, first 2 shown]
.LBB47_33:                              ;   in Loop: Header=BB47_3 Depth=1
	s_and_not1_saveexec_b32 s0, s35
; %bb.34:                               ;   in Loop: Header=BB47_3 Depth=1
	v_cmp_lt_i32_e32 vcc_lo, 1, v16
	s_and_not1_b32 s35, s37, exec_lo
	s_mov_b32 s1, exec_lo
	s_and_not1_b32 s34, s34, exec_lo
	s_and_not1_b32 s3, s3, exec_lo
	s_and_b32 s36, vcc_lo, exec_lo
	s_and_not1_b32 s2, s2, exec_lo
	s_or_b32 s37, s35, s36
; %bb.35:                               ;   in Loop: Header=BB47_3 Depth=1
	s_or_b32 exec_lo, exec_lo, s0
	s_mov_b32 s35, 0
	s_mov_b32 s0, 0
	;; [unrolled: 1-line block ×3, first 2 shown]
	s_and_saveexec_b32 s38, s37
	s_cbranch_execnz .LBB47_38
; %bb.36:                               ;   in Loop: Header=BB47_3 Depth=1
	s_or_b32 exec_lo, exec_lo, s38
	s_and_saveexec_b32 s37, s1
	s_cbranch_execnz .LBB47_41
.LBB47_37:                              ;   in Loop: Header=BB47_3 Depth=1
	s_or_b32 exec_lo, exec_lo, s37
	s_and_saveexec_b32 s1, s0
	s_cbranch_execnz .LBB47_42
	s_branch .LBB47_45
.LBB47_38:                              ;   in Loop: Header=BB47_3 Depth=1
	v_cmp_le_f32_e32 vcc_lo, 0, v37
	v_cmp_ge_f32_e64 s0, 1.0, v37
	s_delay_alu instid0(VALU_DEP_1) | instskip(SKIP_2) | instid1(SALU_CYCLE_1)
	s_and_b32 s36, vcc_lo, s0
	s_mov_b32 s0, 0
	s_and_saveexec_b32 s37, s36
	s_xor_b32 s36, exec_lo, s37
	s_cbranch_execz .LBB47_40
; %bb.39:                               ;   in Loop: Header=BB47_3 Depth=1
	v_cvt_f32_u32_e32 v9, v14
	v_lshlrev_b64 v[7:8], 3, v[7:8]
	s_mov_b32 s0, exec_lo
	s_delay_alu instid0(VALU_DEP_2) | instskip(NEXT) | instid1(VALU_DEP_2)
	v_dual_mov_b32 v10, s20 :: v_dual_fmaak_f32 v9, 0x2f800000, v9, 0x2f800000
	v_add_co_u32 v7, vcc_lo, s12, v7
	s_delay_alu instid0(VALU_DEP_3) | instskip(NEXT) | instid1(VALU_DEP_3)
	v_add_co_ci_u32_e32 v8, vcc_lo, s13, v8, vcc_lo
	v_cmp_le_f32_e32 vcc_lo, v9, v37
	v_cndmask_b32_e64 v9, 0, 1, vcc_lo
	global_store_b64 v[7:8], v[9:10], off
.LBB47_40:                              ;   in Loop: Header=BB47_3 Depth=1
	s_or_b32 exec_lo, exec_lo, s36
	s_delay_alu instid0(SALU_CYCLE_1)
	s_and_not1_b32 s36, s34, exec_lo
	s_or_b32 s34, s34, exec_lo
	s_and_not1_b32 s3, s3, exec_lo
	s_and_not1_b32 s2, s2, exec_lo
	s_and_b32 s0, s0, exec_lo
	s_and_not1_b32 s1, s1, exec_lo
	s_or_b32 exec_lo, exec_lo, s38
	s_and_saveexec_b32 s37, s1
	s_cbranch_execz .LBB47_37
.LBB47_41:                              ;   in Loop: Header=BB47_3 Depth=1
	v_cmp_eq_u32_e32 vcc_lo, 1, v16
	s_and_not1_b32 s0, s0, exec_lo
	s_mov_b32 s35, exec_lo
	s_and_not1_b32 s36, s36, exec_lo
	s_and_not1_b32 s34, s34, exec_lo
	s_and_b32 s1, vcc_lo, exec_lo
	s_and_not1_b32 s3, s3, exec_lo
	s_and_not1_b32 s2, s2, exec_lo
	s_or_b32 s0, s0, s1
	s_or_b32 exec_lo, exec_lo, s37
	s_and_saveexec_b32 s1, s0
	s_cbranch_execz .LBB47_45
.LBB47_42:                              ;   in Loop: Header=BB47_3 Depth=1
	v_cmp_le_f32_e32 vcc_lo, 0, v3
	v_cmp_ge_f32_e64 s0, 1.0, v3
	s_delay_alu instid0(VALU_DEP_1)
	s_and_b32 s38, vcc_lo, s0
	s_mov_b32 s0, 0
	s_and_saveexec_b32 s37, s38
	s_cbranch_execz .LBB47_44
; %bb.43:                               ;   in Loop: Header=BB47_3 Depth=1
	v_cvt_f32_u32_e32 v7, v13
	v_lshlrev_b64 v[5:6], 3, v[5:6]
	s_mov_b32 s0, exec_lo
	s_delay_alu instid0(VALU_DEP_2) | instskip(NEXT) | instid1(VALU_DEP_2)
	v_dual_mov_b32 v8, s20 :: v_dual_fmaak_f32 v7, 0x2f800000, v7, 0x2f800000
	v_add_co_u32 v5, vcc_lo, s12, v5
	s_delay_alu instid0(VALU_DEP_3) | instskip(NEXT) | instid1(VALU_DEP_3)
	v_add_co_ci_u32_e32 v6, vcc_lo, s13, v6, vcc_lo
	v_cmp_le_f32_e32 vcc_lo, v7, v3
	v_cndmask_b32_e64 v7, 0, 1, vcc_lo
	global_store_b64 v[5:6], v[7:8], off
.LBB47_44:                              ;   in Loop: Header=BB47_3 Depth=1
	s_or_b32 exec_lo, exec_lo, s37
	s_delay_alu instid0(SALU_CYCLE_1)
	s_and_not1_b32 s35, s35, exec_lo
	s_and_b32 s0, s0, exec_lo
	s_or_b32 s36, s36, exec_lo
	s_and_not1_b32 s34, s34, exec_lo
	s_and_not1_b32 s3, s3, exec_lo
	;; [unrolled: 1-line block ×3, first 2 shown]
	s_or_b32 s35, s35, s0
.LBB47_45:                              ;   in Loop: Header=BB47_3 Depth=1
	s_or_b32 exec_lo, exec_lo, s1
	s_delay_alu instid0(SALU_CYCLE_1)
	s_and_not1_b32 s1, s33, exec_lo
	s_and_b32 s33, s36, exec_lo
	s_and_not1_b32 s30, s30, exec_lo
	s_and_b32 s34, s34, exec_lo
	s_or_b32 s33, s1, s33
	s_and_not1_b32 s1, s31, exec_lo
	s_and_b32 s3, s3, exec_lo
	s_and_not1_b32 s29, s29, exec_lo
	s_and_b32 s2, s2, exec_lo
	s_mov_b32 s0, -1
	s_or_b32 s30, s30, s34
	s_or_b32 s31, s1, s3
	s_or_b32 s29, s29, s2
	s_and_saveexec_b32 s1, s35
	s_cbranch_execz .LBB47_2
; %bb.46:                               ;   in Loop: Header=BB47_3 Depth=1
	v_add_nc_u32_e32 v0, s22, v0
	v_subrev_nc_u32_e32 v31, s22, v31
	s_add_i32 s26, s26, s23
	s_and_not1_b32 s33, s33, exec_lo
	s_and_not1_b32 s30, s30, exec_lo
	v_cmp_le_u32_e32 vcc_lo, s16, v0
	s_and_not1_b32 s31, s31, exec_lo
	s_and_not1_b32 s29, s29, exec_lo
	s_or_not1_b32 s0, vcc_lo, exec_lo
	s_branch .LBB47_2
.LBB47_47:
	s_or_b32 exec_lo, exec_lo, s24
	s_xor_b32 s3, s27, -1
	s_xor_b32 s4, s28, -1
	;; [unrolled: 1-line block ×3, first 2 shown]
	s_mov_b32 s1, 0
	s_and_saveexec_b32 s2, s0
	s_delay_alu instid0(SALU_CYCLE_1)
	s_xor_b32 s0, exec_lo, s2
	s_cbranch_execz .LBB47_56
; %bb.48:
	s_mov_b32 s2, 0
	s_and_saveexec_b32 s1, s4
	s_delay_alu instid0(SALU_CYCLE_1)
	s_xor_b32 s1, exec_lo, s1
	s_cbranch_execz .LBB47_54
; %bb.49:
	s_and_saveexec_b32 s4, s3
	s_delay_alu instid0(SALU_CYCLE_1)
	s_xor_b32 s3, exec_lo, s4
	s_cbranch_execz .LBB47_52
; %bb.50:
	s_and_saveexec_b32 s4, s21
	s_delay_alu instid0(SALU_CYCLE_1)
	s_xor_b32 s4, exec_lo, s4
	s_cbranch_execnz .LBB47_70
.LBB47_51:
	s_or_b32 exec_lo, exec_lo, s4
	s_delay_alu instid0(SALU_CYCLE_1)
	s_and_b32 s2, s2, exec_lo
.LBB47_52:
	s_and_not1_saveexec_b32 s3, s3
	s_cbranch_execnz .LBB47_66
.LBB47_53:
	s_or_b32 exec_lo, exec_lo, s3
	s_delay_alu instid0(SALU_CYCLE_1)
	s_and_b32 s2, s2, exec_lo
.LBB47_54:
	s_and_not1_saveexec_b32 s1, s1
	s_cbranch_execnz .LBB47_62
.LBB47_55:
	s_or_b32 exec_lo, exec_lo, s1
	s_delay_alu instid0(SALU_CYCLE_1)
	s_and_b32 s1, s2, exec_lo
.LBB47_56:
	s_and_not1_saveexec_b32 s0, s0
	s_cbranch_execnz .LBB47_60
; %bb.57:
	s_or_b32 exec_lo, exec_lo, s0
	s_delay_alu instid0(SALU_CYCLE_1)
	s_and_b32 exec_lo, exec_lo, s1
.LBB47_58:
	; divergent unreachable
.LBB47_59:
	s_nop 0
	s_sendmsg sendmsg(MSG_DEALLOC_VGPRS)
	s_endpgm
.LBB47_60:
	s_cbranch_execnz .LBB47_64
; %bb.61:
	s_or_b32 s1, s1, exec_lo
	s_or_b32 exec_lo, exec_lo, s0
	s_delay_alu instid0(SALU_CYCLE_1)
	s_and_b32 exec_lo, exec_lo, s1
	s_cbranch_execnz .LBB47_58
	s_branch .LBB47_59
.LBB47_62:
	s_cbranch_execnz .LBB47_68
; %bb.63:
	s_or_b32 s2, s2, exec_lo
	s_branch .LBB47_55
.LBB47_64:
	s_trap 2
	s_sendmsg_rtn_b32 s0, sendmsg(MSG_RTN_GET_DOORBELL)
	s_mov_b32 ttmp2, m0
	s_waitcnt lgkmcnt(0)
	s_and_b32 s0, s0, 0x3ff
	s_delay_alu instid0(SALU_CYCLE_1) | instskip(NEXT) | instid1(SALU_CYCLE_1)
	s_bitset1_b32 s0, 10
	s_mov_b32 m0, s0
	s_sendmsg sendmsg(MSG_INTERRUPT)
	s_mov_b32 m0, ttmp2
.LBB47_65:                              ; =>This Inner Loop Header: Depth=1
	s_sethalt 5
	s_branch .LBB47_65
.LBB47_66:
	s_cbranch_execnz .LBB47_72
; %bb.67:
	s_or_b32 s2, s2, exec_lo
	s_branch .LBB47_53
.LBB47_68:
	s_trap 2
	s_sendmsg_rtn_b32 s0, sendmsg(MSG_RTN_GET_DOORBELL)
	s_mov_b32 ttmp2, m0
	s_waitcnt lgkmcnt(0)
	s_and_b32 s0, s0, 0x3ff
	s_delay_alu instid0(SALU_CYCLE_1) | instskip(NEXT) | instid1(SALU_CYCLE_1)
	s_bitset1_b32 s0, 10
	s_mov_b32 m0, s0
	s_sendmsg sendmsg(MSG_INTERRUPT)
	s_mov_b32 m0, ttmp2
.LBB47_69:                              ; =>This Inner Loop Header: Depth=1
	s_sethalt 5
	s_branch .LBB47_69
.LBB47_70:
	s_cbranch_execnz .LBB47_74
; %bb.71:
	s_mov_b32 s2, exec_lo
	s_branch .LBB47_51
.LBB47_72:
	s_trap 2
	s_sendmsg_rtn_b32 s0, sendmsg(MSG_RTN_GET_DOORBELL)
	s_mov_b32 ttmp2, m0
	s_waitcnt lgkmcnt(0)
	s_and_b32 s0, s0, 0x3ff
	s_delay_alu instid0(SALU_CYCLE_1) | instskip(NEXT) | instid1(SALU_CYCLE_1)
	s_bitset1_b32 s0, 10
	s_mov_b32 m0, s0
	s_sendmsg sendmsg(MSG_INTERRUPT)
	s_mov_b32 m0, ttmp2
.LBB47_73:                              ; =>This Inner Loop Header: Depth=1
	s_sethalt 5
	s_branch .LBB47_73
.LBB47_74:
	s_trap 2
	s_sendmsg_rtn_b32 s0, sendmsg(MSG_RTN_GET_DOORBELL)
	s_mov_b32 ttmp2, m0
	s_waitcnt lgkmcnt(0)
	s_and_b32 s0, s0, 0x3ff
	s_delay_alu instid0(SALU_CYCLE_1) | instskip(NEXT) | instid1(SALU_CYCLE_1)
	s_bitset1_b32 s0, 10
	s_mov_b32 m0, s0
	s_sendmsg sendmsg(MSG_INTERRUPT)
	s_mov_b32 m0, ttmp2
.LBB47_75:                              ; =>This Inner Loop Header: Depth=1
	s_sethalt 5
	s_branch .LBB47_75
	.section	.rodata,"a",@progbits
	.p2align	6, 0x0
	.amdhsa_kernel _ZN2at4cuda12_GLOBAL__N_121kernelPointwiseApply2IZNS_6native9templates4cuda28bernoulli_tensor_cuda_kernelIlfEEvRKNS_10TensorBaseES9_NS_15PhiloxCudaStateEEUliRlSB_SB_SB_RKfSD_SD_SD_E_lSC_jLi2ELi1ELi4ELi512ELi2EEEvNS0_6detail10TensorInfoIT0_T2_EENSG_IT1_SI_EESI_T_
		.amdhsa_group_segment_fixed_size 0
		.amdhsa_private_segment_fixed_size 0
		.amdhsa_kernarg_size 728
		.amdhsa_user_sgpr_count 15
		.amdhsa_user_sgpr_dispatch_ptr 0
		.amdhsa_user_sgpr_queue_ptr 0
		.amdhsa_user_sgpr_kernarg_segment_ptr 1
		.amdhsa_user_sgpr_dispatch_id 0
		.amdhsa_user_sgpr_private_segment_size 0
		.amdhsa_wavefront_size32 1
		.amdhsa_uses_dynamic_stack 0
		.amdhsa_enable_private_segment 0
		.amdhsa_system_sgpr_workgroup_id_x 1
		.amdhsa_system_sgpr_workgroup_id_y 0
		.amdhsa_system_sgpr_workgroup_id_z 0
		.amdhsa_system_sgpr_workgroup_info 0
		.amdhsa_system_vgpr_workitem_id 0
		.amdhsa_next_free_vgpr 48
		.amdhsa_next_free_sgpr 39
		.amdhsa_reserve_vcc 1
		.amdhsa_float_round_mode_32 0
		.amdhsa_float_round_mode_16_64 0
		.amdhsa_float_denorm_mode_32 3
		.amdhsa_float_denorm_mode_16_64 3
		.amdhsa_dx10_clamp 1
		.amdhsa_ieee_mode 1
		.amdhsa_fp16_overflow 0
		.amdhsa_workgroup_processor_mode 1
		.amdhsa_memory_ordered 1
		.amdhsa_forward_progress 0
		.amdhsa_shared_vgpr_count 0
		.amdhsa_exception_fp_ieee_invalid_op 0
		.amdhsa_exception_fp_denorm_src 0
		.amdhsa_exception_fp_ieee_div_zero 0
		.amdhsa_exception_fp_ieee_overflow 0
		.amdhsa_exception_fp_ieee_underflow 0
		.amdhsa_exception_fp_ieee_inexact 0
		.amdhsa_exception_int_div_zero 0
	.end_amdhsa_kernel
	.section	.text._ZN2at4cuda12_GLOBAL__N_121kernelPointwiseApply2IZNS_6native9templates4cuda28bernoulli_tensor_cuda_kernelIlfEEvRKNS_10TensorBaseES9_NS_15PhiloxCudaStateEEUliRlSB_SB_SB_RKfSD_SD_SD_E_lSC_jLi2ELi1ELi4ELi512ELi2EEEvNS0_6detail10TensorInfoIT0_T2_EENSG_IT1_SI_EESI_T_,"axG",@progbits,_ZN2at4cuda12_GLOBAL__N_121kernelPointwiseApply2IZNS_6native9templates4cuda28bernoulli_tensor_cuda_kernelIlfEEvRKNS_10TensorBaseES9_NS_15PhiloxCudaStateEEUliRlSB_SB_SB_RKfSD_SD_SD_E_lSC_jLi2ELi1ELi4ELi512ELi2EEEvNS0_6detail10TensorInfoIT0_T2_EENSG_IT1_SI_EESI_T_,comdat
.Lfunc_end47:
	.size	_ZN2at4cuda12_GLOBAL__N_121kernelPointwiseApply2IZNS_6native9templates4cuda28bernoulli_tensor_cuda_kernelIlfEEvRKNS_10TensorBaseES9_NS_15PhiloxCudaStateEEUliRlSB_SB_SB_RKfSD_SD_SD_E_lSC_jLi2ELi1ELi4ELi512ELi2EEEvNS0_6detail10TensorInfoIT0_T2_EENSG_IT1_SI_EESI_T_, .Lfunc_end47-_ZN2at4cuda12_GLOBAL__N_121kernelPointwiseApply2IZNS_6native9templates4cuda28bernoulli_tensor_cuda_kernelIlfEEvRKNS_10TensorBaseES9_NS_15PhiloxCudaStateEEUliRlSB_SB_SB_RKfSD_SD_SD_E_lSC_jLi2ELi1ELi4ELi512ELi2EEEvNS0_6detail10TensorInfoIT0_T2_EENSG_IT1_SI_EESI_T_
                                        ; -- End function
	.section	.AMDGPU.csdata,"",@progbits
; Kernel info:
; codeLenInByte = 3824
; NumSgprs: 41
; NumVgprs: 48
; ScratchSize: 0
; MemoryBound: 0
; FloatMode: 240
; IeeeMode: 1
; LDSByteSize: 0 bytes/workgroup (compile time only)
; SGPRBlocks: 5
; VGPRBlocks: 5
; NumSGPRsForWavesPerEU: 41
; NumVGPRsForWavesPerEU: 48
; Occupancy: 16
; WaveLimiterHint : 1
; COMPUTE_PGM_RSRC2:SCRATCH_EN: 0
; COMPUTE_PGM_RSRC2:USER_SGPR: 15
; COMPUTE_PGM_RSRC2:TRAP_HANDLER: 0
; COMPUTE_PGM_RSRC2:TGID_X_EN: 1
; COMPUTE_PGM_RSRC2:TGID_Y_EN: 0
; COMPUTE_PGM_RSRC2:TGID_Z_EN: 0
; COMPUTE_PGM_RSRC2:TIDIG_COMP_CNT: 0
	.section	.text._ZN2at4cuda12_GLOBAL__N_121kernelPointwiseApply2IZNS_6native9templates4cuda28bernoulli_tensor_cuda_kernelIlfEEvRKNS_10TensorBaseES9_NS_15PhiloxCudaStateEEUliRlSB_SB_SB_RKfSD_SD_SD_E_lSC_jLi2ELi2ELi4ELi512ELi2EEEvNS0_6detail10TensorInfoIT0_T2_EENSG_IT1_SI_EESI_T_,"axG",@progbits,_ZN2at4cuda12_GLOBAL__N_121kernelPointwiseApply2IZNS_6native9templates4cuda28bernoulli_tensor_cuda_kernelIlfEEvRKNS_10TensorBaseES9_NS_15PhiloxCudaStateEEUliRlSB_SB_SB_RKfSD_SD_SD_E_lSC_jLi2ELi2ELi4ELi512ELi2EEEvNS0_6detail10TensorInfoIT0_T2_EENSG_IT1_SI_EESI_T_,comdat
	.globl	_ZN2at4cuda12_GLOBAL__N_121kernelPointwiseApply2IZNS_6native9templates4cuda28bernoulli_tensor_cuda_kernelIlfEEvRKNS_10TensorBaseES9_NS_15PhiloxCudaStateEEUliRlSB_SB_SB_RKfSD_SD_SD_E_lSC_jLi2ELi2ELi4ELi512ELi2EEEvNS0_6detail10TensorInfoIT0_T2_EENSG_IT1_SI_EESI_T_ ; -- Begin function _ZN2at4cuda12_GLOBAL__N_121kernelPointwiseApply2IZNS_6native9templates4cuda28bernoulli_tensor_cuda_kernelIlfEEvRKNS_10TensorBaseES9_NS_15PhiloxCudaStateEEUliRlSB_SB_SB_RKfSD_SD_SD_E_lSC_jLi2ELi2ELi4ELi512ELi2EEEvNS0_6detail10TensorInfoIT0_T2_EENSG_IT1_SI_EESI_T_
	.p2align	8
	.type	_ZN2at4cuda12_GLOBAL__N_121kernelPointwiseApply2IZNS_6native9templates4cuda28bernoulli_tensor_cuda_kernelIlfEEvRKNS_10TensorBaseES9_NS_15PhiloxCudaStateEEUliRlSB_SB_SB_RKfSD_SD_SD_E_lSC_jLi2ELi2ELi4ELi512ELi2EEEvNS0_6detail10TensorInfoIT0_T2_EENSG_IT1_SI_EESI_T_,@function
_ZN2at4cuda12_GLOBAL__N_121kernelPointwiseApply2IZNS_6native9templates4cuda28bernoulli_tensor_cuda_kernelIlfEEvRKNS_10TensorBaseES9_NS_15PhiloxCudaStateEEUliRlSB_SB_SB_RKfSD_SD_SD_E_lSC_jLi2ELi2ELi4ELi512ELi2EEEvNS0_6detail10TensorInfoIT0_T2_EENSG_IT1_SI_EESI_T_: ; @_ZN2at4cuda12_GLOBAL__N_121kernelPointwiseApply2IZNS_6native9templates4cuda28bernoulli_tensor_cuda_kernelIlfEEvRKNS_10TensorBaseES9_NS_15PhiloxCudaStateEEUliRlSB_SB_SB_RKfSD_SD_SD_E_lSC_jLi2ELi2ELi4ELi512ELi2EEEvNS0_6detail10TensorInfoIT0_T2_EENSG_IT1_SI_EESI_T_
; %bb.0:
	s_clause 0x1
	s_load_b32 s2, s[0:1], 0x1e4
	s_load_b32 s16, s[0:1], 0x1b0
	s_add_u32 s4, s0, 0x1d8
	s_addc_u32 s5, s1, 0
	s_waitcnt lgkmcnt(0)
	s_and_b32 s22, s2, 0xffff
	s_mov_b32 s2, exec_lo
	v_mad_u64_u32 v[1:2], null, s15, s22, v[0:1]
	s_delay_alu instid0(VALU_DEP_1) | instskip(NEXT) | instid1(VALU_DEP_1)
	v_lshlrev_b32_e32 v0, 2, v1
	v_cmpx_gt_u32_e64 s16, v0
	s_cbranch_execz .LBB48_67
; %bb.1:
	s_clause 0x6
	s_load_b32 s17, s[0:1], 0xc
	s_load_b32 s18, s[0:1], 0xe4
	s_load_b64 s[2:3], s[0:1], 0x6c
	s_load_b64 s[8:9], s[0:1], 0xd8
	s_load_b64 s[10:11], s[0:1], 0x144
	s_load_b32 s6, s[0:1], 0x1d0
	s_load_b64 s[12:13], s[0:1], 0x0
	s_load_b32 s23, s[4:5], 0x0
	v_sub_nc_u32_e32 v32, s16, v0
	s_mov_b32 s24, 0
                                        ; implicit-def: $sgpr25
                                        ; implicit-def: $sgpr27
                                        ; implicit-def: $sgpr26
                                        ; implicit-def: $sgpr28
                                        ; implicit-def: $sgpr30
                                        ; implicit-def: $sgpr29
                                        ; implicit-def: $sgpr31
	s_waitcnt lgkmcnt(0)
	v_cvt_f32_u32_e32 v2, s17
	v_cvt_f32_u32_e32 v3, s18
	s_delay_alu instid0(VALU_DEP_2) | instskip(NEXT) | instid1(VALU_DEP_1)
	v_rcp_iflag_f32_e32 v2, v2
	v_rcp_iflag_f32_e32 v3, v3
	s_bitcmp1_b32 s6, 0
	s_clause 0x1
	s_load_b64 s[14:15], s[0:1], 0x1c8
	s_load_b128 s[4:7], s[0:1], 0x1b8
	s_cselect_b32 s19, -1, 0
	s_sub_i32 s20, 0, s17
	s_sub_i32 s21, 0, s18
	s_mul_i32 s23, s23, s22
	s_mov_b32 s22, 0
	s_lshl_b32 s23, s23, 2
	s_waitcnt_depctr 0xfff
	v_dual_mul_f32 v2, 0x4f7ffffe, v2 :: v_dual_mul_f32 v3, 0x4f7ffffe, v3
                                        ; implicit-def: $sgpr1
	s_delay_alu instid0(VALU_DEP_1) | instskip(NEXT) | instid1(VALU_DEP_2)
	v_cvt_u32_f32_e32 v5, v2
	v_cvt_u32_f32_e32 v6, v3
	v_mad_u64_u32 v[2:3], null, 0xcd9e8d57, v1, 0
	s_delay_alu instid0(VALU_DEP_3) | instskip(NEXT) | instid1(VALU_DEP_3)
	v_mul_lo_u32 v4, s20, v5
	v_mul_lo_u32 v7, s21, v6
	s_delay_alu instid0(VALU_DEP_3) | instskip(NEXT) | instid1(VALU_DEP_3)
	v_mov_b32_e32 v29, v3
	v_mul_hi_u32 v8, v5, v4
	s_delay_alu instid0(VALU_DEP_3) | instskip(SKIP_1) | instid1(VALU_DEP_3)
	v_mul_hi_u32 v7, v6, v7
	v_mov_b32_e32 v4, 0
	v_add_nc_u32_e32 v30, v5, v8
	s_delay_alu instid0(VALU_DEP_3)
	v_add_nc_u32_e32 v31, v6, v7
	s_branch .LBB48_3
.LBB48_2:                               ;   in Loop: Header=BB48_3 Depth=1
	s_or_b32 exec_lo, exec_lo, s33
	s_delay_alu instid0(SALU_CYCLE_1) | instskip(NEXT) | instid1(SALU_CYCLE_1)
	s_and_b32 s0, exec_lo, s0
	s_or_b32 s24, s0, s24
	s_and_not1_b32 s0, s1, exec_lo
	s_and_b32 s1, s31, exec_lo
	s_and_not1_b32 s26, s26, exec_lo
	s_and_b32 s33, s29, exec_lo
	s_or_b32 s1, s0, s1
	s_or_b32 s26, s26, s33
	s_and_not1_b32 s0, s27, exec_lo
	s_and_b32 s27, s30, exec_lo
	s_and_not1_b32 s25, s25, exec_lo
	s_and_b32 s33, s28, exec_lo
	s_or_b32 s27, s0, s27
	s_or_b32 s25, s25, s33
	s_and_not1_b32 exec_lo, exec_lo, s24
	s_cbranch_execz .LBB48_55
.LBB48_3:                               ; =>This Inner Loop Header: Depth=1
	v_cmp_lt_i32_e32 vcc_lo, 0, v32
	v_mov_b32_e32 v5, 0
	s_and_saveexec_b32 s33, vcc_lo
	s_cbranch_execz .LBB48_5
; %bb.4:                                ;   in Loop: Header=BB48_3 Depth=1
	v_mul_hi_u32 v3, v30, v0
	s_delay_alu instid0(VALU_DEP_1) | instskip(SKIP_2) | instid1(VALU_DEP_3)
	v_not_b32_e32 v8, v3
	v_mad_u64_u32 v[5:6], null, s20, v3, v[0:1]
	v_add_nc_u32_e32 v9, 1, v3
	v_mad_u64_u32 v[6:7], null, s17, v8, v[0:1]
	s_delay_alu instid0(VALU_DEP_3) | instskip(NEXT) | instid1(VALU_DEP_1)
	v_cmp_le_u32_e64 s0, s17, v5
	v_cndmask_b32_e64 v3, v3, v9, s0
	s_delay_alu instid0(VALU_DEP_3) | instskip(NEXT) | instid1(VALU_DEP_2)
	v_cndmask_b32_e64 v5, v5, v6, s0
	v_add_nc_u32_e32 v6, 1, v3
	s_delay_alu instid0(VALU_DEP_2) | instskip(NEXT) | instid1(VALU_DEP_1)
	v_cmp_le_u32_e64 s0, s17, v5
	v_cndmask_b32_e64 v7, v3, v6, s0
	s_delay_alu instid0(VALU_DEP_1) | instskip(NEXT) | instid1(VALU_DEP_1)
	v_mad_u64_u32 v[5:6], null, s20, v7, v[0:1]
	v_mul_lo_u32 v3, v5, s3
	s_delay_alu instid0(VALU_DEP_1)
	v_mad_u64_u32 v[5:6], null, v7, s2, v[3:4]
.LBB48_5:                               ;   in Loop: Header=BB48_3 Depth=1
	s_or_b32 exec_lo, exec_lo, s33
	v_mov_b32_e32 v3, 0
	s_and_saveexec_b32 s0, vcc_lo
	s_cbranch_execz .LBB48_7
; %bb.6:                                ;   in Loop: Header=BB48_3 Depth=1
	v_mul_hi_u32 v3, v31, v0
	s_delay_alu instid0(VALU_DEP_1) | instskip(SKIP_2) | instid1(VALU_DEP_3)
	v_not_b32_e32 v9, v3
	v_mad_u64_u32 v[6:7], null, s21, v3, v[0:1]
	v_add_nc_u32_e32 v10, 1, v3
	v_mad_u64_u32 v[7:8], null, s18, v9, v[0:1]
	s_delay_alu instid0(VALU_DEP_3) | instskip(NEXT) | instid1(VALU_DEP_2)
	v_cmp_le_u32_e32 vcc_lo, s18, v6
	v_dual_cndmask_b32 v3, v3, v10 :: v_dual_cndmask_b32 v6, v6, v7
	s_delay_alu instid0(VALU_DEP_1) | instskip(NEXT) | instid1(VALU_DEP_2)
	v_add_nc_u32_e32 v7, 1, v3
	v_cmp_le_u32_e32 vcc_lo, s18, v6
	s_delay_alu instid0(VALU_DEP_2) | instskip(NEXT) | instid1(VALU_DEP_1)
	v_cndmask_b32_e32 v8, v3, v7, vcc_lo
	v_mad_u64_u32 v[6:7], null, s21, v8, v[0:1]
	s_delay_alu instid0(VALU_DEP_1) | instskip(NEXT) | instid1(VALU_DEP_1)
	v_mul_lo_u32 v3, v6, s11
	v_mad_u64_u32 v[6:7], null, v8, s10, v[3:4]
	s_delay_alu instid0(VALU_DEP_1)
	v_mov_b32_e32 v3, v6
.LBB48_7:                               ;   in Loop: Header=BB48_3 Depth=1
	s_or_b32 exec_lo, exec_lo, s0
	v_mov_b32_e32 v12, 0
	v_dual_mov_b32 v13, 0 :: v_dual_add_nc_u32 v8, 1, v0
	v_cmp_lt_i32_e32 vcc_lo, 1, v32
	s_delay_alu instid0(VALU_DEP_2)
	v_dual_mov_b32 v6, v12 :: v_dual_mov_b32 v7, v13
	s_and_saveexec_b32 s33, vcc_lo
	s_cbranch_execz .LBB48_9
; %bb.8:                                ;   in Loop: Header=BB48_3 Depth=1
	v_mul_hi_u32 v6, v8, v30
	s_delay_alu instid0(VALU_DEP_1) | instskip(SKIP_1) | instid1(VALU_DEP_2)
	v_mul_lo_u32 v7, v6, s17
	v_add_nc_u32_e32 v9, 1, v6
	v_sub_nc_u32_e32 v7, v8, v7
	s_delay_alu instid0(VALU_DEP_1) | instskip(SKIP_1) | instid1(VALU_DEP_1)
	v_subrev_nc_u32_e32 v10, s17, v7
	v_cmp_le_u32_e64 s0, s17, v7
	v_cndmask_b32_e64 v6, v6, v9, s0
	s_delay_alu instid0(VALU_DEP_3) | instskip(NEXT) | instid1(VALU_DEP_2)
	v_cndmask_b32_e64 v7, v7, v10, s0
	v_add_nc_u32_e32 v9, 1, v6
	s_delay_alu instid0(VALU_DEP_2) | instskip(NEXT) | instid1(VALU_DEP_1)
	v_cmp_le_u32_e64 s0, s17, v7
	v_cndmask_b32_e64 v10, v6, v9, s0
	s_delay_alu instid0(VALU_DEP_1) | instskip(NEXT) | instid1(VALU_DEP_1)
	v_mul_lo_u32 v6, v10, s17
	v_sub_nc_u32_e32 v6, v8, v6
	s_delay_alu instid0(VALU_DEP_1) | instskip(NEXT) | instid1(VALU_DEP_1)
	v_mul_lo_u32 v9, v6, s3
	v_mad_u64_u32 v[6:7], null, v10, s2, v[9:10]
	v_mov_b32_e32 v7, v4
.LBB48_9:                               ;   in Loop: Header=BB48_3 Depth=1
	s_or_b32 exec_lo, exec_lo, s33
	s_and_saveexec_b32 s0, vcc_lo
	s_cbranch_execz .LBB48_11
; %bb.10:                               ;   in Loop: Header=BB48_3 Depth=1
	v_mul_hi_u32 v9, v8, v31
	s_delay_alu instid0(VALU_DEP_1) | instskip(NEXT) | instid1(VALU_DEP_1)
	v_mul_lo_u32 v10, v9, s18
	v_sub_nc_u32_e32 v10, v8, v10
	s_delay_alu instid0(VALU_DEP_1) | instskip(SKIP_1) | instid1(VALU_DEP_2)
	v_subrev_nc_u32_e32 v12, s18, v10
	v_cmp_le_u32_e32 vcc_lo, s18, v10
	v_dual_cndmask_b32 v10, v10, v12 :: v_dual_add_nc_u32 v11, 1, v9
	s_delay_alu instid0(VALU_DEP_1) | instskip(NEXT) | instid1(VALU_DEP_2)
	v_cndmask_b32_e32 v9, v9, v11, vcc_lo
	v_cmp_le_u32_e32 vcc_lo, s18, v10
	s_delay_alu instid0(VALU_DEP_2) | instskip(NEXT) | instid1(VALU_DEP_1)
	v_add_nc_u32_e32 v11, 1, v9
	v_cndmask_b32_e32 v9, v9, v11, vcc_lo
	s_delay_alu instid0(VALU_DEP_1) | instskip(NEXT) | instid1(VALU_DEP_1)
	v_mul_lo_u32 v10, v9, s18
	v_sub_nc_u32_e32 v8, v8, v10
	s_delay_alu instid0(VALU_DEP_1) | instskip(NEXT) | instid1(VALU_DEP_1)
	v_mul_lo_u32 v8, v8, s11
	v_mad_u64_u32 v[12:13], null, v9, s10, v[8:9]
	v_mov_b32_e32 v13, v4
.LBB48_11:                              ;   in Loop: Header=BB48_3 Depth=1
	s_or_b32 exec_lo, exec_lo, s0
	v_mov_b32_e32 v14, 0
	v_dual_mov_b32 v15, 0 :: v_dual_add_nc_u32 v10, 2, v0
	v_cmp_lt_i32_e32 vcc_lo, 2, v32
	s_delay_alu instid0(VALU_DEP_2)
	v_dual_mov_b32 v8, v14 :: v_dual_mov_b32 v9, v15
	s_and_saveexec_b32 s33, vcc_lo
	s_cbranch_execz .LBB48_13
; %bb.12:                               ;   in Loop: Header=BB48_3 Depth=1
	v_mul_hi_u32 v8, v10, v30
	s_delay_alu instid0(VALU_DEP_1) | instskip(SKIP_1) | instid1(VALU_DEP_2)
	v_mul_lo_u32 v9, v8, s17
	v_add_nc_u32_e32 v11, 1, v8
	v_sub_nc_u32_e32 v9, v10, v9
	s_delay_alu instid0(VALU_DEP_1) | instskip(SKIP_1) | instid1(VALU_DEP_1)
	v_subrev_nc_u32_e32 v16, s17, v9
	v_cmp_le_u32_e64 s0, s17, v9
	v_cndmask_b32_e64 v8, v8, v11, s0
	s_delay_alu instid0(VALU_DEP_3) | instskip(NEXT) | instid1(VALU_DEP_2)
	v_cndmask_b32_e64 v9, v9, v16, s0
	v_add_nc_u32_e32 v11, 1, v8
	s_delay_alu instid0(VALU_DEP_2) | instskip(NEXT) | instid1(VALU_DEP_1)
	v_cmp_le_u32_e64 s0, s17, v9
	v_cndmask_b32_e64 v16, v8, v11, s0
	s_delay_alu instid0(VALU_DEP_1) | instskip(NEXT) | instid1(VALU_DEP_1)
	v_mul_lo_u32 v8, v16, s17
	v_sub_nc_u32_e32 v8, v10, v8
	s_delay_alu instid0(VALU_DEP_1) | instskip(NEXT) | instid1(VALU_DEP_1)
	v_mul_lo_u32 v11, v8, s3
	v_mad_u64_u32 v[8:9], null, v16, s2, v[11:12]
	v_mov_b32_e32 v9, v4
.LBB48_13:                              ;   in Loop: Header=BB48_3 Depth=1
	s_or_b32 exec_lo, exec_lo, s33
	s_and_saveexec_b32 s0, vcc_lo
	s_cbranch_execz .LBB48_15
; %bb.14:                               ;   in Loop: Header=BB48_3 Depth=1
	v_mul_hi_u32 v11, v10, v31
	s_delay_alu instid0(VALU_DEP_1) | instskip(NEXT) | instid1(VALU_DEP_1)
	v_mul_lo_u32 v14, v11, s18
	v_sub_nc_u32_e32 v14, v10, v14
	s_delay_alu instid0(VALU_DEP_1) | instskip(SKIP_1) | instid1(VALU_DEP_2)
	v_subrev_nc_u32_e32 v16, s18, v14
	v_cmp_le_u32_e32 vcc_lo, s18, v14
	v_dual_cndmask_b32 v14, v14, v16 :: v_dual_add_nc_u32 v15, 1, v11
	s_delay_alu instid0(VALU_DEP_1) | instskip(NEXT) | instid1(VALU_DEP_2)
	v_cndmask_b32_e32 v11, v11, v15, vcc_lo
	v_cmp_le_u32_e32 vcc_lo, s18, v14
	s_delay_alu instid0(VALU_DEP_2) | instskip(NEXT) | instid1(VALU_DEP_1)
	v_add_nc_u32_e32 v15, 1, v11
	v_cndmask_b32_e32 v11, v11, v15, vcc_lo
	s_delay_alu instid0(VALU_DEP_1) | instskip(NEXT) | instid1(VALU_DEP_1)
	v_mul_lo_u32 v14, v11, s18
	v_sub_nc_u32_e32 v10, v10, v14
	s_delay_alu instid0(VALU_DEP_1) | instskip(NEXT) | instid1(VALU_DEP_1)
	v_mul_lo_u32 v10, v10, s11
	v_mad_u64_u32 v[14:15], null, v11, s10, v[10:11]
	v_mov_b32_e32 v15, v4
.LBB48_15:                              ;   in Loop: Header=BB48_3 Depth=1
	s_or_b32 exec_lo, exec_lo, s0
	v_mov_b32_e32 v16, 0
	v_dual_mov_b32 v17, 0 :: v_dual_add_nc_u32 v18, 3, v0
	v_cmp_lt_i32_e32 vcc_lo, 3, v32
	s_delay_alu instid0(VALU_DEP_2)
	v_dual_mov_b32 v10, v16 :: v_dual_mov_b32 v11, v17
	s_and_saveexec_b32 s33, vcc_lo
	s_cbranch_execz .LBB48_17
; %bb.16:                               ;   in Loop: Header=BB48_3 Depth=1
	v_mul_hi_u32 v10, v18, v30
	s_delay_alu instid0(VALU_DEP_1) | instskip(SKIP_1) | instid1(VALU_DEP_2)
	v_mul_lo_u32 v11, v10, s17
	v_add_nc_u32_e32 v19, 1, v10
	v_sub_nc_u32_e32 v11, v18, v11
	s_delay_alu instid0(VALU_DEP_1) | instskip(SKIP_1) | instid1(VALU_DEP_1)
	v_subrev_nc_u32_e32 v20, s17, v11
	v_cmp_le_u32_e64 s0, s17, v11
	v_cndmask_b32_e64 v10, v10, v19, s0
	s_delay_alu instid0(VALU_DEP_3) | instskip(NEXT) | instid1(VALU_DEP_2)
	v_cndmask_b32_e64 v11, v11, v20, s0
	v_add_nc_u32_e32 v19, 1, v10
	s_delay_alu instid0(VALU_DEP_2) | instskip(NEXT) | instid1(VALU_DEP_1)
	v_cmp_le_u32_e64 s0, s17, v11
	v_cndmask_b32_e64 v20, v10, v19, s0
	s_delay_alu instid0(VALU_DEP_1) | instskip(NEXT) | instid1(VALU_DEP_1)
	v_mul_lo_u32 v10, v20, s17
	v_sub_nc_u32_e32 v10, v18, v10
	s_delay_alu instid0(VALU_DEP_1) | instskip(NEXT) | instid1(VALU_DEP_1)
	v_mul_lo_u32 v19, v10, s3
	v_mad_u64_u32 v[10:11], null, v20, s2, v[19:20]
	v_mov_b32_e32 v11, v4
.LBB48_17:                              ;   in Loop: Header=BB48_3 Depth=1
	s_or_b32 exec_lo, exec_lo, s33
	s_and_saveexec_b32 s0, vcc_lo
	s_cbranch_execz .LBB48_19
; %bb.18:                               ;   in Loop: Header=BB48_3 Depth=1
	v_mul_hi_u32 v16, v18, v31
	s_delay_alu instid0(VALU_DEP_1) | instskip(SKIP_1) | instid1(VALU_DEP_2)
	v_mul_lo_u32 v17, v16, s18
	v_add_nc_u32_e32 v19, 1, v16
	v_sub_nc_u32_e32 v17, v18, v17
	s_delay_alu instid0(VALU_DEP_1) | instskip(SKIP_1) | instid1(VALU_DEP_2)
	v_subrev_nc_u32_e32 v20, s18, v17
	v_cmp_le_u32_e32 vcc_lo, s18, v17
	v_dual_cndmask_b32 v16, v16, v19 :: v_dual_cndmask_b32 v17, v17, v20
	s_delay_alu instid0(VALU_DEP_1) | instskip(NEXT) | instid1(VALU_DEP_2)
	v_add_nc_u32_e32 v19, 1, v16
	v_cmp_le_u32_e32 vcc_lo, s18, v17
	s_delay_alu instid0(VALU_DEP_2) | instskip(NEXT) | instid1(VALU_DEP_1)
	v_cndmask_b32_e32 v19, v16, v19, vcc_lo
	v_mul_lo_u32 v16, v19, s18
	s_delay_alu instid0(VALU_DEP_1) | instskip(NEXT) | instid1(VALU_DEP_1)
	v_sub_nc_u32_e32 v16, v18, v16
	v_mul_lo_u32 v18, v16, s11
	s_delay_alu instid0(VALU_DEP_1)
	v_mad_u64_u32 v[16:17], null, v19, s10, v[18:19]
	v_mov_b32_e32 v17, v4
.LBB48_19:                              ;   in Loop: Header=BB48_3 Depth=1
	s_or_b32 exec_lo, exec_lo, s0
	v_lshlrev_b64 v[18:19], 2, v[3:4]
	v_lshlrev_b64 v[12:13], 2, v[12:13]
	;; [unrolled: 1-line block ×4, first 2 shown]
	s_delay_alu instid0(VALU_DEP_4)
	v_add_co_u32 v18, vcc_lo, s8, v18
	v_add_co_ci_u32_e32 v19, vcc_lo, s9, v19, vcc_lo
	v_add_co_u32 v12, vcc_lo, s8, v12
	v_add_co_ci_u32_e32 v13, vcc_lo, s9, v13, vcc_lo
	;; [unrolled: 2-line block ×4, first 2 shown]
	s_clause 0x3
	global_load_b32 v3, v[18:19], off
	global_load_b32 v33, v[12:13], off
	global_load_b32 v34, v[14:15], off
	global_load_b32 v35, v[16:17], off
	s_waitcnt lgkmcnt(0)
	v_dual_mov_b32 v17, s7 :: v_dual_mov_b32 v16, s6
	v_dual_mov_b32 v19, s5 :: v_dual_mov_b32 v18, s4
	s_and_not1_b32 vcc_lo, exec_lo, s19
	s_cbranch_vccnz .LBB48_21
; %bb.20:                               ;   in Loop: Header=BB48_3 Depth=1
	v_dual_mov_b32 v13, s7 :: v_dual_mov_b32 v12, s6
	v_dual_mov_b32 v15, s5 :: v_dual_mov_b32 v14, s4
	flat_load_b64 v[12:13], v[12:13]
	flat_load_b64 v[18:19], v[14:15]
	s_waitcnt vmcnt(1) lgkmcnt(1)
	v_add_co_u32 v16, vcc_lo, v12, s14
	v_add_co_ci_u32_e32 v17, vcc_lo, s15, v13, vcc_lo
.LBB48_21:                              ;   in Loop: Header=BB48_3 Depth=1
	s_delay_alu instid0(VALU_DEP_1)
	v_alignbit_b32 v15, v17, v16, 2
	v_lshrrev_b32_e32 v14, 2, v17
	s_waitcnt vmcnt(0) lgkmcnt(0)
	v_add_nc_u32_e32 v36, 0x9e3779b9, v18
	v_add_nc_u32_e32 v38, 0x76cf5d0a, v19
	;; [unrolled: 1-line block ×3, first 2 shown]
	v_add_co_u32 v17, vcc_lo, v15, 1
	s_delay_alu instid0(VALU_DEP_1) | instskip(SKIP_4) | instid1(VALU_DEP_4)
	v_cndmask_b32_e64 v12, 0, 1, vcc_lo
	v_add_co_ci_u32_e32 v26, vcc_lo, 0, v14, vcc_lo
	v_xor3_b32 v22, v29, v18, v14
	v_add_nc_u32_e32 v40, 0x32370b8f, v19
	v_add_nc_u32_e32 v41, 0xed9eba14, v19
	v_cmp_eq_u32_e32 vcc_lo, 0, v26
	v_add_nc_u32_e32 v42, 0x1715609d, v18
	v_add_nc_u32_e32 v43, 0xa9066899, v19
	s_mov_b32 s0, exec_lo
	v_dual_cndmask_b32 v20, 0, v12 :: v_dual_add_nc_u32 v37, 0xbb67ae85, v19
	v_mad_u64_u32 v[12:13], null, 0xd2511f53, v17, 0
	s_delay_alu instid0(VALU_DEP_2) | instskip(NEXT) | instid1(VALU_DEP_2)
	v_add_nc_u32_e32 v17, v20, v1
	v_xor_b32_e32 v21, v13, v19
	s_delay_alu instid0(VALU_DEP_2) | instskip(SKIP_2) | instid1(VALU_DEP_1)
	v_cmp_eq_u32_e32 vcc_lo, 0, v17
	v_mad_u64_u32 v[13:14], null, 0xd2511f53, v15, 0
	v_cndmask_b32_e32 v20, 0, v20, vcc_lo
	v_xor_b32_e32 v15, v20, v21
	v_mad_u64_u32 v[20:21], null, 0xd2511f53, v22, 0
	v_mad_u64_u32 v[22:23], null, 0xcd9e8d57, v17, 0
	s_delay_alu instid0(VALU_DEP_3) | instskip(SKIP_3) | instid1(VALU_DEP_3)
	v_mad_u64_u32 v[24:25], null, 0xcd9e8d57, v15, 0
	v_xor_b32_e32 v15, v14, v19
	v_add_nc_u32_e32 v17, 0x3c6ef372, v18
	v_xor3_b32 v27, v37, v21, v13
	v_mad_u64_u32 v[13:14], null, 0xcd9e8d57, v15, 0
	v_xor3_b32 v15, v23, v18, v26
	v_xor3_b32 v23, v36, v25, v22
	s_delay_alu instid0(VALU_DEP_4) | instskip(NEXT) | instid1(VALU_DEP_3)
	v_mad_u64_u32 v[21:22], null, 0xcd9e8d57, v27, 0
	v_mad_u64_u32 v[25:26], null, 0xd2511f53, v15, 0
	s_delay_alu instid0(VALU_DEP_3) | instskip(SKIP_1) | instid1(VALU_DEP_4)
	v_mad_u64_u32 v[27:28], null, 0xd2511f53, v23, 0
	v_xor3_b32 v15, v2, v14, v36
	v_xor3_b32 v36, v17, v22, v13
	s_delay_alu instid0(VALU_DEP_4) | instskip(NEXT) | instid1(VALU_DEP_3)
	v_xor3_b32 v12, v37, v26, v12
	v_mad_u64_u32 v[13:14], null, 0xd2511f53, v15, 0
	v_xor3_b32 v15, v38, v28, v25
	s_delay_alu instid0(VALU_DEP_4) | instskip(NEXT) | instid1(VALU_DEP_4)
	v_mad_u64_u32 v[22:23], null, 0xd2511f53, v36, 0
	v_mad_u64_u32 v[25:26], null, 0xcd9e8d57, v12, 0
	s_delay_alu instid0(VALU_DEP_3) | instskip(SKIP_4) | instid1(VALU_DEP_4)
	v_mad_u64_u32 v[36:37], null, 0xcd9e8d57, v15, 0
	v_xor3_b32 v14, v38, v14, v20
	v_add_nc_u32_e32 v28, 0x78dde6e4, v18
	v_xor3_b32 v20, v40, v23, v13
	v_xor3_b32 v17, v17, v26, v24
	v_mad_u64_u32 v[12:13], null, 0xcd9e8d57, v14, 0
	v_xor3_b32 v37, v39, v37, v25
	s_delay_alu instid0(VALU_DEP_4) | instskip(NEXT) | instid1(VALU_DEP_4)
	v_mad_u64_u32 v[14:15], null, 0xcd9e8d57, v20, 0
	v_mad_u64_u32 v[23:24], null, 0xd2511f53, v17, 0
	s_delay_alu instid0(VALU_DEP_3) | instskip(SKIP_1) | instid1(VALU_DEP_4)
	v_mad_u64_u32 v[25:26], null, 0xd2511f53, v37, 0
	v_xor3_b32 v17, v39, v13, v21
	v_xor3_b32 v15, v28, v15, v12
	s_delay_alu instid0(VALU_DEP_2) | instskip(SKIP_2) | instid1(VALU_DEP_4)
	v_mad_u64_u32 v[12:13], null, 0xd2511f53, v17, 0
	v_xor3_b32 v17, v40, v24, v27
	v_xor3_b32 v23, v41, v26, v23
	v_mad_u64_u32 v[26:27], null, 0xd2511f53, v15, 0
	s_delay_alu instid0(VALU_DEP_3) | instskip(NEXT) | instid1(VALU_DEP_3)
	v_mad_u64_u32 v[20:21], null, 0xcd9e8d57, v17, 0
	v_mad_u64_u32 v[37:38], null, 0xcd9e8d57, v23, 0
	v_xor3_b32 v15, v41, v13, v22
	s_delay_alu instid0(VALU_DEP_4) | instskip(SKIP_2) | instid1(VALU_DEP_4)
	v_xor3_b32 v23, v43, v27, v12
	v_add_nc_u32_e32 v17, 0xb54cda56, v18
	v_add_nc_u32_e32 v22, 0x646e171e, v19
	v_mad_u64_u32 v[12:13], null, 0xcd9e8d57, v15, 0
	v_xor3_b32 v15, v28, v21, v36
	v_xor3_b32 v24, v42, v38, v20
	v_mad_u64_u32 v[38:39], null, 0xcd9e8d57, v23, 0
	v_add_nc_u32_e32 v28, 0x5384540f, v18
	s_delay_alu instid0(VALU_DEP_4) | instskip(NEXT) | instid1(VALU_DEP_4)
	v_mad_u64_u32 v[20:21], null, 0xd2511f53, v15, 0
	v_mad_u64_u32 v[40:41], null, 0xd2511f53, v24, 0
	v_xor3_b32 v14, v42, v13, v14
	v_xor3_b32 v15, v17, v39, v12
	v_add_nc_u32_e32 v42, 0x1fd5c5a3, v19
	v_add_co_u32 v36, null, 0xf1bbcdc8, v18
	v_xor3_b32 v23, v43, v21, v25
	v_xor3_b32 v25, v22, v41, v20
	v_mad_u64_u32 v[12:13], null, 0xd2511f53, v14, 0
	v_mad_u64_u32 v[20:21], null, 0xd2511f53, v15, 0
	s_delay_alu instid0(VALU_DEP_4) | instskip(NEXT) | instid1(VALU_DEP_4)
	v_mad_u64_u32 v[14:15], null, 0xcd9e8d57, v23, 0
	v_mad_u64_u32 v[23:24], null, 0xcd9e8d57, v25, 0
	s_delay_alu instid0(VALU_DEP_4) | instskip(NEXT) | instid1(VALU_DEP_4)
	v_xor3_b32 v22, v22, v13, v26
	v_xor3_b32 v25, v42, v21, v12
	s_delay_alu instid0(VALU_DEP_4) | instskip(NEXT) | instid1(VALU_DEP_3)
	v_xor3_b32 v17, v17, v15, v37
	v_mad_u64_u32 v[12:13], null, 0xcd9e8d57, v22, 0
	v_xor3_b32 v24, v28, v24, v14
	s_delay_alu instid0(VALU_DEP_4) | instskip(NEXT) | instid1(VALU_DEP_4)
	v_mad_u64_u32 v[21:22], null, 0xcd9e8d57, v25, 0
	v_mad_u64_u32 v[14:15], null, 0xd2511f53, v17, 0
	s_delay_alu instid0(VALU_DEP_3)
	v_mad_u64_u32 v[26:27], null, 0xd2511f53, v24, 0
	v_add_nc_u32_e32 v37, 0xdb3d7428, v19
	v_xor3_b32 v13, v28, v13, v38
	v_xor3_b32 v17, v36, v22, v12
	v_add_nc_u32_e32 v38, 0x96a522ad, v19
	v_xor3_b32 v15, v42, v15, v40
	v_and_b32_e32 v19, 3, v16
	v_xor3_b32 v22, v37, v27, v14
	v_mad_u64_u32 v[24:25], null, 0xd2511f53, v13, 0
	v_mad_u64_u32 v[12:13], null, 0xd2511f53, v17, 0
	;; [unrolled: 1-line block ×3, first 2 shown]
	s_delay_alu instid0(VALU_DEP_4) | instskip(SKIP_1) | instid1(VALU_DEP_4)
	v_mad_u64_u32 v[14:15], null, 0xcd9e8d57, v22, 0
	v_add_nc_u32_e32 v22, 0x8ff34781, v18
                                        ; implicit-def: $vgpr17
	v_xor3_b32 v18, v13, v24, v38
	s_delay_alu instid0(VALU_DEP_2)
	v_xor3_b32 v13, v15, v27, v22
	v_cmpx_lt_i32_e32 1, v19
	s_xor_b32 s0, exec_lo, s0
	s_cbranch_execz .LBB48_27
; %bb.22:                               ;   in Loop: Header=BB48_3 Depth=1
	s_mov_b32 s33, exec_lo
                                        ; implicit-def: $vgpr17
	v_cmpx_lt_i32_e32 2, v19
	s_xor_b32 s33, exec_lo, s33
; %bb.23:                               ;   in Loop: Header=BB48_3 Depth=1
	v_xor3_b32 v15, v36, v28, v23
                                        ; implicit-def: $vgpr18
	s_delay_alu instid0(VALU_DEP_1) | instskip(NEXT) | instid1(VALU_DEP_1)
	v_mul_hi_u32 v15, 0xd2511f53, v15
	v_xor3_b32 v17, v15, v26, v38
; %bb.24:                               ;   in Loop: Header=BB48_3 Depth=1
	s_and_not1_saveexec_b32 s33, s33
; %bb.25:                               ;   in Loop: Header=BB48_3 Depth=1
	v_dual_mov_b32 v17, v14 :: v_dual_mov_b32 v14, v13
	v_dual_mov_b32 v13, v12 :: v_dual_mov_b32 v12, v18
; %bb.26:                               ;   in Loop: Header=BB48_3 Depth=1
	s_or_b32 exec_lo, exec_lo, s33
                                        ; implicit-def: $vgpr20_vgpr21
                                        ; implicit-def: $vgpr19
                                        ; implicit-def: $vgpr18
                                        ; implicit-def: $vgpr37
                                        ; implicit-def: $vgpr24_vgpr25
                                        ; implicit-def: $vgpr21_vgpr22
                                        ; implicit-def: $vgpr22
.LBB48_27:                              ;   in Loop: Header=BB48_3 Depth=1
	s_and_not1_saveexec_b32 s0, s0
	s_cbranch_execz .LBB48_31
; %bb.28:                               ;   in Loop: Header=BB48_3 Depth=1
	v_xor3_b32 v14, v37, v25, v20
	v_cmp_eq_u32_e32 vcc_lo, 1, v19
	v_mov_b32_e32 v17, v12
	s_delay_alu instid0(VALU_DEP_3) | instskip(SKIP_1) | instid1(VALU_DEP_2)
	v_mad_u64_u32 v[15:16], null, 0xcd9e8d57, v14, 0
	v_mov_b32_e32 v14, v18
	v_xor3_b32 v19, v16, v21, v22
	s_delay_alu instid0(VALU_DEP_3)
	v_mov_b32_e32 v16, v15
	s_and_saveexec_b32 s33, vcc_lo
; %bb.29:                               ;   in Loop: Header=BB48_3 Depth=1
	v_dual_mov_b32 v17, v13 :: v_dual_mov_b32 v14, v12
	v_dual_mov_b32 v16, v18 :: v_dual_mov_b32 v19, v15
; %bb.30:                               ;   in Loop: Header=BB48_3 Depth=1
	s_or_b32 exec_lo, exec_lo, s33
	s_delay_alu instid0(VALU_DEP_1)
	v_dual_mov_b32 v12, v19 :: v_dual_mov_b32 v13, v16
.LBB48_31:                              ;   in Loop: Header=BB48_3 Depth=1
	s_or_b32 exec_lo, exec_lo, s0
	v_min_i32_e32 v15, 4, v32
	s_mov_b32 s33, 0
	s_mov_b32 s39, 0
                                        ; implicit-def: $sgpr34
                                        ; implicit-def: $sgpr35
                                        ; implicit-def: $sgpr36
	s_mov_b32 s0, exec_lo
	s_delay_alu instid0(VALU_DEP_1)
	v_cmpx_lt_i32_e32 2, v15
	s_xor_b32 s37, exec_lo, s0
	s_cbranch_execz .LBB48_41
; %bb.32:                               ;   in Loop: Header=BB48_3 Depth=1
	s_mov_b32 s36, -1
	s_mov_b32 s35, exec_lo
                                        ; implicit-def: $sgpr34
                                        ; implicit-def: $sgpr38
	v_cmpx_lt_i32_e32 3, v15
	s_cbranch_execz .LBB48_36
; %bb.33:                               ;   in Loop: Header=BB48_3 Depth=1
	v_cmp_le_f32_e32 vcc_lo, 0, v35
	v_cmp_ge_f32_e64 s0, 1.0, v35
	s_mov_b32 s34, 0
	s_delay_alu instid0(VALU_DEP_1)
	s_and_b32 s38, vcc_lo, s0
	s_mov_b32 s0, 0
	s_and_saveexec_b32 s36, s38
	s_cbranch_execz .LBB48_35
; %bb.34:                               ;   in Loop: Header=BB48_3 Depth=1
	v_cvt_f32_u32_e32 v16, v17
	v_lshlrev_b64 v[10:11], 3, v[10:11]
	s_mov_b32 s0, exec_lo
	s_delay_alu instid0(VALU_DEP_2) | instskip(NEXT) | instid1(VALU_DEP_2)
	v_dual_mov_b32 v17, s22 :: v_dual_fmaak_f32 v16, 0x2f800000, v16, 0x2f800000
	v_add_co_u32 v10, vcc_lo, s12, v10
	s_delay_alu instid0(VALU_DEP_3) | instskip(NEXT) | instid1(VALU_DEP_3)
	v_add_co_ci_u32_e32 v11, vcc_lo, s13, v11, vcc_lo
	v_cmp_le_f32_e32 vcc_lo, v16, v35
	v_cndmask_b32_e64 v16, 0, 1, vcc_lo
	global_store_b64 v[10:11], v[16:17], off
.LBB48_35:                              ;   in Loop: Header=BB48_3 Depth=1
	s_or_b32 exec_lo, exec_lo, s36
	s_mov_b32 s38, -1
	s_or_not1_b32 s36, s0, exec_lo
.LBB48_36:                              ;   in Loop: Header=BB48_3 Depth=1
	s_or_b32 exec_lo, exec_lo, s35
	s_mov_b32 s0, 0
	s_mov_b32 s39, s34
	s_and_saveexec_b32 s35, s36
	s_cbranch_execz .LBB48_40
; %bb.37:                               ;   in Loop: Header=BB48_3 Depth=1
	v_cmp_le_f32_e32 vcc_lo, 0, v34
	v_cmp_ge_f32_e64 s0, 1.0, v34
	s_delay_alu instid0(VALU_DEP_1) | instskip(SKIP_2) | instid1(SALU_CYCLE_1)
	s_and_b32 s36, vcc_lo, s0
	s_mov_b32 s0, 0
	s_and_saveexec_b32 s39, s36
	s_xor_b32 s36, exec_lo, s39
	s_cbranch_execz .LBB48_39
; %bb.38:                               ;   in Loop: Header=BB48_3 Depth=1
	v_cvt_f32_u32_e32 v10, v14
	v_lshlrev_b64 v[8:9], 3, v[8:9]
	s_mov_b32 s0, exec_lo
	s_delay_alu instid0(VALU_DEP_2) | instskip(NEXT) | instid1(VALU_DEP_2)
	v_dual_mov_b32 v11, s22 :: v_dual_fmaak_f32 v10, 0x2f800000, v10, 0x2f800000
	v_add_co_u32 v8, vcc_lo, s12, v8
	s_delay_alu instid0(VALU_DEP_3) | instskip(NEXT) | instid1(VALU_DEP_3)
	v_add_co_ci_u32_e32 v9, vcc_lo, s13, v9, vcc_lo
	v_cmp_le_f32_e32 vcc_lo, v10, v34
	v_cndmask_b32_e64 v10, 0, 1, vcc_lo
	global_store_b64 v[8:9], v[10:11], off
.LBB48_39:                              ;   in Loop: Header=BB48_3 Depth=1
	s_or_b32 exec_lo, exec_lo, s36
	s_delay_alu instid0(SALU_CYCLE_1)
	s_and_not1_b32 s39, s34, exec_lo
	s_or_b32 s34, s34, exec_lo
	s_and_not1_b32 s38, s38, exec_lo
	s_and_b32 s0, s0, exec_lo
.LBB48_40:                              ;   in Loop: Header=BB48_3 Depth=1
	s_or_b32 exec_lo, exec_lo, s35
	s_delay_alu instid0(SALU_CYCLE_1)
	s_and_b32 s36, s39, exec_lo
	s_and_b32 s35, s34, exec_lo
	;; [unrolled: 1-line block ×4, first 2 shown]
.LBB48_41:                              ;   in Loop: Header=BB48_3 Depth=1
	s_and_not1_saveexec_b32 s0, s37
; %bb.42:                               ;   in Loop: Header=BB48_3 Depth=1
	v_cmp_lt_i32_e32 vcc_lo, 1, v15
	s_and_not1_b32 s37, s39, exec_lo
	s_mov_b32 s33, exec_lo
	s_and_not1_b32 s36, s36, exec_lo
	s_and_not1_b32 s35, s35, exec_lo
	s_and_b32 s38, vcc_lo, exec_lo
	s_and_not1_b32 s34, s34, exec_lo
	s_or_b32 s39, s37, s38
; %bb.43:                               ;   in Loop: Header=BB48_3 Depth=1
	s_or_b32 exec_lo, exec_lo, s0
	s_mov_b32 s37, 0
	s_mov_b32 s0, 0
	;; [unrolled: 1-line block ×3, first 2 shown]
	s_and_saveexec_b32 s40, s39
	s_cbranch_execnz .LBB48_46
; %bb.44:                               ;   in Loop: Header=BB48_3 Depth=1
	s_or_b32 exec_lo, exec_lo, s40
	s_and_saveexec_b32 s39, s33
	s_cbranch_execnz .LBB48_49
.LBB48_45:                              ;   in Loop: Header=BB48_3 Depth=1
	s_or_b32 exec_lo, exec_lo, s39
	s_and_saveexec_b32 s33, s0
	s_cbranch_execnz .LBB48_50
	s_branch .LBB48_53
.LBB48_46:                              ;   in Loop: Header=BB48_3 Depth=1
	v_cmp_le_f32_e32 vcc_lo, 0, v33
	v_cmp_ge_f32_e64 s0, 1.0, v33
	s_delay_alu instid0(VALU_DEP_1) | instskip(SKIP_2) | instid1(SALU_CYCLE_1)
	s_and_b32 s38, vcc_lo, s0
	s_mov_b32 s0, 0
	s_and_saveexec_b32 s39, s38
	s_xor_b32 s38, exec_lo, s39
	s_cbranch_execz .LBB48_48
; %bb.47:                               ;   in Loop: Header=BB48_3 Depth=1
	v_cvt_f32_u32_e32 v8, v13
	v_lshlrev_b64 v[6:7], 3, v[6:7]
	s_mov_b32 s0, exec_lo
	s_delay_alu instid0(VALU_DEP_2) | instskip(NEXT) | instid1(VALU_DEP_2)
	v_dual_mov_b32 v9, s22 :: v_dual_fmaak_f32 v8, 0x2f800000, v8, 0x2f800000
	v_add_co_u32 v6, vcc_lo, s12, v6
	s_delay_alu instid0(VALU_DEP_3) | instskip(NEXT) | instid1(VALU_DEP_3)
	v_add_co_ci_u32_e32 v7, vcc_lo, s13, v7, vcc_lo
	v_cmp_le_f32_e32 vcc_lo, v8, v33
	v_cndmask_b32_e64 v8, 0, 1, vcc_lo
	global_store_b64 v[6:7], v[8:9], off
.LBB48_48:                              ;   in Loop: Header=BB48_3 Depth=1
	s_or_b32 exec_lo, exec_lo, s38
	s_delay_alu instid0(SALU_CYCLE_1)
	s_and_not1_b32 s38, s36, exec_lo
	s_or_b32 s36, s36, exec_lo
	s_and_not1_b32 s35, s35, exec_lo
	s_and_not1_b32 s34, s34, exec_lo
	s_and_b32 s0, s0, exec_lo
	s_and_not1_b32 s33, s33, exec_lo
	s_or_b32 exec_lo, exec_lo, s40
	s_and_saveexec_b32 s39, s33
	s_cbranch_execz .LBB48_45
.LBB48_49:                              ;   in Loop: Header=BB48_3 Depth=1
	v_cmp_eq_u32_e32 vcc_lo, 1, v15
	s_and_not1_b32 s0, s0, exec_lo
	s_mov_b32 s37, exec_lo
	s_and_not1_b32 s38, s38, exec_lo
	s_and_not1_b32 s36, s36, exec_lo
	s_and_b32 s33, vcc_lo, exec_lo
	s_and_not1_b32 s35, s35, exec_lo
	s_and_not1_b32 s34, s34, exec_lo
	s_or_b32 s0, s0, s33
	s_or_b32 exec_lo, exec_lo, s39
	s_and_saveexec_b32 s33, s0
	s_cbranch_execz .LBB48_53
.LBB48_50:                              ;   in Loop: Header=BB48_3 Depth=1
	v_cmp_le_f32_e32 vcc_lo, 0, v3
	v_cmp_ge_f32_e64 s0, 1.0, v3
	s_delay_alu instid0(VALU_DEP_1)
	s_and_b32 s40, vcc_lo, s0
	s_mov_b32 s0, 0
	s_and_saveexec_b32 s39, s40
	s_cbranch_execz .LBB48_52
; %bb.51:                               ;   in Loop: Header=BB48_3 Depth=1
	v_cvt_f32_u32_e32 v7, v12
	v_mov_b32_e32 v6, v4
	v_mov_b32_e32 v8, s22
	s_mov_b32 s0, exec_lo
	s_delay_alu instid0(VALU_DEP_3) | instskip(NEXT) | instid1(VALU_DEP_3)
	v_fmaak_f32 v7, 0x2f800000, v7, 0x2f800000
	v_lshlrev_b64 v[5:6], 3, v[5:6]
	s_delay_alu instid0(VALU_DEP_2) | instskip(SKIP_1) | instid1(VALU_DEP_3)
	v_cmp_le_f32_e32 vcc_lo, v7, v3
	v_cndmask_b32_e64 v7, 0, 1, vcc_lo
	v_add_co_u32 v5, vcc_lo, s12, v5
	s_delay_alu instid0(VALU_DEP_4)
	v_add_co_ci_u32_e32 v6, vcc_lo, s13, v6, vcc_lo
	global_store_b64 v[5:6], v[7:8], off
.LBB48_52:                              ;   in Loop: Header=BB48_3 Depth=1
	s_or_b32 exec_lo, exec_lo, s39
	s_delay_alu instid0(SALU_CYCLE_1)
	s_and_not1_b32 s37, s37, exec_lo
	s_and_b32 s0, s0, exec_lo
	s_or_b32 s38, s38, exec_lo
	s_and_not1_b32 s36, s36, exec_lo
	s_and_not1_b32 s35, s35, exec_lo
	;; [unrolled: 1-line block ×3, first 2 shown]
	s_or_b32 s37, s37, s0
.LBB48_53:                              ;   in Loop: Header=BB48_3 Depth=1
	s_or_b32 exec_lo, exec_lo, s33
	s_delay_alu instid0(SALU_CYCLE_1)
	s_and_not1_b32 s31, s31, exec_lo
	s_and_b32 s33, s38, exec_lo
	s_and_not1_b32 s29, s29, exec_lo
	s_and_b32 s36, s36, exec_lo
	s_or_b32 s31, s31, s33
	s_and_not1_b32 s30, s30, exec_lo
	s_and_b32 s33, s35, exec_lo
	s_and_not1_b32 s28, s28, exec_lo
	s_and_b32 s34, s34, exec_lo
	s_mov_b32 s0, -1
	s_or_b32 s29, s29, s36
	s_or_b32 s30, s30, s33
	;; [unrolled: 1-line block ×3, first 2 shown]
	s_and_saveexec_b32 s33, s37
	s_cbranch_execz .LBB48_2
; %bb.54:                               ;   in Loop: Header=BB48_3 Depth=1
	v_add_nc_u32_e32 v0, s23, v0
	v_subrev_nc_u32_e32 v32, s23, v32
	s_and_not1_b32 s31, s31, exec_lo
	s_and_not1_b32 s29, s29, exec_lo
	;; [unrolled: 1-line block ×3, first 2 shown]
	v_cmp_le_u32_e32 vcc_lo, s16, v0
	s_and_not1_b32 s28, s28, exec_lo
	s_or_not1_b32 s0, vcc_lo, exec_lo
	s_branch .LBB48_2
.LBB48_55:
	s_or_b32 exec_lo, exec_lo, s24
	s_xor_b32 s4, s26, -1
	s_xor_b32 s5, s27, -1
	;; [unrolled: 1-line block ×3, first 2 shown]
	s_mov_b32 s2, 0
	s_and_saveexec_b32 s3, s0
	s_delay_alu instid0(SALU_CYCLE_1)
	s_xor_b32 s0, exec_lo, s3
	s_cbranch_execz .LBB48_64
; %bb.56:
	s_mov_b32 s3, 0
	s_and_saveexec_b32 s2, s5
	s_delay_alu instid0(SALU_CYCLE_1)
	s_xor_b32 s2, exec_lo, s2
	s_cbranch_execz .LBB48_62
; %bb.57:
	s_and_saveexec_b32 s5, s4
	s_delay_alu instid0(SALU_CYCLE_1)
	s_xor_b32 s4, exec_lo, s5
	s_cbranch_execz .LBB48_60
; %bb.58:
	s_and_saveexec_b32 s5, s1
	s_delay_alu instid0(SALU_CYCLE_1)
	s_xor_b32 s1, exec_lo, s5
	s_cbranch_execnz .LBB48_78
.LBB48_59:
	s_or_b32 exec_lo, exec_lo, s1
	s_delay_alu instid0(SALU_CYCLE_1)
	s_and_b32 s3, s3, exec_lo
.LBB48_60:
	s_and_not1_saveexec_b32 s1, s4
	s_cbranch_execnz .LBB48_74
.LBB48_61:
	s_or_b32 exec_lo, exec_lo, s1
	s_delay_alu instid0(SALU_CYCLE_1)
	s_and_b32 s3, s3, exec_lo
.LBB48_62:
	s_and_not1_saveexec_b32 s1, s2
	s_cbranch_execnz .LBB48_70
.LBB48_63:
	s_or_b32 exec_lo, exec_lo, s1
	s_delay_alu instid0(SALU_CYCLE_1)
	s_and_b32 s2, s3, exec_lo
.LBB48_64:
	s_and_not1_saveexec_b32 s0, s0
	s_cbranch_execnz .LBB48_68
; %bb.65:
	s_or_b32 exec_lo, exec_lo, s0
	s_delay_alu instid0(SALU_CYCLE_1)
	s_and_b32 exec_lo, exec_lo, s2
.LBB48_66:
	; divergent unreachable
.LBB48_67:
	s_nop 0
	s_sendmsg sendmsg(MSG_DEALLOC_VGPRS)
	s_endpgm
.LBB48_68:
	s_cbranch_execnz .LBB48_72
; %bb.69:
	s_or_b32 s2, s2, exec_lo
	s_or_b32 exec_lo, exec_lo, s0
	s_delay_alu instid0(SALU_CYCLE_1)
	s_and_b32 exec_lo, exec_lo, s2
	s_cbranch_execnz .LBB48_66
	s_branch .LBB48_67
.LBB48_70:
	s_cbranch_execnz .LBB48_76
; %bb.71:
	s_or_b32 s3, s3, exec_lo
	s_branch .LBB48_63
.LBB48_72:
	s_trap 2
	s_sendmsg_rtn_b32 s0, sendmsg(MSG_RTN_GET_DOORBELL)
	s_mov_b32 ttmp2, m0
	s_waitcnt lgkmcnt(0)
	s_and_b32 s0, s0, 0x3ff
	s_delay_alu instid0(SALU_CYCLE_1) | instskip(NEXT) | instid1(SALU_CYCLE_1)
	s_bitset1_b32 s0, 10
	s_mov_b32 m0, s0
	s_sendmsg sendmsg(MSG_INTERRUPT)
	s_mov_b32 m0, ttmp2
.LBB48_73:                              ; =>This Inner Loop Header: Depth=1
	s_sethalt 5
	s_branch .LBB48_73
.LBB48_74:
	s_cbranch_execnz .LBB48_80
; %bb.75:
	s_or_b32 s3, s3, exec_lo
	s_branch .LBB48_61
.LBB48_76:
	s_trap 2
	s_sendmsg_rtn_b32 s0, sendmsg(MSG_RTN_GET_DOORBELL)
	s_mov_b32 ttmp2, m0
	s_waitcnt lgkmcnt(0)
	s_and_b32 s0, s0, 0x3ff
	s_delay_alu instid0(SALU_CYCLE_1) | instskip(NEXT) | instid1(SALU_CYCLE_1)
	s_bitset1_b32 s0, 10
	s_mov_b32 m0, s0
	s_sendmsg sendmsg(MSG_INTERRUPT)
	s_mov_b32 m0, ttmp2
.LBB48_77:                              ; =>This Inner Loop Header: Depth=1
	s_sethalt 5
	s_branch .LBB48_77
.LBB48_78:
	s_cbranch_execnz .LBB48_82
; %bb.79:
	s_mov_b32 s3, exec_lo
	s_branch .LBB48_59
.LBB48_80:
	s_trap 2
	s_sendmsg_rtn_b32 s0, sendmsg(MSG_RTN_GET_DOORBELL)
	s_mov_b32 ttmp2, m0
	s_waitcnt lgkmcnt(0)
	s_and_b32 s0, s0, 0x3ff
	s_delay_alu instid0(SALU_CYCLE_1) | instskip(NEXT) | instid1(SALU_CYCLE_1)
	s_bitset1_b32 s0, 10
	s_mov_b32 m0, s0
	s_sendmsg sendmsg(MSG_INTERRUPT)
	s_mov_b32 m0, ttmp2
.LBB48_81:                              ; =>This Inner Loop Header: Depth=1
	s_sethalt 5
	s_branch .LBB48_81
.LBB48_82:
	s_trap 2
	s_sendmsg_rtn_b32 s0, sendmsg(MSG_RTN_GET_DOORBELL)
	s_mov_b32 ttmp2, m0
	s_waitcnt lgkmcnt(0)
	s_and_b32 s0, s0, 0x3ff
	s_delay_alu instid0(SALU_CYCLE_1) | instskip(NEXT) | instid1(SALU_CYCLE_1)
	s_bitset1_b32 s0, 10
	s_mov_b32 m0, s0
	s_sendmsg sendmsg(MSG_INTERRUPT)
	s_mov_b32 m0, ttmp2
.LBB48_83:                              ; =>This Inner Loop Header: Depth=1
	s_sethalt 5
	s_branch .LBB48_83
	.section	.rodata,"a",@progbits
	.p2align	6, 0x0
	.amdhsa_kernel _ZN2at4cuda12_GLOBAL__N_121kernelPointwiseApply2IZNS_6native9templates4cuda28bernoulli_tensor_cuda_kernelIlfEEvRKNS_10TensorBaseES9_NS_15PhiloxCudaStateEEUliRlSB_SB_SB_RKfSD_SD_SD_E_lSC_jLi2ELi2ELi4ELi512ELi2EEEvNS0_6detail10TensorInfoIT0_T2_EENSG_IT1_SI_EESI_T_
		.amdhsa_group_segment_fixed_size 0
		.amdhsa_private_segment_fixed_size 0
		.amdhsa_kernarg_size 728
		.amdhsa_user_sgpr_count 15
		.amdhsa_user_sgpr_dispatch_ptr 0
		.amdhsa_user_sgpr_queue_ptr 0
		.amdhsa_user_sgpr_kernarg_segment_ptr 1
		.amdhsa_user_sgpr_dispatch_id 0
		.amdhsa_user_sgpr_private_segment_size 0
		.amdhsa_wavefront_size32 1
		.amdhsa_uses_dynamic_stack 0
		.amdhsa_enable_private_segment 0
		.amdhsa_system_sgpr_workgroup_id_x 1
		.amdhsa_system_sgpr_workgroup_id_y 0
		.amdhsa_system_sgpr_workgroup_id_z 0
		.amdhsa_system_sgpr_workgroup_info 0
		.amdhsa_system_vgpr_workitem_id 0
		.amdhsa_next_free_vgpr 44
		.amdhsa_next_free_sgpr 41
		.amdhsa_reserve_vcc 1
		.amdhsa_float_round_mode_32 0
		.amdhsa_float_round_mode_16_64 0
		.amdhsa_float_denorm_mode_32 3
		.amdhsa_float_denorm_mode_16_64 3
		.amdhsa_dx10_clamp 1
		.amdhsa_ieee_mode 1
		.amdhsa_fp16_overflow 0
		.amdhsa_workgroup_processor_mode 1
		.amdhsa_memory_ordered 1
		.amdhsa_forward_progress 0
		.amdhsa_shared_vgpr_count 0
		.amdhsa_exception_fp_ieee_invalid_op 0
		.amdhsa_exception_fp_denorm_src 0
		.amdhsa_exception_fp_ieee_div_zero 0
		.amdhsa_exception_fp_ieee_overflow 0
		.amdhsa_exception_fp_ieee_underflow 0
		.amdhsa_exception_fp_ieee_inexact 0
		.amdhsa_exception_int_div_zero 0
	.end_amdhsa_kernel
	.section	.text._ZN2at4cuda12_GLOBAL__N_121kernelPointwiseApply2IZNS_6native9templates4cuda28bernoulli_tensor_cuda_kernelIlfEEvRKNS_10TensorBaseES9_NS_15PhiloxCudaStateEEUliRlSB_SB_SB_RKfSD_SD_SD_E_lSC_jLi2ELi2ELi4ELi512ELi2EEEvNS0_6detail10TensorInfoIT0_T2_EENSG_IT1_SI_EESI_T_,"axG",@progbits,_ZN2at4cuda12_GLOBAL__N_121kernelPointwiseApply2IZNS_6native9templates4cuda28bernoulli_tensor_cuda_kernelIlfEEvRKNS_10TensorBaseES9_NS_15PhiloxCudaStateEEUliRlSB_SB_SB_RKfSD_SD_SD_E_lSC_jLi2ELi2ELi4ELi512ELi2EEEvNS0_6detail10TensorInfoIT0_T2_EENSG_IT1_SI_EESI_T_,comdat
.Lfunc_end48:
	.size	_ZN2at4cuda12_GLOBAL__N_121kernelPointwiseApply2IZNS_6native9templates4cuda28bernoulli_tensor_cuda_kernelIlfEEvRKNS_10TensorBaseES9_NS_15PhiloxCudaStateEEUliRlSB_SB_SB_RKfSD_SD_SD_E_lSC_jLi2ELi2ELi4ELi512ELi2EEEvNS0_6detail10TensorInfoIT0_T2_EENSG_IT1_SI_EESI_T_, .Lfunc_end48-_ZN2at4cuda12_GLOBAL__N_121kernelPointwiseApply2IZNS_6native9templates4cuda28bernoulli_tensor_cuda_kernelIlfEEvRKNS_10TensorBaseES9_NS_15PhiloxCudaStateEEUliRlSB_SB_SB_RKfSD_SD_SD_E_lSC_jLi2ELi2ELi4ELi512ELi2EEEvNS0_6detail10TensorInfoIT0_T2_EENSG_IT1_SI_EESI_T_
                                        ; -- End function
	.section	.AMDGPU.csdata,"",@progbits
; Kernel info:
; codeLenInByte = 4256
; NumSgprs: 43
; NumVgprs: 44
; ScratchSize: 0
; MemoryBound: 0
; FloatMode: 240
; IeeeMode: 1
; LDSByteSize: 0 bytes/workgroup (compile time only)
; SGPRBlocks: 5
; VGPRBlocks: 5
; NumSGPRsForWavesPerEU: 43
; NumVGPRsForWavesPerEU: 44
; Occupancy: 16
; WaveLimiterHint : 1
; COMPUTE_PGM_RSRC2:SCRATCH_EN: 0
; COMPUTE_PGM_RSRC2:USER_SGPR: 15
; COMPUTE_PGM_RSRC2:TRAP_HANDLER: 0
; COMPUTE_PGM_RSRC2:TGID_X_EN: 1
; COMPUTE_PGM_RSRC2:TGID_Y_EN: 0
; COMPUTE_PGM_RSRC2:TGID_Z_EN: 0
; COMPUTE_PGM_RSRC2:TIDIG_COMP_CNT: 0
	.section	.text._ZN2at4cuda12_GLOBAL__N_121kernelPointwiseApply2IZNS_6native9templates4cuda28bernoulli_tensor_cuda_kernelIlfEEvRKNS_10TensorBaseES9_NS_15PhiloxCudaStateEEUliRlSB_SB_SB_RKfSD_SD_SD_E_lSC_jLi2ELin1ELi4ELi512ELi2EEEvNS0_6detail10TensorInfoIT0_T2_EENSG_IT1_SI_EESI_T_,"axG",@progbits,_ZN2at4cuda12_GLOBAL__N_121kernelPointwiseApply2IZNS_6native9templates4cuda28bernoulli_tensor_cuda_kernelIlfEEvRKNS_10TensorBaseES9_NS_15PhiloxCudaStateEEUliRlSB_SB_SB_RKfSD_SD_SD_E_lSC_jLi2ELin1ELi4ELi512ELi2EEEvNS0_6detail10TensorInfoIT0_T2_EENSG_IT1_SI_EESI_T_,comdat
	.globl	_ZN2at4cuda12_GLOBAL__N_121kernelPointwiseApply2IZNS_6native9templates4cuda28bernoulli_tensor_cuda_kernelIlfEEvRKNS_10TensorBaseES9_NS_15PhiloxCudaStateEEUliRlSB_SB_SB_RKfSD_SD_SD_E_lSC_jLi2ELin1ELi4ELi512ELi2EEEvNS0_6detail10TensorInfoIT0_T2_EENSG_IT1_SI_EESI_T_ ; -- Begin function _ZN2at4cuda12_GLOBAL__N_121kernelPointwiseApply2IZNS_6native9templates4cuda28bernoulli_tensor_cuda_kernelIlfEEvRKNS_10TensorBaseES9_NS_15PhiloxCudaStateEEUliRlSB_SB_SB_RKfSD_SD_SD_E_lSC_jLi2ELin1ELi4ELi512ELi2EEEvNS0_6detail10TensorInfoIT0_T2_EENSG_IT1_SI_EESI_T_
	.p2align	8
	.type	_ZN2at4cuda12_GLOBAL__N_121kernelPointwiseApply2IZNS_6native9templates4cuda28bernoulli_tensor_cuda_kernelIlfEEvRKNS_10TensorBaseES9_NS_15PhiloxCudaStateEEUliRlSB_SB_SB_RKfSD_SD_SD_E_lSC_jLi2ELin1ELi4ELi512ELi2EEEvNS0_6detail10TensorInfoIT0_T2_EENSG_IT1_SI_EESI_T_,@function
_ZN2at4cuda12_GLOBAL__N_121kernelPointwiseApply2IZNS_6native9templates4cuda28bernoulli_tensor_cuda_kernelIlfEEvRKNS_10TensorBaseES9_NS_15PhiloxCudaStateEEUliRlSB_SB_SB_RKfSD_SD_SD_E_lSC_jLi2ELin1ELi4ELi512ELi2EEEvNS0_6detail10TensorInfoIT0_T2_EENSG_IT1_SI_EESI_T_: ; @_ZN2at4cuda12_GLOBAL__N_121kernelPointwiseApply2IZNS_6native9templates4cuda28bernoulli_tensor_cuda_kernelIlfEEvRKNS_10TensorBaseES9_NS_15PhiloxCudaStateEEUliRlSB_SB_SB_RKfSD_SD_SD_E_lSC_jLi2ELin1ELi4ELi512ELi2EEEvNS0_6detail10TensorInfoIT0_T2_EENSG_IT1_SI_EESI_T_
; %bb.0:
	s_clause 0x1
	s_load_b32 s2, s[0:1], 0x1e4
	s_load_b32 s18, s[0:1], 0x1b0
	s_add_u32 s4, s0, 0x1d8
	s_addc_u32 s5, s1, 0
	s_waitcnt lgkmcnt(0)
	s_and_b32 s14, s2, 0xffff
	s_mov_b32 s2, exec_lo
	v_mad_u64_u32 v[1:2], null, s15, s14, v[0:1]
	s_delay_alu instid0(VALU_DEP_1) | instskip(NEXT) | instid1(VALU_DEP_1)
	v_lshlrev_b32_e32 v27, 2, v1
	v_cmpx_gt_u32_e64 s18, v27
	s_cbranch_execz .LBB49_81
; %bb.1:
	s_clause 0x4
	s_load_b32 s19, s[0:1], 0xc
	s_load_b32 s16, s[0:1], 0x1a8
	;; [unrolled: 1-line block ×3, first 2 shown]
	s_load_b64 s[2:3], s[0:1], 0x6c
	s_load_b64 s[8:9], s[0:1], 0xd8
	s_add_u32 s17, s0, 0xd8
	s_load_b32 s15, s[4:5], 0x0
	s_load_b32 s20, s[0:1], 0x144
	s_addc_u32 s23, s1, 0
	v_mad_u64_u32 v[2:3], null, 0xcd9e8d57, v1, 0
	s_load_b64 s[10:11], s[0:1], 0x0
	s_mov_b32 s26, 0
                                        ; implicit-def: $sgpr27
                                        ; implicit-def: $sgpr29
                                        ; implicit-def: $sgpr28
                                        ; implicit-def: $sgpr30
                                        ; implicit-def: $sgpr33
                                        ; implicit-def: $sgpr31
                                        ; implicit-def: $sgpr34
	s_delay_alu instid0(VALU_DEP_1)
	v_mov_b32_e32 v28, v3
	s_waitcnt lgkmcnt(0)
	v_cvt_f32_u32_e32 v0, s19
	s_cmp_gt_i32 s16, 1
	s_cselect_b32 s21, -1, 0
	s_bitcmp1_b32 s6, 0
	s_delay_alu instid0(VALU_DEP_1)
	v_rcp_iflag_f32_e32 v0, v0
	s_cselect_b32 s22, -1, 0
	s_sub_i32 s4, 0, s19
	s_mul_i32 s15, s15, s14
	s_add_i32 s25, s16, 1
	s_lshl_b32 s24, s15, 2
	s_waitcnt_depctr 0xfff
	v_mul_f32_e32 v0, 0x4f7ffffe, v0
	s_delay_alu instid0(VALU_DEP_1) | instskip(NEXT) | instid1(VALU_DEP_1)
	v_cvt_u32_f32_e32 v0, v0
	v_mul_lo_u32 v5, s4, v0
	s_clause 0x1
	s_load_b64 s[12:13], s[0:1], 0x1c8
	s_load_b128 s[4:7], s[0:1], 0x1b8
	s_mov_b32 s1, 0
	s_add_i32 s0, s16, -1
	s_delay_alu instid0(SALU_CYCLE_1) | instskip(NEXT) | instid1(SALU_CYCLE_1)
	s_lshl_b64 s[14:15], s[0:1], 2
	s_add_u32 s0, s14, s17
	v_mul_hi_u32 v3, v0, v5
	v_mov_b32_e32 v4, 0
	s_addc_u32 s15, s15, s23
	s_add_u32 s14, s0, 8
	s_addc_u32 s15, s15, 0
                                        ; implicit-def: $sgpr23
	s_delay_alu instid0(VALU_DEP_2)
	v_add_nc_u32_e32 v29, v0, v3
	s_branch .LBB49_3
.LBB49_2:                               ;   in Loop: Header=BB49_3 Depth=1
	s_or_b32 exec_lo, exec_lo, s16
	s_delay_alu instid0(SALU_CYCLE_1) | instskip(NEXT) | instid1(SALU_CYCLE_1)
	s_and_b32 s0, exec_lo, s0
	s_or_b32 s26, s0, s26
	s_and_not1_b32 s0, s23, exec_lo
	s_and_b32 s16, s34, exec_lo
	s_and_not1_b32 s17, s28, exec_lo
	s_and_b32 s28, s31, exec_lo
	s_or_b32 s23, s0, s16
	s_or_b32 s28, s17, s28
	s_and_not1_b32 s0, s29, exec_lo
	s_and_b32 s16, s33, exec_lo
	s_and_not1_b32 s17, s27, exec_lo
	s_and_b32 s27, s30, exec_lo
	s_or_b32 s29, s0, s16
	s_or_b32 s27, s17, s27
	s_and_not1_b32 exec_lo, exec_lo, s26
	s_cbranch_execz .LBB49_69
.LBB49_3:                               ; =>This Loop Header: Depth=1
                                        ;     Child Loop BB49_8 Depth 2
                                        ;     Child Loop BB49_15 Depth 2
	;; [unrolled: 1-line block ×4, first 2 shown]
	v_sub_nc_u32_e32 v30, s18, v27
	v_mov_b32_e32 v5, 0
	s_delay_alu instid0(VALU_DEP_2)
	v_cmp_lt_i32_e32 vcc_lo, 0, v30
	s_and_saveexec_b32 s16, vcc_lo
	s_cbranch_execz .LBB49_5
; %bb.4:                                ;   in Loop: Header=BB49_3 Depth=1
	v_mul_hi_u32 v0, v27, v29
	s_delay_alu instid0(VALU_DEP_1) | instskip(SKIP_1) | instid1(VALU_DEP_2)
	v_mul_lo_u32 v3, v0, s19
	v_add_nc_u32_e32 v5, 1, v0
	v_sub_nc_u32_e32 v3, v27, v3
	s_delay_alu instid0(VALU_DEP_1) | instskip(SKIP_1) | instid1(VALU_DEP_1)
	v_subrev_nc_u32_e32 v6, s19, v3
	v_cmp_le_u32_e64 s0, s19, v3
	v_cndmask_b32_e64 v0, v0, v5, s0
	s_delay_alu instid0(VALU_DEP_3) | instskip(NEXT) | instid1(VALU_DEP_2)
	v_cndmask_b32_e64 v3, v3, v6, s0
	v_add_nc_u32_e32 v5, 1, v0
	s_delay_alu instid0(VALU_DEP_2) | instskip(NEXT) | instid1(VALU_DEP_1)
	v_cmp_le_u32_e64 s0, s19, v3
	v_cndmask_b32_e64 v3, v0, v5, s0
	s_delay_alu instid0(VALU_DEP_1) | instskip(NEXT) | instid1(VALU_DEP_1)
	v_mul_lo_u32 v0, v3, s19
	v_sub_nc_u32_e32 v0, v27, v0
	s_delay_alu instid0(VALU_DEP_1) | instskip(NEXT) | instid1(VALU_DEP_1)
	v_mul_lo_u32 v0, v0, s3
	v_mad_u64_u32 v[5:6], null, v3, s2, v[0:1]
.LBB49_5:                               ;   in Loop: Header=BB49_3 Depth=1
	s_or_b32 exec_lo, exec_lo, s16
	v_mov_b32_e32 v3, 0
	s_and_saveexec_b32 s0, vcc_lo
	s_cbranch_execz .LBB49_10
; %bb.6:                                ;   in Loop: Header=BB49_3 Depth=1
	v_dual_mov_b32 v0, 0 :: v_dual_mov_b32 v3, v27
	s_and_not1_b32 vcc_lo, exec_lo, s21
	s_cbranch_vccnz .LBB49_9
; %bb.7:                                ;   in Loop: Header=BB49_3 Depth=1
	v_dual_mov_b32 v0, 0 :: v_dual_mov_b32 v3, v27
	s_mov_b64 s[16:17], s[14:15]
	s_mov_b32 s35, s25
	s_set_inst_prefetch_distance 0x1
	.p2align	6
.LBB49_8:                               ;   Parent Loop BB49_3 Depth=1
                                        ; =>  This Inner Loop Header: Depth=2
	s_clause 0x1
	s_load_b32 s36, s[16:17], 0x0
	s_load_b32 s37, s[16:17], 0x64
	s_add_i32 s35, s35, -1
	s_waitcnt lgkmcnt(0)
	v_cvt_f32_u32_e32 v6, s36
	s_sub_i32 s38, 0, s36
	s_add_u32 s16, s16, -4
	s_addc_u32 s17, s17, -1
	s_cmp_gt_u32 s35, 2
	v_rcp_iflag_f32_e32 v6, v6
	s_waitcnt_depctr 0xfff
	v_mul_f32_e32 v6, 0x4f7ffffe, v6
	s_delay_alu instid0(VALU_DEP_1) | instskip(NEXT) | instid1(VALU_DEP_1)
	v_cvt_u32_f32_e32 v6, v6
	v_mul_lo_u32 v7, s38, v6
	s_delay_alu instid0(VALU_DEP_1) | instskip(NEXT) | instid1(VALU_DEP_1)
	v_mul_hi_u32 v7, v6, v7
	v_dual_mov_b32 v8, v3 :: v_dual_add_nc_u32 v3, v6, v7
	s_delay_alu instid0(VALU_DEP_1) | instskip(NEXT) | instid1(VALU_DEP_1)
	v_mul_hi_u32 v3, v8, v3
	v_mul_lo_u32 v6, v3, s36
	v_add_nc_u32_e32 v7, 1, v3
	s_delay_alu instid0(VALU_DEP_2) | instskip(NEXT) | instid1(VALU_DEP_1)
	v_sub_nc_u32_e32 v6, v8, v6
	v_subrev_nc_u32_e32 v9, s36, v6
	v_cmp_le_u32_e32 vcc_lo, s36, v6
	s_delay_alu instid0(VALU_DEP_2) | instskip(NEXT) | instid1(VALU_DEP_1)
	v_dual_cndmask_b32 v3, v3, v7 :: v_dual_cndmask_b32 v6, v6, v9
	v_add_nc_u32_e32 v7, 1, v3
	s_delay_alu instid0(VALU_DEP_2) | instskip(NEXT) | instid1(VALU_DEP_2)
	v_cmp_le_u32_e32 vcc_lo, s36, v6
	v_cndmask_b32_e32 v3, v3, v7, vcc_lo
	s_delay_alu instid0(VALU_DEP_1) | instskip(NEXT) | instid1(VALU_DEP_1)
	v_mul_lo_u32 v6, v3, s36
	v_sub_nc_u32_e32 v8, v8, v6
	s_delay_alu instid0(VALU_DEP_1) | instskip(NEXT) | instid1(VALU_DEP_1)
	v_mad_u64_u32 v[6:7], null, s37, v8, v[0:1]
	v_mov_b32_e32 v0, v6
	s_cbranch_scc1 .LBB49_8
.LBB49_9:                               ;   in Loop: Header=BB49_3 Depth=1
	s_set_inst_prefetch_distance 0x2
	s_delay_alu instid0(VALU_DEP_1) | instskip(NEXT) | instid1(VALU_DEP_1)
	v_mad_u64_u32 v[6:7], null, s20, v3, v[0:1]
	v_mov_b32_e32 v3, v6
.LBB49_10:                              ;   in Loop: Header=BB49_3 Depth=1
	s_or_b32 exec_lo, exec_lo, s0
	v_or_b32_e32 v8, 1, v27
	v_cmp_lt_i32_e32 vcc_lo, 1, v30
	v_mov_b32_e32 v10, 0
	v_mov_b32_e32 v6, 0
	s_and_saveexec_b32 s16, vcc_lo
	s_cbranch_execz .LBB49_12
; %bb.11:                               ;   in Loop: Header=BB49_3 Depth=1
	v_mul_hi_u32 v0, v8, v29
	s_delay_alu instid0(VALU_DEP_1) | instskip(SKIP_1) | instid1(VALU_DEP_2)
	v_mul_lo_u32 v6, v0, s19
	v_add_nc_u32_e32 v7, 1, v0
	v_sub_nc_u32_e32 v6, v8, v6
	s_delay_alu instid0(VALU_DEP_1) | instskip(SKIP_1) | instid1(VALU_DEP_1)
	v_subrev_nc_u32_e32 v9, s19, v6
	v_cmp_le_u32_e64 s0, s19, v6
	v_cndmask_b32_e64 v0, v0, v7, s0
	s_delay_alu instid0(VALU_DEP_3) | instskip(NEXT) | instid1(VALU_DEP_2)
	v_cndmask_b32_e64 v6, v6, v9, s0
	v_add_nc_u32_e32 v7, 1, v0
	s_delay_alu instid0(VALU_DEP_2) | instskip(NEXT) | instid1(VALU_DEP_1)
	v_cmp_le_u32_e64 s0, s19, v6
	v_cndmask_b32_e64 v9, v0, v7, s0
	s_delay_alu instid0(VALU_DEP_1) | instskip(NEXT) | instid1(VALU_DEP_1)
	v_mul_lo_u32 v0, v9, s19
	v_sub_nc_u32_e32 v0, v8, v0
	s_delay_alu instid0(VALU_DEP_1) | instskip(NEXT) | instid1(VALU_DEP_1)
	v_mul_lo_u32 v0, v0, s3
	v_mad_u64_u32 v[6:7], null, v9, s2, v[0:1]
.LBB49_12:                              ;   in Loop: Header=BB49_3 Depth=1
	s_or_b32 exec_lo, exec_lo, s16
	s_and_saveexec_b32 s0, vcc_lo
	s_cbranch_execz .LBB49_17
; %bb.13:                               ;   in Loop: Header=BB49_3 Depth=1
	v_mov_b32_e32 v0, 0
	s_and_not1_b32 vcc_lo, exec_lo, s21
	s_cbranch_vccnz .LBB49_16
; %bb.14:                               ;   in Loop: Header=BB49_3 Depth=1
	v_mov_b32_e32 v0, 0
	s_mov_b64 s[16:17], s[14:15]
	s_mov_b32 s35, s25
	s_set_inst_prefetch_distance 0x1
	.p2align	6
.LBB49_15:                              ;   Parent Loop BB49_3 Depth=1
                                        ; =>  This Inner Loop Header: Depth=2
	s_clause 0x1
	s_load_b32 s36, s[16:17], 0x0
	s_load_b32 s37, s[16:17], 0x64
	s_add_i32 s35, s35, -1
	v_mov_b32_e32 v10, v8
	s_waitcnt lgkmcnt(0)
	v_cvt_f32_u32_e32 v7, s36
	s_sub_i32 s38, 0, s36
	s_add_u32 s16, s16, -4
	s_addc_u32 s17, s17, -1
	s_cmp_gt_u32 s35, 2
	v_rcp_iflag_f32_e32 v7, v7
	s_waitcnt_depctr 0xfff
	v_mul_f32_e32 v7, 0x4f7ffffe, v7
	s_delay_alu instid0(VALU_DEP_1) | instskip(NEXT) | instid1(VALU_DEP_1)
	v_cvt_u32_f32_e32 v7, v7
	v_mul_lo_u32 v9, s38, v7
	s_delay_alu instid0(VALU_DEP_1) | instskip(NEXT) | instid1(VALU_DEP_1)
	v_mul_hi_u32 v9, v7, v9
	v_add_nc_u32_e32 v7, v7, v9
	s_delay_alu instid0(VALU_DEP_1) | instskip(NEXT) | instid1(VALU_DEP_1)
	v_mul_hi_u32 v7, v10, v7
	v_mul_lo_u32 v8, v7, s36
	v_add_nc_u32_e32 v9, 1, v7
	s_delay_alu instid0(VALU_DEP_2) | instskip(NEXT) | instid1(VALU_DEP_1)
	v_sub_nc_u32_e32 v8, v10, v8
	v_subrev_nc_u32_e32 v11, s36, v8
	v_cmp_le_u32_e32 vcc_lo, s36, v8
	s_delay_alu instid0(VALU_DEP_2) | instskip(NEXT) | instid1(VALU_DEP_1)
	v_dual_cndmask_b32 v8, v8, v11 :: v_dual_cndmask_b32 v7, v7, v9
	v_cmp_le_u32_e32 vcc_lo, s36, v8
	s_delay_alu instid0(VALU_DEP_2) | instskip(NEXT) | instid1(VALU_DEP_1)
	v_add_nc_u32_e32 v9, 1, v7
	v_cndmask_b32_e32 v8, v7, v9, vcc_lo
	s_delay_alu instid0(VALU_DEP_1) | instskip(NEXT) | instid1(VALU_DEP_1)
	v_mul_lo_u32 v7, v8, s36
	v_sub_nc_u32_e32 v7, v10, v7
	s_delay_alu instid0(VALU_DEP_1) | instskip(NEXT) | instid1(VALU_DEP_1)
	v_mad_u64_u32 v[9:10], null, s37, v7, v[0:1]
	v_mov_b32_e32 v0, v9
	s_cbranch_scc1 .LBB49_15
.LBB49_16:                              ;   in Loop: Header=BB49_3 Depth=1
	s_set_inst_prefetch_distance 0x2
	s_delay_alu instid0(VALU_DEP_1)
	v_mad_u64_u32 v[10:11], null, s20, v8, v[0:1]
.LBB49_17:                              ;   in Loop: Header=BB49_3 Depth=1
	s_or_b32 exec_lo, exec_lo, s0
	v_or_b32_e32 v9, 2, v27
	v_cmp_lt_i32_e32 vcc_lo, 2, v30
	v_mov_b32_e32 v7, 0
	s_and_saveexec_b32 s16, vcc_lo
	s_cbranch_execz .LBB49_19
; %bb.18:                               ;   in Loop: Header=BB49_3 Depth=1
	v_mul_hi_u32 v0, v9, v29
	s_delay_alu instid0(VALU_DEP_1) | instskip(SKIP_1) | instid1(VALU_DEP_2)
	v_mul_lo_u32 v7, v0, s19
	v_add_nc_u32_e32 v8, 1, v0
	v_sub_nc_u32_e32 v7, v9, v7
	s_delay_alu instid0(VALU_DEP_1) | instskip(SKIP_1) | instid1(VALU_DEP_1)
	v_subrev_nc_u32_e32 v11, s19, v7
	v_cmp_le_u32_e64 s0, s19, v7
	v_cndmask_b32_e64 v0, v0, v8, s0
	s_delay_alu instid0(VALU_DEP_3) | instskip(NEXT) | instid1(VALU_DEP_2)
	v_cndmask_b32_e64 v7, v7, v11, s0
	v_add_nc_u32_e32 v8, 1, v0
	s_delay_alu instid0(VALU_DEP_2) | instskip(NEXT) | instid1(VALU_DEP_1)
	v_cmp_le_u32_e64 s0, s19, v7
	v_cndmask_b32_e64 v11, v0, v8, s0
	s_delay_alu instid0(VALU_DEP_1) | instskip(NEXT) | instid1(VALU_DEP_1)
	v_mul_lo_u32 v0, v11, s19
	v_sub_nc_u32_e32 v0, v9, v0
	s_delay_alu instid0(VALU_DEP_1) | instskip(NEXT) | instid1(VALU_DEP_1)
	v_mul_lo_u32 v0, v0, s3
	v_mad_u64_u32 v[7:8], null, v11, s2, v[0:1]
.LBB49_19:                              ;   in Loop: Header=BB49_3 Depth=1
	s_or_b32 exec_lo, exec_lo, s16
	v_mov_b32_e32 v12, 0
	v_mov_b32_e32 v13, 0
	s_and_saveexec_b32 s0, vcc_lo
	s_cbranch_execz .LBB49_24
; %bb.20:                               ;   in Loop: Header=BB49_3 Depth=1
	v_mov_b32_e32 v0, 0
	s_and_not1_b32 vcc_lo, exec_lo, s21
	s_cbranch_vccnz .LBB49_23
; %bb.21:                               ;   in Loop: Header=BB49_3 Depth=1
	v_mov_b32_e32 v0, 0
	s_mov_b64 s[16:17], s[14:15]
	s_mov_b32 s35, s25
	s_set_inst_prefetch_distance 0x1
	.p2align	6
.LBB49_22:                              ;   Parent Loop BB49_3 Depth=1
                                        ; =>  This Inner Loop Header: Depth=2
	s_clause 0x1
	s_load_b32 s36, s[16:17], 0x0
	s_load_b32 s37, s[16:17], 0x64
	v_mov_b32_e32 v12, v9
	s_add_i32 s35, s35, -1
	s_waitcnt lgkmcnt(0)
	v_cvt_f32_u32_e32 v8, s36
	s_sub_i32 s38, 0, s36
	s_add_u32 s16, s16, -4
	s_addc_u32 s17, s17, -1
	s_cmp_gt_u32 s35, 2
	v_rcp_iflag_f32_e32 v8, v8
	s_waitcnt_depctr 0xfff
	v_mul_f32_e32 v8, 0x4f7ffffe, v8
	s_delay_alu instid0(VALU_DEP_1) | instskip(NEXT) | instid1(VALU_DEP_1)
	v_cvt_u32_f32_e32 v8, v8
	v_mul_lo_u32 v11, s38, v8
	s_delay_alu instid0(VALU_DEP_1) | instskip(NEXT) | instid1(VALU_DEP_1)
	v_mul_hi_u32 v11, v8, v11
	v_add_nc_u32_e32 v8, v8, v11
	s_delay_alu instid0(VALU_DEP_1) | instskip(NEXT) | instid1(VALU_DEP_1)
	v_mul_hi_u32 v8, v12, v8
	v_mul_lo_u32 v9, v8, s36
	v_add_nc_u32_e32 v11, 1, v8
	s_delay_alu instid0(VALU_DEP_2) | instskip(NEXT) | instid1(VALU_DEP_1)
	v_sub_nc_u32_e32 v9, v12, v9
	v_subrev_nc_u32_e32 v13, s36, v9
	v_cmp_le_u32_e32 vcc_lo, s36, v9
	s_delay_alu instid0(VALU_DEP_2) | instskip(NEXT) | instid1(VALU_DEP_1)
	v_dual_cndmask_b32 v9, v9, v13 :: v_dual_cndmask_b32 v8, v8, v11
	v_cmp_le_u32_e32 vcc_lo, s36, v9
	s_delay_alu instid0(VALU_DEP_2) | instskip(NEXT) | instid1(VALU_DEP_1)
	v_add_nc_u32_e32 v11, 1, v8
	v_cndmask_b32_e32 v9, v8, v11, vcc_lo
	s_delay_alu instid0(VALU_DEP_1) | instskip(NEXT) | instid1(VALU_DEP_1)
	v_mul_lo_u32 v8, v9, s36
	v_sub_nc_u32_e32 v8, v12, v8
	s_delay_alu instid0(VALU_DEP_1) | instskip(NEXT) | instid1(VALU_DEP_1)
	v_mad_u64_u32 v[11:12], null, s37, v8, v[0:1]
	v_mov_b32_e32 v0, v11
	s_cbranch_scc1 .LBB49_22
.LBB49_23:                              ;   in Loop: Header=BB49_3 Depth=1
	s_set_inst_prefetch_distance 0x2
	s_delay_alu instid0(VALU_DEP_1)
	v_mad_u64_u32 v[12:13], null, s20, v9, v[0:1]
	v_mov_b32_e32 v13, v4
.LBB49_24:                              ;   in Loop: Header=BB49_3 Depth=1
	s_or_b32 exec_lo, exec_lo, s0
	v_mov_b32_e32 v14, 0
	v_mov_b32_e32 v15, 0
	v_or_b32_e32 v11, 3, v27
	v_cmp_lt_i32_e32 vcc_lo, 3, v30
	s_delay_alu instid0(VALU_DEP_3)
	v_dual_mov_b32 v8, v14 :: v_dual_mov_b32 v9, v15
	s_and_saveexec_b32 s16, vcc_lo
	s_cbranch_execz .LBB49_26
; %bb.25:                               ;   in Loop: Header=BB49_3 Depth=1
	v_mul_hi_u32 v0, v11, v29
	s_delay_alu instid0(VALU_DEP_1) | instskip(SKIP_1) | instid1(VALU_DEP_2)
	v_mul_lo_u32 v8, v0, s19
	v_add_nc_u32_e32 v9, 1, v0
	v_sub_nc_u32_e32 v8, v11, v8
	s_delay_alu instid0(VALU_DEP_1) | instskip(SKIP_1) | instid1(VALU_DEP_1)
	v_subrev_nc_u32_e32 v16, s19, v8
	v_cmp_le_u32_e64 s0, s19, v8
	v_cndmask_b32_e64 v0, v0, v9, s0
	s_delay_alu instid0(VALU_DEP_3) | instskip(NEXT) | instid1(VALU_DEP_2)
	v_cndmask_b32_e64 v8, v8, v16, s0
	v_add_nc_u32_e32 v9, 1, v0
	s_delay_alu instid0(VALU_DEP_2) | instskip(NEXT) | instid1(VALU_DEP_1)
	v_cmp_le_u32_e64 s0, s19, v8
	v_cndmask_b32_e64 v16, v0, v9, s0
	s_delay_alu instid0(VALU_DEP_1) | instskip(NEXT) | instid1(VALU_DEP_1)
	v_mul_lo_u32 v0, v16, s19
	v_sub_nc_u32_e32 v0, v11, v0
	s_delay_alu instid0(VALU_DEP_1) | instskip(NEXT) | instid1(VALU_DEP_1)
	v_mul_lo_u32 v0, v0, s3
	v_mad_u64_u32 v[8:9], null, v16, s2, v[0:1]
	v_mov_b32_e32 v9, v4
.LBB49_26:                              ;   in Loop: Header=BB49_3 Depth=1
	s_or_b32 exec_lo, exec_lo, s16
	s_and_saveexec_b32 s0, vcc_lo
	s_cbranch_execz .LBB49_31
; %bb.27:                               ;   in Loop: Header=BB49_3 Depth=1
	v_mov_b32_e32 v0, 0
	s_and_not1_b32 vcc_lo, exec_lo, s21
	s_cbranch_vccnz .LBB49_30
; %bb.28:                               ;   in Loop: Header=BB49_3 Depth=1
	v_mov_b32_e32 v0, 0
	s_mov_b64 s[16:17], s[14:15]
	s_mov_b32 s35, s25
	s_set_inst_prefetch_distance 0x1
	.p2align	6
.LBB49_29:                              ;   Parent Loop BB49_3 Depth=1
                                        ; =>  This Inner Loop Header: Depth=2
	s_clause 0x1
	s_load_b32 s36, s[16:17], 0x0
	s_load_b32 s37, s[16:17], 0x64
	s_add_i32 s35, s35, -1
	s_waitcnt lgkmcnt(0)
	v_cvt_f32_u32_e32 v14, s36
	s_sub_i32 s38, 0, s36
	s_add_u32 s16, s16, -4
	s_addc_u32 s17, s17, -1
	s_cmp_gt_u32 s35, 2
	v_rcp_iflag_f32_e32 v14, v14
	s_waitcnt_depctr 0xfff
	v_mul_f32_e32 v14, 0x4f7ffffe, v14
	s_delay_alu instid0(VALU_DEP_1) | instskip(NEXT) | instid1(VALU_DEP_1)
	v_cvt_u32_f32_e32 v14, v14
	v_mul_lo_u32 v15, s38, v14
	s_delay_alu instid0(VALU_DEP_1) | instskip(NEXT) | instid1(VALU_DEP_1)
	v_mul_hi_u32 v15, v14, v15
	v_dual_mov_b32 v16, v11 :: v_dual_add_nc_u32 v11, v14, v15
	s_delay_alu instid0(VALU_DEP_1) | instskip(NEXT) | instid1(VALU_DEP_1)
	v_mul_hi_u32 v11, v16, v11
	v_mul_lo_u32 v14, v11, s36
	v_add_nc_u32_e32 v15, 1, v11
	s_delay_alu instid0(VALU_DEP_2) | instskip(NEXT) | instid1(VALU_DEP_1)
	v_sub_nc_u32_e32 v14, v16, v14
	v_subrev_nc_u32_e32 v17, s36, v14
	v_cmp_le_u32_e32 vcc_lo, s36, v14
	s_delay_alu instid0(VALU_DEP_2) | instskip(NEXT) | instid1(VALU_DEP_1)
	v_dual_cndmask_b32 v11, v11, v15 :: v_dual_cndmask_b32 v14, v14, v17
	v_add_nc_u32_e32 v15, 1, v11
	s_delay_alu instid0(VALU_DEP_2) | instskip(NEXT) | instid1(VALU_DEP_2)
	v_cmp_le_u32_e32 vcc_lo, s36, v14
	v_cndmask_b32_e32 v11, v11, v15, vcc_lo
	s_delay_alu instid0(VALU_DEP_1) | instskip(NEXT) | instid1(VALU_DEP_1)
	v_mul_lo_u32 v14, v11, s36
	v_sub_nc_u32_e32 v16, v16, v14
	s_delay_alu instid0(VALU_DEP_1) | instskip(NEXT) | instid1(VALU_DEP_1)
	v_mad_u64_u32 v[14:15], null, s37, v16, v[0:1]
	v_mov_b32_e32 v0, v14
	s_cbranch_scc1 .LBB49_29
.LBB49_30:                              ;   in Loop: Header=BB49_3 Depth=1
	s_set_inst_prefetch_distance 0x2
	s_delay_alu instid0(VALU_DEP_1)
	v_mad_u64_u32 v[14:15], null, s20, v11, v[0:1]
	v_mov_b32_e32 v15, v4
.LBB49_31:                              ;   in Loop: Header=BB49_3 Depth=1
	s_or_b32 exec_lo, exec_lo, s0
	v_mov_b32_e32 v11, v4
	v_lshlrev_b64 v[16:17], 2, v[3:4]
	v_lshlrev_b64 v[12:13], 2, v[12:13]
	;; [unrolled: 1-line block ×3, first 2 shown]
	s_delay_alu instid0(VALU_DEP_4) | instskip(NEXT) | instid1(VALU_DEP_4)
	v_lshlrev_b64 v[10:11], 2, v[10:11]
	v_add_co_u32 v16, vcc_lo, s8, v16
	v_add_co_ci_u32_e32 v17, vcc_lo, s9, v17, vcc_lo
	s_delay_alu instid0(VALU_DEP_3) | instskip(NEXT) | instid1(VALU_DEP_4)
	v_add_co_u32 v10, vcc_lo, s8, v10
	v_add_co_ci_u32_e32 v11, vcc_lo, s9, v11, vcc_lo
	v_add_co_u32 v12, vcc_lo, s8, v12
	v_add_co_ci_u32_e32 v13, vcc_lo, s9, v13, vcc_lo
	;; [unrolled: 2-line block ×3, first 2 shown]
	s_clause 0x3
	global_load_b32 v0, v[16:17], off
	global_load_b32 v3, v[10:11], off
	;; [unrolled: 1-line block ×4, first 2 shown]
	s_waitcnt lgkmcnt(0)
	v_mov_b32_e32 v15, s7
	v_dual_mov_b32 v17, s5 :: v_dual_mov_b32 v16, s4
	v_mov_b32_e32 v14, s6
	s_and_not1_b32 vcc_lo, exec_lo, s22
	s_cbranch_vccnz .LBB49_33
; %bb.32:                               ;   in Loop: Header=BB49_3 Depth=1
	v_dual_mov_b32 v11, s7 :: v_dual_mov_b32 v10, s6
	v_dual_mov_b32 v13, s5 :: v_dual_mov_b32 v12, s4
	flat_load_b64 v[10:11], v[10:11]
	flat_load_b64 v[16:17], v[12:13]
	s_waitcnt vmcnt(1) lgkmcnt(1)
	v_add_co_u32 v14, vcc_lo, v10, s12
	v_add_co_ci_u32_e32 v15, vcc_lo, s13, v11, vcc_lo
.LBB49_33:                              ;   in Loop: Header=BB49_3 Depth=1
	s_delay_alu instid0(VALU_DEP_1)
	v_alignbit_b32 v13, v15, v14, 2
	v_lshrrev_b32_e32 v12, 2, v15
	s_waitcnt vmcnt(0) lgkmcnt(0)
	v_add_nc_u32_e32 v34, 0xbb67ae85, v17
	v_add_nc_u32_e32 v35, 0x76cf5d0a, v17
	;; [unrolled: 1-line block ×3, first 2 shown]
	v_add_co_u32 v15, vcc_lo, v13, 1
	s_delay_alu instid0(VALU_DEP_1) | instskip(SKIP_4) | instid1(VALU_DEP_4)
	v_cndmask_b32_e64 v10, 0, 1, vcc_lo
	v_add_co_ci_u32_e32 v24, vcc_lo, 0, v12, vcc_lo
	v_xor3_b32 v20, v28, v16, v12
	v_add_nc_u32_e32 v37, 0x32370b8f, v17
	v_add_nc_u32_e32 v38, 0xed9eba14, v17
	v_cmp_eq_u32_e32 vcc_lo, 0, v24
	v_add_nc_u32_e32 v39, 0x1715609d, v16
	v_add_nc_u32_e32 v40, 0xa9066899, v17
	s_mov_b32 s0, exec_lo
	v_dual_cndmask_b32 v18, 0, v10 :: v_dual_add_nc_u32 v33, 0x9e3779b9, v16
	v_mad_u64_u32 v[10:11], null, 0xd2511f53, v15, 0
	s_delay_alu instid0(VALU_DEP_2) | instskip(NEXT) | instid1(VALU_DEP_2)
	v_add_nc_u32_e32 v15, v18, v1
	v_xor_b32_e32 v19, v11, v17
	s_delay_alu instid0(VALU_DEP_2) | instskip(SKIP_2) | instid1(VALU_DEP_1)
	v_cmp_eq_u32_e32 vcc_lo, 0, v15
	v_mad_u64_u32 v[11:12], null, 0xd2511f53, v13, 0
	v_cndmask_b32_e32 v18, 0, v18, vcc_lo
	v_xor_b32_e32 v13, v18, v19
	v_mad_u64_u32 v[18:19], null, 0xd2511f53, v20, 0
	v_mad_u64_u32 v[20:21], null, 0xcd9e8d57, v15, 0
	s_delay_alu instid0(VALU_DEP_3) | instskip(SKIP_3) | instid1(VALU_DEP_3)
	v_mad_u64_u32 v[22:23], null, 0xcd9e8d57, v13, 0
	v_xor_b32_e32 v13, v12, v17
	v_add_nc_u32_e32 v15, 0x3c6ef372, v16
	v_xor3_b32 v25, v34, v19, v11
	v_mad_u64_u32 v[11:12], null, 0xcd9e8d57, v13, 0
	v_xor3_b32 v13, v21, v16, v24
	v_xor3_b32 v21, v33, v23, v20
	s_delay_alu instid0(VALU_DEP_4) | instskip(NEXT) | instid1(VALU_DEP_3)
	v_mad_u64_u32 v[19:20], null, 0xcd9e8d57, v25, 0
	v_mad_u64_u32 v[23:24], null, 0xd2511f53, v13, 0
	s_delay_alu instid0(VALU_DEP_3) | instskip(SKIP_1) | instid1(VALU_DEP_4)
	v_mad_u64_u32 v[25:26], null, 0xd2511f53, v21, 0
	v_xor3_b32 v13, v2, v12, v33
	v_xor3_b32 v33, v15, v20, v11
	s_delay_alu instid0(VALU_DEP_4) | instskip(NEXT) | instid1(VALU_DEP_3)
	v_xor3_b32 v10, v34, v24, v10
	v_mad_u64_u32 v[11:12], null, 0xd2511f53, v13, 0
	v_xor3_b32 v13, v35, v26, v23
	s_delay_alu instid0(VALU_DEP_4) | instskip(NEXT) | instid1(VALU_DEP_4)
	v_mad_u64_u32 v[20:21], null, 0xd2511f53, v33, 0
	v_mad_u64_u32 v[23:24], null, 0xcd9e8d57, v10, 0
	s_delay_alu instid0(VALU_DEP_3) | instskip(SKIP_4) | instid1(VALU_DEP_4)
	v_mad_u64_u32 v[33:34], null, 0xcd9e8d57, v13, 0
	v_xor3_b32 v12, v35, v12, v18
	v_add_nc_u32_e32 v26, 0x78dde6e4, v16
	v_xor3_b32 v18, v37, v21, v11
	v_xor3_b32 v15, v15, v24, v22
	v_mad_u64_u32 v[10:11], null, 0xcd9e8d57, v12, 0
	v_xor3_b32 v34, v36, v34, v23
	s_delay_alu instid0(VALU_DEP_4) | instskip(NEXT) | instid1(VALU_DEP_4)
	v_mad_u64_u32 v[12:13], null, 0xcd9e8d57, v18, 0
	v_mad_u64_u32 v[21:22], null, 0xd2511f53, v15, 0
	s_delay_alu instid0(VALU_DEP_3) | instskip(SKIP_1) | instid1(VALU_DEP_4)
	v_mad_u64_u32 v[23:24], null, 0xd2511f53, v34, 0
	v_xor3_b32 v15, v36, v11, v19
	v_xor3_b32 v13, v26, v13, v10
	s_delay_alu instid0(VALU_DEP_2) | instskip(SKIP_2) | instid1(VALU_DEP_4)
	v_mad_u64_u32 v[10:11], null, 0xd2511f53, v15, 0
	v_xor3_b32 v15, v37, v22, v25
	v_xor3_b32 v21, v38, v24, v21
	v_mad_u64_u32 v[24:25], null, 0xd2511f53, v13, 0
	s_delay_alu instid0(VALU_DEP_3) | instskip(NEXT) | instid1(VALU_DEP_3)
	v_mad_u64_u32 v[18:19], null, 0xcd9e8d57, v15, 0
	v_mad_u64_u32 v[34:35], null, 0xcd9e8d57, v21, 0
	v_xor3_b32 v13, v38, v11, v20
	s_delay_alu instid0(VALU_DEP_4) | instskip(SKIP_2) | instid1(VALU_DEP_4)
	v_xor3_b32 v21, v40, v25, v10
	v_add_nc_u32_e32 v15, 0xb54cda56, v16
	v_add_nc_u32_e32 v20, 0x646e171e, v17
	v_mad_u64_u32 v[10:11], null, 0xcd9e8d57, v13, 0
	v_xor3_b32 v13, v26, v19, v33
	v_xor3_b32 v22, v39, v35, v18
	v_mad_u64_u32 v[35:36], null, 0xcd9e8d57, v21, 0
	v_add_nc_u32_e32 v26, 0x5384540f, v16
	s_delay_alu instid0(VALU_DEP_4) | instskip(NEXT) | instid1(VALU_DEP_4)
	v_mad_u64_u32 v[18:19], null, 0xd2511f53, v13, 0
	v_mad_u64_u32 v[37:38], null, 0xd2511f53, v22, 0
	v_xor3_b32 v12, v39, v11, v12
	v_xor3_b32 v13, v15, v36, v10
	v_add_nc_u32_e32 v39, 0x1fd5c5a3, v17
	v_add_co_u32 v33, null, 0xf1bbcdc8, v16
	v_xor3_b32 v21, v40, v19, v23
	v_xor3_b32 v23, v20, v38, v18
	v_mad_u64_u32 v[10:11], null, 0xd2511f53, v12, 0
	v_mad_u64_u32 v[18:19], null, 0xd2511f53, v13, 0
	s_delay_alu instid0(VALU_DEP_4) | instskip(NEXT) | instid1(VALU_DEP_4)
	v_mad_u64_u32 v[12:13], null, 0xcd9e8d57, v21, 0
	v_mad_u64_u32 v[21:22], null, 0xcd9e8d57, v23, 0
	s_delay_alu instid0(VALU_DEP_4) | instskip(NEXT) | instid1(VALU_DEP_4)
	v_xor3_b32 v20, v20, v11, v24
	v_xor3_b32 v23, v39, v19, v10
	s_delay_alu instid0(VALU_DEP_4) | instskip(NEXT) | instid1(VALU_DEP_3)
	v_xor3_b32 v15, v15, v13, v34
	v_mad_u64_u32 v[10:11], null, 0xcd9e8d57, v20, 0
	v_xor3_b32 v22, v26, v22, v12
	s_delay_alu instid0(VALU_DEP_4) | instskip(NEXT) | instid1(VALU_DEP_4)
	v_mad_u64_u32 v[19:20], null, 0xcd9e8d57, v23, 0
	v_mad_u64_u32 v[12:13], null, 0xd2511f53, v15, 0
	s_delay_alu instid0(VALU_DEP_3)
	v_mad_u64_u32 v[24:25], null, 0xd2511f53, v22, 0
	v_add_nc_u32_e32 v34, 0xdb3d7428, v17
	v_xor3_b32 v11, v26, v11, v35
	v_xor3_b32 v15, v33, v20, v10
	v_add_nc_u32_e32 v35, 0x96a522ad, v17
	v_xor3_b32 v13, v39, v13, v37
	v_and_b32_e32 v17, 3, v14
	v_xor3_b32 v20, v34, v25, v12
	v_mad_u64_u32 v[22:23], null, 0xd2511f53, v11, 0
	v_mad_u64_u32 v[10:11], null, 0xd2511f53, v15, 0
	;; [unrolled: 1-line block ×3, first 2 shown]
	s_delay_alu instid0(VALU_DEP_4) | instskip(SKIP_1) | instid1(VALU_DEP_4)
	v_mad_u64_u32 v[12:13], null, 0xcd9e8d57, v20, 0
	v_add_nc_u32_e32 v20, 0x8ff34781, v16
                                        ; implicit-def: $vgpr15
	v_xor3_b32 v16, v11, v22, v35
	s_delay_alu instid0(VALU_DEP_2)
	v_xor3_b32 v11, v13, v25, v20
	v_cmpx_lt_i32_e32 1, v17
	s_xor_b32 s0, exec_lo, s0
	s_cbranch_execz .LBB49_39
; %bb.34:                               ;   in Loop: Header=BB49_3 Depth=1
	s_mov_b32 s16, exec_lo
                                        ; implicit-def: $vgpr15
	v_cmpx_lt_i32_e32 2, v17
	s_xor_b32 s16, exec_lo, s16
; %bb.35:                               ;   in Loop: Header=BB49_3 Depth=1
	v_xor3_b32 v13, v33, v26, v21
                                        ; implicit-def: $vgpr16
	s_delay_alu instid0(VALU_DEP_1) | instskip(NEXT) | instid1(VALU_DEP_1)
	v_mul_hi_u32 v13, 0xd2511f53, v13
	v_xor3_b32 v15, v13, v24, v35
; %bb.36:                               ;   in Loop: Header=BB49_3 Depth=1
	s_and_not1_saveexec_b32 s16, s16
; %bb.37:                               ;   in Loop: Header=BB49_3 Depth=1
	v_dual_mov_b32 v15, v12 :: v_dual_mov_b32 v12, v11
	v_dual_mov_b32 v11, v10 :: v_dual_mov_b32 v10, v16
; %bb.38:                               ;   in Loop: Header=BB49_3 Depth=1
	s_or_b32 exec_lo, exec_lo, s16
                                        ; implicit-def: $vgpr18_vgpr19
                                        ; implicit-def: $vgpr17
                                        ; implicit-def: $vgpr16
                                        ; implicit-def: $vgpr34
                                        ; implicit-def: $vgpr22_vgpr23
                                        ; implicit-def: $vgpr19_vgpr20
                                        ; implicit-def: $vgpr20
.LBB49_39:                              ;   in Loop: Header=BB49_3 Depth=1
	s_and_not1_saveexec_b32 s0, s0
	s_cbranch_execz .LBB49_43
; %bb.40:                               ;   in Loop: Header=BB49_3 Depth=1
	v_xor3_b32 v12, v34, v23, v18
	v_cmp_eq_u32_e32 vcc_lo, 1, v17
	v_mov_b32_e32 v15, v10
	s_delay_alu instid0(VALU_DEP_3) | instskip(SKIP_1) | instid1(VALU_DEP_2)
	v_mad_u64_u32 v[13:14], null, 0xcd9e8d57, v12, 0
	v_mov_b32_e32 v12, v16
	v_xor3_b32 v17, v14, v19, v20
	s_delay_alu instid0(VALU_DEP_3)
	v_mov_b32_e32 v14, v13
	s_and_saveexec_b32 s16, vcc_lo
; %bb.41:                               ;   in Loop: Header=BB49_3 Depth=1
	v_dual_mov_b32 v15, v11 :: v_dual_mov_b32 v12, v10
	v_dual_mov_b32 v14, v16 :: v_dual_mov_b32 v17, v13
; %bb.42:                               ;   in Loop: Header=BB49_3 Depth=1
	s_or_b32 exec_lo, exec_lo, s16
	s_delay_alu instid0(VALU_DEP_1)
	v_dual_mov_b32 v10, v17 :: v_dual_mov_b32 v11, v14
.LBB49_43:                              ;   in Loop: Header=BB49_3 Depth=1
	s_or_b32 exec_lo, exec_lo, s0
	v_min_i32_e32 v13, 4, v30
	s_mov_b32 s16, 0
	s_mov_b32 s39, 0
	;; [unrolled: 1-line block ×3, first 2 shown]
                                        ; implicit-def: $sgpr35
                                        ; implicit-def: $sgpr36
                                        ; implicit-def: $sgpr37
	s_mov_b32 s0, exec_lo
	v_cmpx_lt_i32_e32 2, v13
	s_xor_b32 s38, exec_lo, s0
	s_cbranch_execz .LBB49_55
; %bb.44:                               ;   in Loop: Header=BB49_3 Depth=1
	s_mov_b32 s0, -1
	s_mov_b32 s40, 0
	s_mov_b32 s36, exec_lo
                                        ; implicit-def: $sgpr17
                                        ; implicit-def: $sgpr35
	v_cmpx_lt_i32_e32 3, v13
	s_cbranch_execz .LBB49_50
; %bb.45:                               ;   in Loop: Header=BB49_3 Depth=1
	s_mov_b32 s0, 0
	s_mov_b32 s40, -1
	s_mov_b32 s37, exec_lo
                                        ; implicit-def: $sgpr17
                                        ; implicit-def: $sgpr35
	v_cmpx_eq_u32_e32 4, v13
	s_cbranch_execz .LBB49_49
; %bb.46:                               ;   in Loop: Header=BB49_3 Depth=1
	v_cmp_le_f32_e32 vcc_lo, 0, v32
	v_cmp_ge_f32_e64 s0, 1.0, v32
	s_mov_b32 s17, 0
	s_delay_alu instid0(VALU_DEP_1)
	s_and_b32 s40, vcc_lo, s0
	s_mov_b32 s0, 0
	s_and_saveexec_b32 s35, s40
	s_cbranch_execz .LBB49_48
; %bb.47:                               ;   in Loop: Header=BB49_3 Depth=1
	v_cvt_f32_u32_e32 v14, v15
	v_lshlrev_b64 v[8:9], 3, v[8:9]
	s_mov_b32 s0, exec_lo
	s_delay_alu instid0(VALU_DEP_2) | instskip(NEXT) | instid1(VALU_DEP_2)
	v_dual_mov_b32 v15, s1 :: v_dual_fmaak_f32 v14, 0x2f800000, v14, 0x2f800000
	v_add_co_u32 v8, vcc_lo, s10, v8
	s_delay_alu instid0(VALU_DEP_3) | instskip(NEXT) | instid1(VALU_DEP_3)
	v_add_co_ci_u32_e32 v9, vcc_lo, s11, v9, vcc_lo
	v_cmp_le_f32_e32 vcc_lo, v14, v32
	v_cndmask_b32_e64 v14, 0, 1, vcc_lo
	global_store_b64 v[8:9], v[14:15], off
.LBB49_48:                              ;   in Loop: Header=BB49_3 Depth=1
	s_or_b32 exec_lo, exec_lo, s35
	s_mov_b32 s35, -1
	s_xor_b32 s40, exec_lo, -1
	s_and_b32 s0, s0, exec_lo
.LBB49_49:                              ;   in Loop: Header=BB49_3 Depth=1
	s_or_b32 exec_lo, exec_lo, s37
	s_delay_alu instid0(SALU_CYCLE_1)
	s_and_b32 s40, s40, exec_lo
	s_or_not1_b32 s0, s0, exec_lo
.LBB49_50:                              ;   in Loop: Header=BB49_3 Depth=1
	s_or_b32 exec_lo, exec_lo, s36
	s_mov_b32 s37, s17
	s_and_saveexec_b32 s36, s0
	s_cbranch_execz .LBB49_54
; %bb.51:                               ;   in Loop: Header=BB49_3 Depth=1
	v_cmp_le_f32_e32 vcc_lo, 0, v31
	v_cmp_ge_f32_e64 s0, 1.0, v31
	s_delay_alu instid0(VALU_DEP_1) | instskip(SKIP_2) | instid1(SALU_CYCLE_1)
	s_and_b32 s37, vcc_lo, s0
	s_mov_b32 s0, 0
	s_and_saveexec_b32 s39, s37
	s_xor_b32 s37, exec_lo, s39
	s_cbranch_execz .LBB49_53
; %bb.52:                               ;   in Loop: Header=BB49_3 Depth=1
	v_cvt_f32_u32_e32 v9, v12
	v_dual_mov_b32 v8, v4 :: v_dual_mov_b32 v15, s1
	s_mov_b32 s0, exec_lo
	s_delay_alu instid0(VALU_DEP_2) | instskip(NEXT) | instid1(VALU_DEP_2)
	v_fmaak_f32 v9, 0x2f800000, v9, 0x2f800000
	v_lshlrev_b64 v[7:8], 3, v[7:8]
	s_delay_alu instid0(VALU_DEP_2) | instskip(SKIP_1) | instid1(VALU_DEP_3)
	v_cmp_le_f32_e32 vcc_lo, v9, v31
	v_cndmask_b32_e64 v14, 0, 1, vcc_lo
	v_add_co_u32 v7, vcc_lo, s10, v7
	s_delay_alu instid0(VALU_DEP_4)
	v_add_co_ci_u32_e32 v8, vcc_lo, s11, v8, vcc_lo
	global_store_b64 v[7:8], v[14:15], off
.LBB49_53:                              ;   in Loop: Header=BB49_3 Depth=1
	s_or_b32 exec_lo, exec_lo, s37
	s_delay_alu instid0(SALU_CYCLE_1)
	s_and_not1_b32 s37, s17, exec_lo
	s_or_b32 s17, s17, exec_lo
	s_and_not1_b32 s35, s35, exec_lo
	s_and_b32 s39, s0, exec_lo
.LBB49_54:                              ;   in Loop: Header=BB49_3 Depth=1
	s_or_b32 exec_lo, exec_lo, s36
	s_delay_alu instid0(SALU_CYCLE_1)
	s_and_b32 s37, s37, exec_lo
	s_and_b32 s36, s17, exec_lo
	;; [unrolled: 1-line block ×5, first 2 shown]
.LBB49_55:                              ;   in Loop: Header=BB49_3 Depth=1
	s_and_not1_saveexec_b32 s0, s38
; %bb.56:                               ;   in Loop: Header=BB49_3 Depth=1
	v_cmp_lt_i32_e32 vcc_lo, 1, v13
	s_and_not1_b32 s38, s39, exec_lo
	s_mov_b32 s16, exec_lo
	s_and_not1_b32 s37, s37, exec_lo
	s_and_not1_b32 s36, s36, exec_lo
	s_and_b32 s39, vcc_lo, exec_lo
	s_and_not1_b32 s35, s35, exec_lo
	s_or_b32 s39, s38, s39
; %bb.57:                               ;   in Loop: Header=BB49_3 Depth=1
	s_or_b32 exec_lo, exec_lo, s0
	s_mov_b32 s0, 0
	s_mov_b32 s38, s37
	s_and_saveexec_b32 s40, s39
	s_cbranch_execnz .LBB49_60
; %bb.58:                               ;   in Loop: Header=BB49_3 Depth=1
	s_or_b32 exec_lo, exec_lo, s40
	s_and_saveexec_b32 s39, s16
	s_cbranch_execnz .LBB49_63
.LBB49_59:                              ;   in Loop: Header=BB49_3 Depth=1
	s_or_b32 exec_lo, exec_lo, s39
	s_and_saveexec_b32 s16, s0
	s_cbranch_execnz .LBB49_64
	s_branch .LBB49_67
.LBB49_60:                              ;   in Loop: Header=BB49_3 Depth=1
	v_cmp_le_f32_e32 vcc_lo, 0, v3
	v_cmp_ge_f32_e64 s0, 1.0, v3
	s_delay_alu instid0(VALU_DEP_1) | instskip(SKIP_2) | instid1(SALU_CYCLE_1)
	s_and_b32 s38, vcc_lo, s0
	s_mov_b32 s0, 0
	s_and_saveexec_b32 s39, s38
	s_xor_b32 s38, exec_lo, s39
	s_cbranch_execz .LBB49_62
; %bb.61:                               ;   in Loop: Header=BB49_3 Depth=1
	v_cvt_f32_u32_e32 v8, v11
	v_mov_b32_e32 v7, v4
	v_mov_b32_e32 v9, s1
	s_mov_b32 s0, exec_lo
	s_delay_alu instid0(VALU_DEP_3) | instskip(NEXT) | instid1(VALU_DEP_3)
	v_fmaak_f32 v8, 0x2f800000, v8, 0x2f800000
	v_lshlrev_b64 v[6:7], 3, v[6:7]
	s_delay_alu instid0(VALU_DEP_2) | instskip(SKIP_1) | instid1(VALU_DEP_3)
	v_cmp_le_f32_e32 vcc_lo, v8, v3
	v_cndmask_b32_e64 v8, 0, 1, vcc_lo
	v_add_co_u32 v6, vcc_lo, s10, v6
	s_delay_alu instid0(VALU_DEP_4)
	v_add_co_ci_u32_e32 v7, vcc_lo, s11, v7, vcc_lo
	global_store_b64 v[6:7], v[8:9], off
.LBB49_62:                              ;   in Loop: Header=BB49_3 Depth=1
	s_or_b32 exec_lo, exec_lo, s38
	s_delay_alu instid0(SALU_CYCLE_1)
	s_and_not1_b32 s38, s37, exec_lo
	s_or_b32 s37, s37, exec_lo
	s_and_not1_b32 s36, s36, exec_lo
	s_and_not1_b32 s35, s35, exec_lo
	s_and_b32 s0, s0, exec_lo
	s_and_not1_b32 s16, s16, exec_lo
	s_or_b32 exec_lo, exec_lo, s40
	s_and_saveexec_b32 s39, s16
	s_cbranch_execz .LBB49_59
.LBB49_63:                              ;   in Loop: Header=BB49_3 Depth=1
	v_cmp_eq_u32_e32 vcc_lo, 1, v13
	s_and_not1_b32 s0, s0, exec_lo
	s_and_not1_b32 s38, s38, exec_lo
	;; [unrolled: 1-line block ×4, first 2 shown]
	s_and_b32 s16, vcc_lo, exec_lo
	s_and_not1_b32 s35, s35, exec_lo
	s_or_b32 s17, s17, exec_lo
	s_or_b32 s0, s0, s16
	s_or_b32 exec_lo, exec_lo, s39
	s_and_saveexec_b32 s16, s0
	s_cbranch_execz .LBB49_67
.LBB49_64:                              ;   in Loop: Header=BB49_3 Depth=1
	v_cmp_le_f32_e32 vcc_lo, 0, v0
	v_cmp_ge_f32_e64 s0, 1.0, v0
	s_delay_alu instid0(VALU_DEP_1)
	s_and_b32 s40, vcc_lo, s0
	s_mov_b32 s0, 0
	s_and_saveexec_b32 s39, s40
	s_cbranch_execz .LBB49_66
; %bb.65:                               ;   in Loop: Header=BB49_3 Depth=1
	v_cvt_f32_u32_e32 v3, v10
	v_mov_b32_e32 v6, v4
	v_mov_b32_e32 v8, s1
	s_mov_b32 s0, exec_lo
	s_delay_alu instid0(VALU_DEP_3) | instskip(NEXT) | instid1(VALU_DEP_3)
	v_fmaak_f32 v3, 0x2f800000, v3, 0x2f800000
	v_lshlrev_b64 v[5:6], 3, v[5:6]
	s_delay_alu instid0(VALU_DEP_2) | instskip(SKIP_1) | instid1(VALU_DEP_3)
	v_cmp_le_f32_e32 vcc_lo, v3, v0
	v_cndmask_b32_e64 v7, 0, 1, vcc_lo
	v_add_co_u32 v5, vcc_lo, s10, v5
	s_delay_alu instid0(VALU_DEP_4)
	v_add_co_ci_u32_e32 v6, vcc_lo, s11, v6, vcc_lo
	global_store_b64 v[5:6], v[7:8], off
.LBB49_66:                              ;   in Loop: Header=BB49_3 Depth=1
	s_or_b32 exec_lo, exec_lo, s39
	s_delay_alu instid0(SALU_CYCLE_1)
	s_and_not1_b32 s17, s17, exec_lo
	s_and_b32 s0, s0, exec_lo
	s_or_b32 s38, s38, exec_lo
	s_and_not1_b32 s37, s37, exec_lo
	s_and_not1_b32 s36, s36, exec_lo
	;; [unrolled: 1-line block ×3, first 2 shown]
	s_or_b32 s17, s17, s0
.LBB49_67:                              ;   in Loop: Header=BB49_3 Depth=1
	s_or_b32 exec_lo, exec_lo, s16
	s_delay_alu instid0(SALU_CYCLE_1)
	s_and_not1_b32 s16, s34, exec_lo
	s_and_b32 s34, s38, exec_lo
	s_and_not1_b32 s31, s31, exec_lo
	s_and_b32 s37, s37, exec_lo
	s_or_b32 s34, s16, s34
	s_and_not1_b32 s16, s33, exec_lo
	s_and_b32 s33, s36, exec_lo
	s_and_not1_b32 s30, s30, exec_lo
	s_and_b32 s35, s35, exec_lo
	s_mov_b32 s0, -1
	s_or_b32 s31, s31, s37
	s_or_b32 s33, s16, s33
	;; [unrolled: 1-line block ×3, first 2 shown]
	s_and_saveexec_b32 s16, s17
	s_cbranch_execz .LBB49_2
; %bb.68:                               ;   in Loop: Header=BB49_3 Depth=1
	v_add_nc_u32_e32 v27, s24, v27
	s_and_not1_b32 s34, s34, exec_lo
	s_and_not1_b32 s31, s31, exec_lo
	;; [unrolled: 1-line block ×4, first 2 shown]
	v_cmp_le_u32_e32 vcc_lo, s18, v27
	s_or_not1_b32 s0, vcc_lo, exec_lo
	s_branch .LBB49_2
.LBB49_69:
	s_or_b32 exec_lo, exec_lo, s26
	s_xor_b32 s3, s28, -1
	s_xor_b32 s4, s29, -1
	;; [unrolled: 1-line block ×3, first 2 shown]
	s_mov_b32 s1, 0
	s_and_saveexec_b32 s2, s0
	s_delay_alu instid0(SALU_CYCLE_1)
	s_xor_b32 s0, exec_lo, s2
	s_cbranch_execz .LBB49_78
; %bb.70:
	s_mov_b32 s2, 0
	s_and_saveexec_b32 s1, s4
	s_delay_alu instid0(SALU_CYCLE_1)
	s_xor_b32 s1, exec_lo, s1
	s_cbranch_execz .LBB49_76
; %bb.71:
	s_and_saveexec_b32 s4, s3
	s_delay_alu instid0(SALU_CYCLE_1)
	s_xor_b32 s3, exec_lo, s4
	s_cbranch_execz .LBB49_74
; %bb.72:
	s_and_saveexec_b32 s4, s23
	s_delay_alu instid0(SALU_CYCLE_1)
	s_xor_b32 s4, exec_lo, s4
	s_cbranch_execnz .LBB49_92
.LBB49_73:
	s_or_b32 exec_lo, exec_lo, s4
	s_delay_alu instid0(SALU_CYCLE_1)
	s_and_b32 s2, s2, exec_lo
.LBB49_74:
	s_and_not1_saveexec_b32 s3, s3
	s_cbranch_execnz .LBB49_88
.LBB49_75:
	s_or_b32 exec_lo, exec_lo, s3
	s_delay_alu instid0(SALU_CYCLE_1)
	s_and_b32 s2, s2, exec_lo
.LBB49_76:
	s_and_not1_saveexec_b32 s1, s1
	s_cbranch_execnz .LBB49_84
.LBB49_77:
	s_or_b32 exec_lo, exec_lo, s1
	s_delay_alu instid0(SALU_CYCLE_1)
	s_and_b32 s1, s2, exec_lo
.LBB49_78:
	s_and_not1_saveexec_b32 s0, s0
	s_cbranch_execnz .LBB49_82
; %bb.79:
	s_or_b32 exec_lo, exec_lo, s0
	s_delay_alu instid0(SALU_CYCLE_1)
	s_and_b32 exec_lo, exec_lo, s1
.LBB49_80:
	; divergent unreachable
.LBB49_81:
	s_nop 0
	s_sendmsg sendmsg(MSG_DEALLOC_VGPRS)
	s_endpgm
.LBB49_82:
	s_cbranch_execnz .LBB49_86
; %bb.83:
	s_or_b32 s1, s1, exec_lo
	s_or_b32 exec_lo, exec_lo, s0
	s_delay_alu instid0(SALU_CYCLE_1)
	s_and_b32 exec_lo, exec_lo, s1
	s_cbranch_execnz .LBB49_80
	s_branch .LBB49_81
.LBB49_84:
	s_cbranch_execnz .LBB49_90
; %bb.85:
	s_or_b32 s2, s2, exec_lo
	s_branch .LBB49_77
.LBB49_86:
	s_trap 2
	s_sendmsg_rtn_b32 s0, sendmsg(MSG_RTN_GET_DOORBELL)
	s_mov_b32 ttmp2, m0
	s_waitcnt lgkmcnt(0)
	s_and_b32 s0, s0, 0x3ff
	s_delay_alu instid0(SALU_CYCLE_1) | instskip(NEXT) | instid1(SALU_CYCLE_1)
	s_bitset1_b32 s0, 10
	s_mov_b32 m0, s0
	s_sendmsg sendmsg(MSG_INTERRUPT)
	s_mov_b32 m0, ttmp2
.LBB49_87:                              ; =>This Inner Loop Header: Depth=1
	s_sethalt 5
	s_branch .LBB49_87
.LBB49_88:
	s_cbranch_execnz .LBB49_94
; %bb.89:
	s_or_b32 s2, s2, exec_lo
	s_branch .LBB49_75
.LBB49_90:
	s_trap 2
	s_sendmsg_rtn_b32 s0, sendmsg(MSG_RTN_GET_DOORBELL)
	s_mov_b32 ttmp2, m0
	s_waitcnt lgkmcnt(0)
	s_and_b32 s0, s0, 0x3ff
	s_delay_alu instid0(SALU_CYCLE_1) | instskip(NEXT) | instid1(SALU_CYCLE_1)
	s_bitset1_b32 s0, 10
	s_mov_b32 m0, s0
	s_sendmsg sendmsg(MSG_INTERRUPT)
	s_mov_b32 m0, ttmp2
.LBB49_91:                              ; =>This Inner Loop Header: Depth=1
	s_sethalt 5
	s_branch .LBB49_91
.LBB49_92:
	s_cbranch_execnz .LBB49_96
; %bb.93:
	s_mov_b32 s2, exec_lo
	s_branch .LBB49_73
.LBB49_94:
	s_trap 2
	s_sendmsg_rtn_b32 s0, sendmsg(MSG_RTN_GET_DOORBELL)
	s_mov_b32 ttmp2, m0
	s_waitcnt lgkmcnt(0)
	s_and_b32 s0, s0, 0x3ff
	s_delay_alu instid0(SALU_CYCLE_1) | instskip(NEXT) | instid1(SALU_CYCLE_1)
	s_bitset1_b32 s0, 10
	s_mov_b32 m0, s0
	s_sendmsg sendmsg(MSG_INTERRUPT)
	s_mov_b32 m0, ttmp2
.LBB49_95:                              ; =>This Inner Loop Header: Depth=1
	s_sethalt 5
	s_branch .LBB49_95
.LBB49_96:
	s_trap 2
	s_sendmsg_rtn_b32 s0, sendmsg(MSG_RTN_GET_DOORBELL)
	s_mov_b32 ttmp2, m0
	s_waitcnt lgkmcnt(0)
	s_and_b32 s0, s0, 0x3ff
	s_delay_alu instid0(SALU_CYCLE_1) | instskip(NEXT) | instid1(SALU_CYCLE_1)
	s_bitset1_b32 s0, 10
	s_mov_b32 m0, s0
	s_sendmsg sendmsg(MSG_INTERRUPT)
	s_mov_b32 m0, ttmp2
.LBB49_97:                              ; =>This Inner Loop Header: Depth=1
	s_sethalt 5
	s_branch .LBB49_97
	.section	.rodata,"a",@progbits
	.p2align	6, 0x0
	.amdhsa_kernel _ZN2at4cuda12_GLOBAL__N_121kernelPointwiseApply2IZNS_6native9templates4cuda28bernoulli_tensor_cuda_kernelIlfEEvRKNS_10TensorBaseES9_NS_15PhiloxCudaStateEEUliRlSB_SB_SB_RKfSD_SD_SD_E_lSC_jLi2ELin1ELi4ELi512ELi2EEEvNS0_6detail10TensorInfoIT0_T2_EENSG_IT1_SI_EESI_T_
		.amdhsa_group_segment_fixed_size 0
		.amdhsa_private_segment_fixed_size 0
		.amdhsa_kernarg_size 728
		.amdhsa_user_sgpr_count 15
		.amdhsa_user_sgpr_dispatch_ptr 0
		.amdhsa_user_sgpr_queue_ptr 0
		.amdhsa_user_sgpr_kernarg_segment_ptr 1
		.amdhsa_user_sgpr_dispatch_id 0
		.amdhsa_user_sgpr_private_segment_size 0
		.amdhsa_wavefront_size32 1
		.amdhsa_uses_dynamic_stack 0
		.amdhsa_enable_private_segment 0
		.amdhsa_system_sgpr_workgroup_id_x 1
		.amdhsa_system_sgpr_workgroup_id_y 0
		.amdhsa_system_sgpr_workgroup_id_z 0
		.amdhsa_system_sgpr_workgroup_info 0
		.amdhsa_system_vgpr_workitem_id 0
		.amdhsa_next_free_vgpr 41
		.amdhsa_next_free_sgpr 41
		.amdhsa_reserve_vcc 1
		.amdhsa_float_round_mode_32 0
		.amdhsa_float_round_mode_16_64 0
		.amdhsa_float_denorm_mode_32 3
		.amdhsa_float_denorm_mode_16_64 3
		.amdhsa_dx10_clamp 1
		.amdhsa_ieee_mode 1
		.amdhsa_fp16_overflow 0
		.amdhsa_workgroup_processor_mode 1
		.amdhsa_memory_ordered 1
		.amdhsa_forward_progress 0
		.amdhsa_shared_vgpr_count 0
		.amdhsa_exception_fp_ieee_invalid_op 0
		.amdhsa_exception_fp_denorm_src 0
		.amdhsa_exception_fp_ieee_div_zero 0
		.amdhsa_exception_fp_ieee_overflow 0
		.amdhsa_exception_fp_ieee_underflow 0
		.amdhsa_exception_fp_ieee_inexact 0
		.amdhsa_exception_int_div_zero 0
	.end_amdhsa_kernel
	.section	.text._ZN2at4cuda12_GLOBAL__N_121kernelPointwiseApply2IZNS_6native9templates4cuda28bernoulli_tensor_cuda_kernelIlfEEvRKNS_10TensorBaseES9_NS_15PhiloxCudaStateEEUliRlSB_SB_SB_RKfSD_SD_SD_E_lSC_jLi2ELin1ELi4ELi512ELi2EEEvNS0_6detail10TensorInfoIT0_T2_EENSG_IT1_SI_EESI_T_,"axG",@progbits,_ZN2at4cuda12_GLOBAL__N_121kernelPointwiseApply2IZNS_6native9templates4cuda28bernoulli_tensor_cuda_kernelIlfEEvRKNS_10TensorBaseES9_NS_15PhiloxCudaStateEEUliRlSB_SB_SB_RKfSD_SD_SD_E_lSC_jLi2ELin1ELi4ELi512ELi2EEEvNS0_6detail10TensorInfoIT0_T2_EENSG_IT1_SI_EESI_T_,comdat
.Lfunc_end49:
	.size	_ZN2at4cuda12_GLOBAL__N_121kernelPointwiseApply2IZNS_6native9templates4cuda28bernoulli_tensor_cuda_kernelIlfEEvRKNS_10TensorBaseES9_NS_15PhiloxCudaStateEEUliRlSB_SB_SB_RKfSD_SD_SD_E_lSC_jLi2ELin1ELi4ELi512ELi2EEEvNS0_6detail10TensorInfoIT0_T2_EENSG_IT1_SI_EESI_T_, .Lfunc_end49-_ZN2at4cuda12_GLOBAL__N_121kernelPointwiseApply2IZNS_6native9templates4cuda28bernoulli_tensor_cuda_kernelIlfEEvRKNS_10TensorBaseES9_NS_15PhiloxCudaStateEEUliRlSB_SB_SB_RKfSD_SD_SD_E_lSC_jLi2ELin1ELi4ELi512ELi2EEEvNS0_6detail10TensorInfoIT0_T2_EENSG_IT1_SI_EESI_T_
                                        ; -- End function
	.section	.AMDGPU.csdata,"",@progbits
; Kernel info:
; codeLenInByte = 4876
; NumSgprs: 43
; NumVgprs: 41
; ScratchSize: 0
; MemoryBound: 0
; FloatMode: 240
; IeeeMode: 1
; LDSByteSize: 0 bytes/workgroup (compile time only)
; SGPRBlocks: 5
; VGPRBlocks: 5
; NumSGPRsForWavesPerEU: 43
; NumVGPRsForWavesPerEU: 41
; Occupancy: 16
; WaveLimiterHint : 1
; COMPUTE_PGM_RSRC2:SCRATCH_EN: 0
; COMPUTE_PGM_RSRC2:USER_SGPR: 15
; COMPUTE_PGM_RSRC2:TRAP_HANDLER: 0
; COMPUTE_PGM_RSRC2:TGID_X_EN: 1
; COMPUTE_PGM_RSRC2:TGID_Y_EN: 0
; COMPUTE_PGM_RSRC2:TGID_Z_EN: 0
; COMPUTE_PGM_RSRC2:TIDIG_COMP_CNT: 0
	.section	.text._ZN2at4cuda12_GLOBAL__N_121kernelPointwiseApply2IZNS_6native9templates4cuda28bernoulli_tensor_cuda_kernelIlfEEvRKNS_10TensorBaseES9_NS_15PhiloxCudaStateEEUliRlSB_SB_SB_RKfSD_SD_SD_E_lSC_jLin1ELi1ELi4ELi512ELi2EEEvNS0_6detail10TensorInfoIT0_T2_EENSG_IT1_SI_EESI_T_,"axG",@progbits,_ZN2at4cuda12_GLOBAL__N_121kernelPointwiseApply2IZNS_6native9templates4cuda28bernoulli_tensor_cuda_kernelIlfEEvRKNS_10TensorBaseES9_NS_15PhiloxCudaStateEEUliRlSB_SB_SB_RKfSD_SD_SD_E_lSC_jLin1ELi1ELi4ELi512ELi2EEEvNS0_6detail10TensorInfoIT0_T2_EENSG_IT1_SI_EESI_T_,comdat
	.globl	_ZN2at4cuda12_GLOBAL__N_121kernelPointwiseApply2IZNS_6native9templates4cuda28bernoulli_tensor_cuda_kernelIlfEEvRKNS_10TensorBaseES9_NS_15PhiloxCudaStateEEUliRlSB_SB_SB_RKfSD_SD_SD_E_lSC_jLin1ELi1ELi4ELi512ELi2EEEvNS0_6detail10TensorInfoIT0_T2_EENSG_IT1_SI_EESI_T_ ; -- Begin function _ZN2at4cuda12_GLOBAL__N_121kernelPointwiseApply2IZNS_6native9templates4cuda28bernoulli_tensor_cuda_kernelIlfEEvRKNS_10TensorBaseES9_NS_15PhiloxCudaStateEEUliRlSB_SB_SB_RKfSD_SD_SD_E_lSC_jLin1ELi1ELi4ELi512ELi2EEEvNS0_6detail10TensorInfoIT0_T2_EENSG_IT1_SI_EESI_T_
	.p2align	8
	.type	_ZN2at4cuda12_GLOBAL__N_121kernelPointwiseApply2IZNS_6native9templates4cuda28bernoulli_tensor_cuda_kernelIlfEEvRKNS_10TensorBaseES9_NS_15PhiloxCudaStateEEUliRlSB_SB_SB_RKfSD_SD_SD_E_lSC_jLin1ELi1ELi4ELi512ELi2EEEvNS0_6detail10TensorInfoIT0_T2_EENSG_IT1_SI_EESI_T_,@function
_ZN2at4cuda12_GLOBAL__N_121kernelPointwiseApply2IZNS_6native9templates4cuda28bernoulli_tensor_cuda_kernelIlfEEvRKNS_10TensorBaseES9_NS_15PhiloxCudaStateEEUliRlSB_SB_SB_RKfSD_SD_SD_E_lSC_jLin1ELi1ELi4ELi512ELi2EEEvNS0_6detail10TensorInfoIT0_T2_EENSG_IT1_SI_EESI_T_: ; @_ZN2at4cuda12_GLOBAL__N_121kernelPointwiseApply2IZNS_6native9templates4cuda28bernoulli_tensor_cuda_kernelIlfEEvRKNS_10TensorBaseES9_NS_15PhiloxCudaStateEEUliRlSB_SB_SB_RKfSD_SD_SD_E_lSC_jLin1ELi1ELi4ELi512ELi2EEEvNS0_6detail10TensorInfoIT0_T2_EENSG_IT1_SI_EESI_T_
; %bb.0:
	s_clause 0x1
	s_load_b32 s4, s[0:1], 0x1e4
	s_load_b32 s20, s[0:1], 0x1b0
	s_add_u32 s2, s0, 0x1d8
	s_addc_u32 s3, s1, 0
	s_waitcnt lgkmcnt(0)
	s_and_b32 s14, s4, 0xffff
	s_mov_b32 s4, exec_lo
	v_mad_u64_u32 v[1:2], null, s15, s14, v[0:1]
	s_delay_alu instid0(VALU_DEP_1) | instskip(NEXT) | instid1(VALU_DEP_1)
	v_lshlrev_b32_e32 v29, 2, v1
	v_cmpx_gt_u32_e64 s20, v29
	s_cbranch_execz .LBB50_73
; %bb.1:
	s_load_b32 s16, s[0:1], 0xd0
	s_load_b32 s2, s[2:3], 0x0
	s_clause 0x6
	s_load_b32 s3, s[0:1], 0x1d0
	s_load_b64 s[8:9], s[0:1], 0xd8
	s_load_b64 s[10:11], s[0:1], 0x1c8
	s_load_b32 s21, s[0:1], 0x144
	s_load_b128 s[4:7], s[0:1], 0x1b8
	s_load_b32 s22, s[0:1], 0x6c
	s_load_b64 s[12:13], s[0:1], 0x0
	v_mad_u64_u32 v[2:3], null, 0xcd9e8d57, v1, 0
	s_mov_b32 s15, 0
	v_mov_b32_e32 v4, 0
	s_mov_b32 s27, 0
                                        ; implicit-def: $sgpr28
                                        ; implicit-def: $sgpr30
                                        ; implicit-def: $sgpr29
                                        ; implicit-def: $sgpr31
                                        ; implicit-def: $sgpr34
                                        ; implicit-def: $sgpr33
                                        ; implicit-def: $sgpr35
	s_delay_alu instid0(VALU_DEP_2)
	v_mov_b32_e32 v30, v3
	s_waitcnt lgkmcnt(0)
	s_cmp_gt_i32 s16, 1
	s_mul_i32 s2, s2, s14
	s_cselect_b32 s23, -1, 0
	s_bitcmp1_b32 s3, 0
	s_cselect_b32 s24, -1, 0
	s_add_i32 s14, s16, -1
	s_lshl_b32 s25, s2, 2
	s_lshl_b64 s[2:3], s[14:15], 2
	s_add_i32 s26, s16, 1
	s_add_u32 s0, s2, s0
	s_addc_u32 s1, s3, s1
	s_add_u32 s16, s0, 8
	s_addc_u32 s17, s1, 0
                                        ; implicit-def: $sgpr14
	s_branch .LBB50_3
.LBB50_2:                               ;   in Loop: Header=BB50_3 Depth=1
	s_or_b32 exec_lo, exec_lo, s1
	s_delay_alu instid0(SALU_CYCLE_1) | instskip(NEXT) | instid1(SALU_CYCLE_1)
	s_and_b32 s0, exec_lo, s0
	s_or_b32 s27, s0, s27
	s_and_not1_b32 s0, s14, exec_lo
	s_and_b32 s1, s35, exec_lo
	s_and_not1_b32 s2, s29, exec_lo
	s_and_b32 s3, s33, exec_lo
	s_or_b32 s14, s0, s1
	s_or_b32 s29, s2, s3
	s_and_not1_b32 s0, s30, exec_lo
	s_and_b32 s1, s34, exec_lo
	s_and_not1_b32 s2, s28, exec_lo
	s_and_b32 s3, s31, exec_lo
	s_or_b32 s30, s0, s1
	s_or_b32 s28, s2, s3
	s_and_not1_b32 exec_lo, exec_lo, s27
	s_cbranch_execz .LBB50_61
.LBB50_3:                               ; =>This Loop Header: Depth=1
                                        ;     Child Loop BB50_6 Depth 2
                                        ;     Child Loop BB50_11 Depth 2
	;; [unrolled: 1-line block ×4, first 2 shown]
	v_sub_nc_u32_e32 v31, s20, v29
	v_mov_b32_e32 v5, 0
	s_delay_alu instid0(VALU_DEP_2) | instskip(NEXT) | instid1(VALU_DEP_1)
	v_cmp_lt_i32_e64 s0, 0, v31
	s_and_saveexec_b32 s1, s0
	s_cbranch_execz .LBB50_8
; %bb.4:                                ;   in Loop: Header=BB50_3 Depth=1
	v_dual_mov_b32 v0, 0 :: v_dual_mov_b32 v3, v29
	s_and_not1_b32 vcc_lo, exec_lo, s23
	s_cbranch_vccnz .LBB50_7
; %bb.5:                                ;   in Loop: Header=BB50_3 Depth=1
	v_dual_mov_b32 v0, 0 :: v_dual_mov_b32 v3, v29
	s_mov_b64 s[2:3], s[16:17]
	s_mov_b32 s18, s26
	s_set_inst_prefetch_distance 0x1
	.p2align	6
.LBB50_6:                               ;   Parent Loop BB50_3 Depth=1
                                        ; =>  This Inner Loop Header: Depth=2
	s_clause 0x1
	s_load_b32 s19, s[2:3], 0x0
	s_load_b32 s36, s[2:3], 0x64
	v_mov_b32_e32 v7, v3
	s_add_i32 s18, s18, -1
	s_waitcnt lgkmcnt(0)
	v_cvt_f32_u32_e32 v5, s19
	s_sub_i32 s37, 0, s19
	s_add_u32 s2, s2, -4
	s_addc_u32 s3, s3, -1
	s_cmp_gt_u32 s18, 2
	v_rcp_iflag_f32_e32 v5, v5
	s_waitcnt_depctr 0xfff
	v_mul_f32_e32 v5, 0x4f7ffffe, v5
	s_delay_alu instid0(VALU_DEP_1) | instskip(NEXT) | instid1(VALU_DEP_1)
	v_cvt_u32_f32_e32 v5, v5
	v_mul_lo_u32 v6, s37, v5
	s_delay_alu instid0(VALU_DEP_1) | instskip(NEXT) | instid1(VALU_DEP_1)
	v_mul_hi_u32 v6, v5, v6
	v_add_nc_u32_e32 v3, v5, v6
	s_delay_alu instid0(VALU_DEP_1) | instskip(NEXT) | instid1(VALU_DEP_1)
	v_mul_hi_u32 v3, v7, v3
	v_add_nc_u32_e32 v6, 1, v3
	v_mul_lo_u32 v5, v3, s19
	s_delay_alu instid0(VALU_DEP_1) | instskip(NEXT) | instid1(VALU_DEP_1)
	v_sub_nc_u32_e32 v5, v7, v5
	v_subrev_nc_u32_e32 v8, s19, v5
	v_cmp_le_u32_e32 vcc_lo, s19, v5
	v_cndmask_b32_e32 v3, v3, v6, vcc_lo
	s_delay_alu instid0(VALU_DEP_1) | instskip(NEXT) | instid1(VALU_DEP_1)
	v_dual_cndmask_b32 v5, v5, v8 :: v_dual_add_nc_u32 v6, 1, v3
	v_cmp_le_u32_e32 vcc_lo, s19, v5
	s_delay_alu instid0(VALU_DEP_2) | instskip(NEXT) | instid1(VALU_DEP_1)
	v_cndmask_b32_e32 v3, v3, v6, vcc_lo
	v_mul_lo_u32 v5, v3, s19
	s_delay_alu instid0(VALU_DEP_1) | instskip(NEXT) | instid1(VALU_DEP_1)
	v_sub_nc_u32_e32 v7, v7, v5
	v_mad_u64_u32 v[5:6], null, s36, v7, v[0:1]
	s_delay_alu instid0(VALU_DEP_1)
	v_mov_b32_e32 v0, v5
	s_cbranch_scc1 .LBB50_6
.LBB50_7:                               ;   in Loop: Header=BB50_3 Depth=1
	s_set_inst_prefetch_distance 0x2
	s_delay_alu instid0(VALU_DEP_1)
	v_mad_u64_u32 v[5:6], null, s22, v3, v[0:1]
.LBB50_8:                               ;   in Loop: Header=BB50_3 Depth=1
	s_or_b32 exec_lo, exec_lo, s1
	v_mov_b32_e32 v6, 0
	v_mov_b32_e32 v7, 0
	v_cmp_lt_i32_e64 s1, 1, v31
	s_delay_alu instid0(VALU_DEP_1)
	s_and_saveexec_b32 s18, s1
	s_cbranch_execz .LBB50_13
; %bb.9:                                ;   in Loop: Header=BB50_3 Depth=1
	v_or_b32_e32 v3, 1, v29
	v_mov_b32_e32 v0, 0
	s_and_not1_b32 vcc_lo, exec_lo, s23
	s_cbranch_vccnz .LBB50_12
; %bb.10:                               ;   in Loop: Header=BB50_3 Depth=1
	v_mov_b32_e32 v0, 0
	s_mov_b64 s[2:3], s[16:17]
	s_mov_b32 s19, s26
	s_set_inst_prefetch_distance 0x1
	.p2align	6
.LBB50_11:                              ;   Parent Loop BB50_3 Depth=1
                                        ; =>  This Inner Loop Header: Depth=2
	s_clause 0x1
	s_load_b32 s36, s[2:3], 0x0
	s_load_b32 s37, s[2:3], 0x64
	s_add_i32 s19, s19, -1
	s_waitcnt lgkmcnt(0)
	v_cvt_f32_u32_e32 v6, s36
	s_sub_i32 s38, 0, s36
	s_add_u32 s2, s2, -4
	s_addc_u32 s3, s3, -1
	s_cmp_gt_u32 s19, 2
	v_rcp_iflag_f32_e32 v6, v6
	s_waitcnt_depctr 0xfff
	v_mul_f32_e32 v6, 0x4f7ffffe, v6
	s_delay_alu instid0(VALU_DEP_1) | instskip(NEXT) | instid1(VALU_DEP_1)
	v_cvt_u32_f32_e32 v6, v6
	v_mul_lo_u32 v7, s38, v6
	s_delay_alu instid0(VALU_DEP_1) | instskip(NEXT) | instid1(VALU_DEP_1)
	v_mul_hi_u32 v7, v6, v7
	v_dual_mov_b32 v8, v3 :: v_dual_add_nc_u32 v3, v6, v7
	s_delay_alu instid0(VALU_DEP_1) | instskip(NEXT) | instid1(VALU_DEP_1)
	v_mul_hi_u32 v3, v8, v3
	v_mul_lo_u32 v6, v3, s36
	v_add_nc_u32_e32 v7, 1, v3
	s_delay_alu instid0(VALU_DEP_2) | instskip(NEXT) | instid1(VALU_DEP_1)
	v_sub_nc_u32_e32 v6, v8, v6
	v_subrev_nc_u32_e32 v9, s36, v6
	v_cmp_le_u32_e32 vcc_lo, s36, v6
	s_delay_alu instid0(VALU_DEP_2) | instskip(NEXT) | instid1(VALU_DEP_1)
	v_dual_cndmask_b32 v3, v3, v7 :: v_dual_cndmask_b32 v6, v6, v9
	v_add_nc_u32_e32 v7, 1, v3
	s_delay_alu instid0(VALU_DEP_2) | instskip(NEXT) | instid1(VALU_DEP_2)
	v_cmp_le_u32_e32 vcc_lo, s36, v6
	v_cndmask_b32_e32 v3, v3, v7, vcc_lo
	s_delay_alu instid0(VALU_DEP_1) | instskip(NEXT) | instid1(VALU_DEP_1)
	v_mul_lo_u32 v6, v3, s36
	v_sub_nc_u32_e32 v8, v8, v6
	s_delay_alu instid0(VALU_DEP_1) | instskip(NEXT) | instid1(VALU_DEP_1)
	v_mad_u64_u32 v[6:7], null, s37, v8, v[0:1]
	v_mov_b32_e32 v0, v6
	s_cbranch_scc1 .LBB50_11
.LBB50_12:                              ;   in Loop: Header=BB50_3 Depth=1
	s_set_inst_prefetch_distance 0x2
	s_delay_alu instid0(VALU_DEP_1)
	v_mad_u64_u32 v[6:7], null, s22, v3, v[0:1]
	v_mov_b32_e32 v7, v4
.LBB50_13:                              ;   in Loop: Header=BB50_3 Depth=1
	s_or_b32 exec_lo, exec_lo, s18
	v_mov_b32_e32 v8, 0
	v_mov_b32_e32 v9, 0
	v_cmp_lt_i32_e64 s2, 2, v31
	s_delay_alu instid0(VALU_DEP_1)
	s_and_saveexec_b32 s3, s2
	s_cbranch_execz .LBB50_18
; %bb.14:                               ;   in Loop: Header=BB50_3 Depth=1
	v_or_b32_e32 v3, 2, v29
	v_mov_b32_e32 v0, 0
	s_and_not1_b32 vcc_lo, exec_lo, s23
	s_cbranch_vccnz .LBB50_17
; %bb.15:                               ;   in Loop: Header=BB50_3 Depth=1
	v_mov_b32_e32 v0, 0
	s_mov_b64 s[18:19], s[16:17]
	s_mov_b32 s36, s26
	s_set_inst_prefetch_distance 0x1
	.p2align	6
.LBB50_16:                              ;   Parent Loop BB50_3 Depth=1
                                        ; =>  This Inner Loop Header: Depth=2
	s_clause 0x1
	s_load_b32 s37, s[18:19], 0x0
	s_load_b32 s38, s[18:19], 0x64
	s_add_i32 s36, s36, -1
	s_waitcnt lgkmcnt(0)
	v_cvt_f32_u32_e32 v8, s37
	s_sub_i32 s39, 0, s37
	s_add_u32 s18, s18, -4
	s_addc_u32 s19, s19, -1
	s_cmp_gt_u32 s36, 2
	v_rcp_iflag_f32_e32 v8, v8
	s_waitcnt_depctr 0xfff
	v_mul_f32_e32 v8, 0x4f7ffffe, v8
	s_delay_alu instid0(VALU_DEP_1) | instskip(NEXT) | instid1(VALU_DEP_1)
	v_cvt_u32_f32_e32 v8, v8
	v_mul_lo_u32 v9, s39, v8
	s_delay_alu instid0(VALU_DEP_1) | instskip(NEXT) | instid1(VALU_DEP_1)
	v_mul_hi_u32 v9, v8, v9
	v_dual_mov_b32 v10, v3 :: v_dual_add_nc_u32 v3, v8, v9
	s_delay_alu instid0(VALU_DEP_1) | instskip(NEXT) | instid1(VALU_DEP_1)
	v_mul_hi_u32 v3, v10, v3
	v_mul_lo_u32 v8, v3, s37
	v_add_nc_u32_e32 v9, 1, v3
	s_delay_alu instid0(VALU_DEP_2) | instskip(NEXT) | instid1(VALU_DEP_1)
	v_sub_nc_u32_e32 v8, v10, v8
	v_subrev_nc_u32_e32 v11, s37, v8
	v_cmp_le_u32_e32 vcc_lo, s37, v8
	s_delay_alu instid0(VALU_DEP_2) | instskip(NEXT) | instid1(VALU_DEP_1)
	v_dual_cndmask_b32 v3, v3, v9 :: v_dual_cndmask_b32 v8, v8, v11
	v_add_nc_u32_e32 v9, 1, v3
	s_delay_alu instid0(VALU_DEP_2) | instskip(NEXT) | instid1(VALU_DEP_2)
	v_cmp_le_u32_e32 vcc_lo, s37, v8
	v_cndmask_b32_e32 v3, v3, v9, vcc_lo
	s_delay_alu instid0(VALU_DEP_1) | instskip(NEXT) | instid1(VALU_DEP_1)
	v_mul_lo_u32 v8, v3, s37
	v_sub_nc_u32_e32 v10, v10, v8
	s_delay_alu instid0(VALU_DEP_1) | instskip(NEXT) | instid1(VALU_DEP_1)
	v_mad_u64_u32 v[8:9], null, s38, v10, v[0:1]
	v_mov_b32_e32 v0, v8
	s_cbranch_scc1 .LBB50_16
.LBB50_17:                              ;   in Loop: Header=BB50_3 Depth=1
	s_set_inst_prefetch_distance 0x2
	s_delay_alu instid0(VALU_DEP_1)
	v_mad_u64_u32 v[8:9], null, s22, v3, v[0:1]
	v_mov_b32_e32 v9, v4
.LBB50_18:                              ;   in Loop: Header=BB50_3 Depth=1
	s_or_b32 exec_lo, exec_lo, s3
	v_mov_b32_e32 v12, 0
	v_mov_b32_e32 v13, 0
	v_cmp_lt_i32_e64 s3, 3, v31
	s_delay_alu instid0(VALU_DEP_1)
	s_and_saveexec_b32 s36, s3
	s_cbranch_execz .LBB50_23
; %bb.19:                               ;   in Loop: Header=BB50_3 Depth=1
	v_or_b32_e32 v3, 3, v29
	v_mov_b32_e32 v0, 0
	s_and_not1_b32 vcc_lo, exec_lo, s23
	s_cbranch_vccnz .LBB50_22
; %bb.20:                               ;   in Loop: Header=BB50_3 Depth=1
	v_mov_b32_e32 v0, 0
	s_mov_b64 s[18:19], s[16:17]
	s_mov_b32 s37, s26
	s_set_inst_prefetch_distance 0x1
	.p2align	6
.LBB50_21:                              ;   Parent Loop BB50_3 Depth=1
                                        ; =>  This Inner Loop Header: Depth=2
	s_clause 0x1
	s_load_b32 s38, s[18:19], 0x0
	s_load_b32 s39, s[18:19], 0x64
	s_add_i32 s37, s37, -1
	s_waitcnt lgkmcnt(0)
	v_cvt_f32_u32_e32 v10, s38
	s_sub_i32 s40, 0, s38
	s_add_u32 s18, s18, -4
	s_addc_u32 s19, s19, -1
	s_cmp_gt_u32 s37, 2
	v_rcp_iflag_f32_e32 v10, v10
	s_waitcnt_depctr 0xfff
	v_mul_f32_e32 v10, 0x4f7ffffe, v10
	s_delay_alu instid0(VALU_DEP_1) | instskip(NEXT) | instid1(VALU_DEP_1)
	v_cvt_u32_f32_e32 v10, v10
	v_mul_lo_u32 v11, s40, v10
	s_delay_alu instid0(VALU_DEP_1) | instskip(NEXT) | instid1(VALU_DEP_1)
	v_mul_hi_u32 v11, v10, v11
	v_dual_mov_b32 v12, v3 :: v_dual_add_nc_u32 v3, v10, v11
	s_delay_alu instid0(VALU_DEP_1) | instskip(NEXT) | instid1(VALU_DEP_1)
	v_mul_hi_u32 v3, v12, v3
	v_mul_lo_u32 v10, v3, s38
	v_add_nc_u32_e32 v11, 1, v3
	s_delay_alu instid0(VALU_DEP_2) | instskip(NEXT) | instid1(VALU_DEP_1)
	v_sub_nc_u32_e32 v10, v12, v10
	v_subrev_nc_u32_e32 v13, s38, v10
	v_cmp_le_u32_e32 vcc_lo, s38, v10
	s_delay_alu instid0(VALU_DEP_2) | instskip(NEXT) | instid1(VALU_DEP_1)
	v_dual_cndmask_b32 v3, v3, v11 :: v_dual_cndmask_b32 v10, v10, v13
	v_add_nc_u32_e32 v11, 1, v3
	s_delay_alu instid0(VALU_DEP_2) | instskip(NEXT) | instid1(VALU_DEP_2)
	v_cmp_le_u32_e32 vcc_lo, s38, v10
	v_cndmask_b32_e32 v3, v3, v11, vcc_lo
	s_delay_alu instid0(VALU_DEP_1) | instskip(NEXT) | instid1(VALU_DEP_1)
	v_mul_lo_u32 v10, v3, s38
	v_sub_nc_u32_e32 v12, v12, v10
	s_delay_alu instid0(VALU_DEP_1) | instskip(NEXT) | instid1(VALU_DEP_1)
	v_mad_u64_u32 v[10:11], null, s39, v12, v[0:1]
	v_mov_b32_e32 v0, v10
	s_cbranch_scc1 .LBB50_21
.LBB50_22:                              ;   in Loop: Header=BB50_3 Depth=1
	s_set_inst_prefetch_distance 0x2
	s_delay_alu instid0(VALU_DEP_1)
	v_mad_u64_u32 v[12:13], null, s22, v3, v[0:1]
	v_mov_b32_e32 v13, v4
.LBB50_23:                              ;   in Loop: Header=BB50_3 Depth=1
	s_or_b32 exec_lo, exec_lo, s36
	v_mul_lo_u32 v0, v29, s21
	s_delay_alu instid0(VALU_DEP_1) | instskip(SKIP_1) | instid1(VALU_DEP_2)
	v_add_nc_u32_e32 v14, s21, v0
	v_cndmask_b32_e64 v3, 0, v0, s0
	v_add_nc_u32_e32 v0, s21, v14
	s_delay_alu instid0(VALU_DEP_2) | instskip(SKIP_1) | instid1(VALU_DEP_3)
	v_lshlrev_b64 v[10:11], 2, v[3:4]
	v_cndmask_b32_e64 v3, 0, v14, s1
	v_add_nc_u32_e32 v18, s21, v0
	s_delay_alu instid0(VALU_DEP_2) | instskip(SKIP_3) | instid1(VALU_DEP_3)
	v_lshlrev_b64 v[14:15], 2, v[3:4]
	v_cndmask_b32_e64 v3, 0, v0, s2
	v_add_co_u32 v10, vcc_lo, s8, v10
	v_add_co_ci_u32_e32 v11, vcc_lo, s9, v11, vcc_lo
	v_lshlrev_b64 v[16:17], 2, v[3:4]
	v_cndmask_b32_e64 v3, 0, v18, s3
	v_add_co_u32 v14, vcc_lo, s8, v14
	v_add_co_ci_u32_e32 v15, vcc_lo, s9, v15, vcc_lo
	s_delay_alu instid0(VALU_DEP_3) | instskip(SKIP_2) | instid1(VALU_DEP_3)
	v_lshlrev_b64 v[18:19], 2, v[3:4]
	v_add_co_u32 v16, vcc_lo, s8, v16
	v_add_co_ci_u32_e32 v17, vcc_lo, s9, v17, vcc_lo
	v_add_co_u32 v18, vcc_lo, s8, v18
	s_delay_alu instid0(VALU_DEP_4)
	v_add_co_ci_u32_e32 v19, vcc_lo, s9, v19, vcc_lo
	s_clause 0x3
	global_load_b32 v0, v[10:11], off
	global_load_b32 v3, v[14:15], off
	;; [unrolled: 1-line block ×4, first 2 shown]
	v_mov_b32_e32 v19, s5
	v_dual_mov_b32 v17, s7 :: v_dual_mov_b32 v16, s6
	v_mov_b32_e32 v18, s4
	s_and_not1_b32 vcc_lo, exec_lo, s24
	s_cbranch_vccnz .LBB50_25
; %bb.24:                               ;   in Loop: Header=BB50_3 Depth=1
	v_dual_mov_b32 v11, s7 :: v_dual_mov_b32 v10, s6
	v_dual_mov_b32 v15, s5 :: v_dual_mov_b32 v14, s4
	flat_load_b64 v[10:11], v[10:11]
	flat_load_b64 v[18:19], v[14:15]
	s_waitcnt vmcnt(1) lgkmcnt(1)
	v_add_co_u32 v16, vcc_lo, v10, s10
	v_add_co_ci_u32_e32 v17, vcc_lo, s11, v11, vcc_lo
.LBB50_25:                              ;   in Loop: Header=BB50_3 Depth=1
	s_delay_alu instid0(VALU_DEP_1)
	v_alignbit_b32 v20, v17, v16, 2
	v_lshrrev_b32_e32 v14, 2, v17
	s_waitcnt vmcnt(0) lgkmcnt(0)
	v_add_nc_u32_e32 v35, 0xbb67ae85, v19
	v_add_nc_u32_e32 v36, 0x3c6ef372, v18
	;; [unrolled: 1-line block ×3, first 2 shown]
	v_add_co_u32 v15, vcc_lo, v20, 1
	s_delay_alu instid0(VALU_DEP_1) | instskip(SKIP_4) | instid1(VALU_DEP_4)
	v_cndmask_b32_e64 v10, 0, 1, vcc_lo
	v_add_co_ci_u32_e32 v17, vcc_lo, 0, v14, vcc_lo
	v_xor3_b32 v22, v30, v18, v14
	v_add_nc_u32_e32 v39, 0xed9eba14, v19
	v_add_nc_u32_e32 v40, 0x1fd5c5a3, v19
	v_cmp_eq_u32_e32 vcc_lo, 0, v17
	s_mov_b32 s0, exec_lo
	v_dual_cndmask_b32 v21, 0, v10 :: v_dual_add_nc_u32 v38, 0x32370b8f, v19
	v_mad_u64_u32 v[10:11], null, 0xd2511f53, v15, 0
	v_mad_u64_u32 v[14:15], null, 0xd2511f53, v20, 0
	s_delay_alu instid0(VALU_DEP_3) | instskip(NEXT) | instid1(VALU_DEP_3)
	v_add_nc_u32_e32 v24, v21, v1
	v_xor_b32_e32 v11, v11, v19
	s_delay_alu instid0(VALU_DEP_2) | instskip(SKIP_1) | instid1(VALU_DEP_1)
	v_cmp_eq_u32_e32 vcc_lo, 0, v24
	v_dual_cndmask_b32 v21, 0, v21 :: v_dual_add_nc_u32 v34, 0x9e3779b9, v18
	v_xor_b32_e32 v11, v21, v11
	v_mad_u64_u32 v[20:21], null, 0xd2511f53, v22, 0
	v_mad_u64_u32 v[22:23], null, 0xcd9e8d57, v24, 0
	s_delay_alu instid0(VALU_DEP_3) | instskip(SKIP_1) | instid1(VALU_DEP_4)
	v_mad_u64_u32 v[24:25], null, 0xcd9e8d57, v11, 0
	v_xor_b32_e32 v11, v15, v19
	v_xor3_b32 v26, v35, v21, v14
	s_delay_alu instid0(VALU_DEP_2) | instskip(SKIP_2) | instid1(VALU_DEP_4)
	v_mad_u64_u32 v[14:15], null, 0xcd9e8d57, v11, 0
	v_xor3_b32 v11, v23, v18, v17
	v_xor3_b32 v17, v34, v25, v22
	v_mad_u64_u32 v[21:22], null, 0xcd9e8d57, v26, 0
	s_delay_alu instid0(VALU_DEP_3) | instskip(NEXT) | instid1(VALU_DEP_3)
	v_mad_u64_u32 v[25:26], null, 0xd2511f53, v11, 0
	v_mad_u64_u32 v[27:28], null, 0xd2511f53, v17, 0
	v_xor3_b32 v11, v2, v15, v34
	s_delay_alu instid0(VALU_DEP_4) | instskip(SKIP_2) | instid1(VALU_DEP_4)
	v_xor3_b32 v22, v36, v22, v14
	v_add_nc_u32_e32 v17, 0xdaa66d2b, v18
	v_xor3_b32 v26, v35, v26, v10
	v_mad_u64_u32 v[14:15], null, 0xd2511f53, v11, 0
	v_xor3_b32 v28, v37, v28, v25
	v_mad_u64_u32 v[10:11], null, 0xd2511f53, v22, 0
	s_delay_alu instid0(VALU_DEP_4) | instskip(NEXT) | instid1(VALU_DEP_3)
	v_mad_u64_u32 v[22:23], null, 0xcd9e8d57, v26, 0
	v_mad_u64_u32 v[25:26], null, 0xcd9e8d57, v28, 0
	v_xor3_b32 v20, v37, v15, v20
	v_add_nc_u32_e32 v28, 0x78dde6e4, v18
	v_xor3_b32 v11, v38, v11, v14
	s_delay_alu instid0(VALU_DEP_3) | instskip(SKIP_2) | instid1(VALU_DEP_4)
	v_mad_u64_u32 v[14:15], null, 0xcd9e8d57, v20, 0
	v_xor3_b32 v20, v36, v23, v24
	v_xor3_b32 v24, v17, v26, v22
	v_mad_u64_u32 v[22:23], null, 0xcd9e8d57, v11, 0
	s_delay_alu instid0(VALU_DEP_3) | instskip(NEXT) | instid1(VALU_DEP_3)
	v_mad_u64_u32 v[34:35], null, 0xd2511f53, v20, 0
	v_mad_u64_u32 v[36:37], null, 0xd2511f53, v24, 0
	v_xor3_b32 v11, v17, v15, v21
	s_delay_alu instid0(VALU_DEP_4) | instskip(SKIP_2) | instid1(VALU_DEP_4)
	v_xor3_b32 v20, v28, v23, v14
	v_add_nc_u32_e32 v17, 0x1715609d, v18
	v_add_nc_u32_e32 v24, 0xa9066899, v19
	v_mad_u64_u32 v[14:15], null, 0xd2511f53, v11, 0
	v_xor3_b32 v11, v38, v35, v27
	v_xor3_b32 v23, v39, v37, v34
	v_mad_u64_u32 v[26:27], null, 0xd2511f53, v20, 0
	v_add_nc_u32_e32 v35, 0xb54cda56, v18
	s_delay_alu instid0(VALU_DEP_4) | instskip(NEXT) | instid1(VALU_DEP_4)
	v_mad_u64_u32 v[20:21], null, 0xcd9e8d57, v11, 0
	v_mad_u64_u32 v[37:38], null, 0xcd9e8d57, v23, 0
	v_xor3_b32 v15, v39, v15, v10
	v_xor3_b32 v23, v24, v27, v14
	v_add_nc_u32_e32 v34, 0x646e171e, v19
	v_xor3_b32 v25, v28, v21, v25
	s_delay_alu instid0(VALU_DEP_4) | instskip(SKIP_2) | instid1(VALU_DEP_4)
	v_mad_u64_u32 v[10:11], null, 0xcd9e8d57, v15, 0
	v_xor3_b32 v27, v17, v38, v20
	v_mad_u64_u32 v[14:15], null, 0xcd9e8d57, v23, 0
	v_mad_u64_u32 v[20:21], null, 0xd2511f53, v25, 0
	s_delay_alu instid0(VALU_DEP_3) | instskip(SKIP_3) | instid1(VALU_DEP_3)
	v_mad_u64_u32 v[38:39], null, 0xd2511f53, v27, 0
	v_xor3_b32 v17, v17, v11, v22
	v_add_nc_u32_e32 v25, 0x5384540f, v18
	v_xor3_b32 v15, v35, v15, v10
	v_mad_u64_u32 v[10:11], null, 0xd2511f53, v17, 0
	v_xor3_b32 v17, v24, v21, v36
	v_xor3_b32 v22, v34, v39, v20
	s_delay_alu instid0(VALU_DEP_4) | instskip(NEXT) | instid1(VALU_DEP_3)
	v_mad_u64_u32 v[20:21], null, 0xd2511f53, v15, 0
	v_mad_u64_u32 v[27:28], null, 0xcd9e8d57, v17, 0
	s_delay_alu instid0(VALU_DEP_3) | instskip(SKIP_1) | instid1(VALU_DEP_4)
	v_mad_u64_u32 v[23:24], null, 0xcd9e8d57, v22, 0
	v_xor3_b32 v15, v34, v11, v26
	v_xor3_b32 v17, v40, v21, v10
	v_add_co_u32 v34, null, 0xf1bbcdc8, v18
	s_delay_alu instid0(VALU_DEP_3) | instskip(SKIP_4) | instid1(VALU_DEP_4)
	v_mad_u64_u32 v[10:11], null, 0xcd9e8d57, v15, 0
	v_xor3_b32 v15, v35, v28, v37
	v_xor3_b32 v24, v25, v24, v27
	v_mad_u64_u32 v[21:22], null, 0xcd9e8d57, v17, 0
	v_add_nc_u32_e32 v35, 0xdb3d7428, v19
	v_mad_u64_u32 v[36:37], null, 0xd2511f53, v15, 0
	s_delay_alu instid0(VALU_DEP_4) | instskip(SKIP_4) | instid1(VALU_DEP_4)
	v_mad_u64_u32 v[26:27], null, 0xd2511f53, v24, 0
	v_xor3_b32 v11, v25, v11, v14
	v_xor3_b32 v14, v34, v22, v10
	v_add_nc_u32_e32 v22, 0x8ff34781, v18
	v_xor3_b32 v15, v40, v37, v38
	v_mad_u64_u32 v[24:25], null, 0xd2511f53, v11, 0
	v_xor3_b32 v17, v35, v27, v36
	v_mad_u64_u32 v[10:11], null, 0xd2511f53, v14, 0
	s_delay_alu instid0(VALU_DEP_4) | instskip(NEXT) | instid1(VALU_DEP_3)
	v_mad_u64_u32 v[27:28], null, 0xcd9e8d57, v15, 0
	v_mad_u64_u32 v[14:15], null, 0xcd9e8d57, v17, 0
	v_add_nc_u32_e32 v36, 0x96a522ad, v19
	v_and_b32_e32 v19, 3, v16
                                        ; implicit-def: $vgpr17
	s_delay_alu instid0(VALU_DEP_2) | instskip(NEXT) | instid1(VALU_DEP_4)
	v_xor3_b32 v18, v11, v24, v36
	v_xor3_b32 v11, v15, v27, v22
	s_delay_alu instid0(VALU_DEP_3)
	v_cmpx_lt_i32_e32 1, v19
	s_xor_b32 s0, exec_lo, s0
	s_cbranch_execz .LBB50_31
; %bb.26:                               ;   in Loop: Header=BB50_3 Depth=1
	s_mov_b32 s1, exec_lo
                                        ; implicit-def: $vgpr17
	v_cmpx_lt_i32_e32 2, v19
	s_xor_b32 s1, exec_lo, s1
; %bb.27:                               ;   in Loop: Header=BB50_3 Depth=1
	v_xor3_b32 v15, v34, v28, v23
                                        ; implicit-def: $vgpr18
	s_delay_alu instid0(VALU_DEP_1) | instskip(NEXT) | instid1(VALU_DEP_1)
	v_mul_hi_u32 v15, 0xd2511f53, v15
	v_xor3_b32 v17, v15, v26, v36
; %bb.28:                               ;   in Loop: Header=BB50_3 Depth=1
	s_and_not1_saveexec_b32 s1, s1
; %bb.29:                               ;   in Loop: Header=BB50_3 Depth=1
	v_dual_mov_b32 v17, v14 :: v_dual_mov_b32 v14, v11
	v_mov_b32_e32 v11, v10
	v_mov_b32_e32 v10, v18
; %bb.30:                               ;   in Loop: Header=BB50_3 Depth=1
	s_or_b32 exec_lo, exec_lo, s1
                                        ; implicit-def: $vgpr20_vgpr21
                                        ; implicit-def: $vgpr19
                                        ; implicit-def: $vgpr18
                                        ; implicit-def: $vgpr35
                                        ; implicit-def: $vgpr24_vgpr25
                                        ; implicit-def: $vgpr21_vgpr22
                                        ; implicit-def: $vgpr22
.LBB50_31:                              ;   in Loop: Header=BB50_3 Depth=1
	s_and_not1_saveexec_b32 s0, s0
	s_cbranch_execz .LBB50_35
; %bb.32:                               ;   in Loop: Header=BB50_3 Depth=1
	v_xor3_b32 v14, v35, v25, v20
	v_cmp_eq_u32_e32 vcc_lo, 1, v19
	s_delay_alu instid0(VALU_DEP_2) | instskip(SKIP_2) | instid1(VALU_DEP_3)
	v_mad_u64_u32 v[15:16], null, 0xcd9e8d57, v14, 0
	v_mov_b32_e32 v17, v10
	v_mov_b32_e32 v14, v18
	v_xor3_b32 v19, v16, v21, v22
	s_delay_alu instid0(VALU_DEP_4)
	v_mov_b32_e32 v16, v15
	s_and_saveexec_b32 s1, vcc_lo
; %bb.33:                               ;   in Loop: Header=BB50_3 Depth=1
	v_dual_mov_b32 v17, v11 :: v_dual_mov_b32 v14, v10
	v_dual_mov_b32 v16, v18 :: v_dual_mov_b32 v19, v15
; %bb.34:                               ;   in Loop: Header=BB50_3 Depth=1
	s_or_b32 exec_lo, exec_lo, s1
	s_delay_alu instid0(VALU_DEP_1)
	v_dual_mov_b32 v10, v19 :: v_dual_mov_b32 v11, v16
.LBB50_35:                              ;   in Loop: Header=BB50_3 Depth=1
	s_or_b32 exec_lo, exec_lo, s0
	v_min_i32_e32 v15, 4, v31
	s_mov_b32 s1, 0
	s_mov_b32 s37, 0
	;; [unrolled: 1-line block ×3, first 2 shown]
                                        ; implicit-def: $sgpr3
                                        ; implicit-def: $sgpr18
                                        ; implicit-def: $sgpr19
	s_mov_b32 s0, exec_lo
	v_cmpx_lt_i32_e32 2, v15
	s_xor_b32 s36, exec_lo, s0
	s_cbranch_execz .LBB50_47
; %bb.36:                               ;   in Loop: Header=BB50_3 Depth=1
	s_mov_b32 s0, -1
	s_mov_b32 s38, 0
	s_mov_b32 s18, exec_lo
                                        ; implicit-def: $sgpr2
                                        ; implicit-def: $sgpr3
	v_cmpx_lt_i32_e32 3, v15
	s_cbranch_execz .LBB50_42
; %bb.37:                               ;   in Loop: Header=BB50_3 Depth=1
	s_mov_b32 s0, 0
	s_mov_b32 s38, -1
	s_mov_b32 s19, exec_lo
                                        ; implicit-def: $sgpr2
                                        ; implicit-def: $sgpr3
	v_cmpx_eq_u32_e32 4, v15
	s_cbranch_execz .LBB50_41
; %bb.38:                               ;   in Loop: Header=BB50_3 Depth=1
	v_cmp_le_f32_e32 vcc_lo, 0, v33
	v_cmp_ge_f32_e64 s0, 1.0, v33
	s_mov_b32 s2, 0
	s_delay_alu instid0(VALU_DEP_1)
	s_and_b32 s38, vcc_lo, s0
	s_mov_b32 s0, 0
	s_and_saveexec_b32 s3, s38
	s_cbranch_execz .LBB50_40
; %bb.39:                               ;   in Loop: Header=BB50_3 Depth=1
	v_cvt_f32_u32_e32 v16, v17
	v_lshlrev_b64 v[12:13], 3, v[12:13]
	s_mov_b32 s0, exec_lo
	s_delay_alu instid0(VALU_DEP_2) | instskip(NEXT) | instid1(VALU_DEP_2)
	v_dual_mov_b32 v17, s15 :: v_dual_fmaak_f32 v16, 0x2f800000, v16, 0x2f800000
	v_add_co_u32 v12, vcc_lo, s12, v12
	s_delay_alu instid0(VALU_DEP_3) | instskip(NEXT) | instid1(VALU_DEP_3)
	v_add_co_ci_u32_e32 v13, vcc_lo, s13, v13, vcc_lo
	v_cmp_le_f32_e32 vcc_lo, v16, v33
	v_cndmask_b32_e64 v16, 0, 1, vcc_lo
	global_store_b64 v[12:13], v[16:17], off
.LBB50_40:                              ;   in Loop: Header=BB50_3 Depth=1
	s_or_b32 exec_lo, exec_lo, s3
	s_mov_b32 s3, -1
	s_xor_b32 s38, exec_lo, -1
	s_and_b32 s0, s0, exec_lo
.LBB50_41:                              ;   in Loop: Header=BB50_3 Depth=1
	s_or_b32 exec_lo, exec_lo, s19
	s_delay_alu instid0(SALU_CYCLE_1)
	s_and_b32 s38, s38, exec_lo
	s_or_not1_b32 s0, s0, exec_lo
.LBB50_42:                              ;   in Loop: Header=BB50_3 Depth=1
	s_or_b32 exec_lo, exec_lo, s18
	s_mov_b32 s19, s2
	s_and_saveexec_b32 s18, s0
	s_cbranch_execz .LBB50_46
; %bb.43:                               ;   in Loop: Header=BB50_3 Depth=1
	v_cmp_le_f32_e32 vcc_lo, 0, v32
	v_cmp_ge_f32_e64 s0, 1.0, v32
	s_delay_alu instid0(VALU_DEP_1) | instskip(SKIP_2) | instid1(SALU_CYCLE_1)
	s_and_b32 s19, vcc_lo, s0
	s_mov_b32 s0, 0
	s_and_saveexec_b32 s37, s19
	s_xor_b32 s19, exec_lo, s37
	s_cbranch_execz .LBB50_45
; %bb.44:                               ;   in Loop: Header=BB50_3 Depth=1
	v_cvt_f32_u32_e32 v12, v14
	v_lshlrev_b64 v[8:9], 3, v[8:9]
	s_mov_b32 s0, exec_lo
	s_delay_alu instid0(VALU_DEP_2) | instskip(NEXT) | instid1(VALU_DEP_2)
	v_dual_mov_b32 v13, s15 :: v_dual_fmaak_f32 v12, 0x2f800000, v12, 0x2f800000
	v_add_co_u32 v8, vcc_lo, s12, v8
	s_delay_alu instid0(VALU_DEP_3) | instskip(NEXT) | instid1(VALU_DEP_3)
	v_add_co_ci_u32_e32 v9, vcc_lo, s13, v9, vcc_lo
	v_cmp_le_f32_e32 vcc_lo, v12, v32
	v_cndmask_b32_e64 v12, 0, 1, vcc_lo
	global_store_b64 v[8:9], v[12:13], off
.LBB50_45:                              ;   in Loop: Header=BB50_3 Depth=1
	s_or_b32 exec_lo, exec_lo, s19
	s_delay_alu instid0(SALU_CYCLE_1)
	s_and_not1_b32 s19, s2, exec_lo
	s_or_b32 s2, s2, exec_lo
	s_and_not1_b32 s3, s3, exec_lo
	s_and_b32 s37, s0, exec_lo
.LBB50_46:                              ;   in Loop: Header=BB50_3 Depth=1
	s_or_b32 exec_lo, exec_lo, s18
	s_delay_alu instid0(SALU_CYCLE_1)
	s_and_b32 s19, s19, exec_lo
	s_and_b32 s18, s2, exec_lo
	s_and_b32 s3, s3, exec_lo
	s_and_b32 s2, s38, exec_lo
	s_and_b32 s37, s37, exec_lo
.LBB50_47:                              ;   in Loop: Header=BB50_3 Depth=1
	s_and_not1_saveexec_b32 s0, s36
; %bb.48:                               ;   in Loop: Header=BB50_3 Depth=1
	v_cmp_lt_i32_e32 vcc_lo, 1, v15
	s_and_not1_b32 s36, s37, exec_lo
	s_mov_b32 s1, exec_lo
	s_and_not1_b32 s19, s19, exec_lo
	s_and_not1_b32 s18, s18, exec_lo
	s_and_b32 s37, vcc_lo, exec_lo
	s_and_not1_b32 s3, s3, exec_lo
	s_or_b32 s37, s36, s37
; %bb.49:                               ;   in Loop: Header=BB50_3 Depth=1
	s_or_b32 exec_lo, exec_lo, s0
	s_mov_b32 s0, 0
	s_mov_b32 s36, s19
	s_and_saveexec_b32 s38, s37
	s_cbranch_execnz .LBB50_52
; %bb.50:                               ;   in Loop: Header=BB50_3 Depth=1
	s_or_b32 exec_lo, exec_lo, s38
	s_and_saveexec_b32 s37, s1
	s_cbranch_execnz .LBB50_55
.LBB50_51:                              ;   in Loop: Header=BB50_3 Depth=1
	s_or_b32 exec_lo, exec_lo, s37
	s_and_saveexec_b32 s1, s0
	s_cbranch_execnz .LBB50_56
	s_branch .LBB50_59
.LBB50_52:                              ;   in Loop: Header=BB50_3 Depth=1
	v_cmp_le_f32_e32 vcc_lo, 0, v3
	v_cmp_ge_f32_e64 s0, 1.0, v3
	s_delay_alu instid0(VALU_DEP_1) | instskip(SKIP_2) | instid1(SALU_CYCLE_1)
	s_and_b32 s36, vcc_lo, s0
	s_mov_b32 s0, 0
	s_and_saveexec_b32 s37, s36
	s_xor_b32 s36, exec_lo, s37
	s_cbranch_execz .LBB50_54
; %bb.53:                               ;   in Loop: Header=BB50_3 Depth=1
	v_cvt_f32_u32_e32 v8, v11
	v_lshlrev_b64 v[6:7], 3, v[6:7]
	s_mov_b32 s0, exec_lo
	s_delay_alu instid0(VALU_DEP_2) | instskip(NEXT) | instid1(VALU_DEP_2)
	v_dual_mov_b32 v9, s15 :: v_dual_fmaak_f32 v8, 0x2f800000, v8, 0x2f800000
	v_add_co_u32 v6, vcc_lo, s12, v6
	s_delay_alu instid0(VALU_DEP_3) | instskip(NEXT) | instid1(VALU_DEP_3)
	v_add_co_ci_u32_e32 v7, vcc_lo, s13, v7, vcc_lo
	v_cmp_le_f32_e32 vcc_lo, v8, v3
	v_cndmask_b32_e64 v8, 0, 1, vcc_lo
	global_store_b64 v[6:7], v[8:9], off
.LBB50_54:                              ;   in Loop: Header=BB50_3 Depth=1
	s_or_b32 exec_lo, exec_lo, s36
	s_delay_alu instid0(SALU_CYCLE_1)
	s_and_not1_b32 s36, s19, exec_lo
	s_or_b32 s19, s19, exec_lo
	s_and_not1_b32 s18, s18, exec_lo
	s_and_not1_b32 s3, s3, exec_lo
	s_and_b32 s0, s0, exec_lo
	s_and_not1_b32 s1, s1, exec_lo
	s_or_b32 exec_lo, exec_lo, s38
	s_and_saveexec_b32 s37, s1
	s_cbranch_execz .LBB50_51
.LBB50_55:                              ;   in Loop: Header=BB50_3 Depth=1
	v_cmp_eq_u32_e32 vcc_lo, 1, v15
	s_and_not1_b32 s0, s0, exec_lo
	s_and_not1_b32 s36, s36, exec_lo
	;; [unrolled: 1-line block ×4, first 2 shown]
	s_and_b32 s1, vcc_lo, exec_lo
	s_and_not1_b32 s3, s3, exec_lo
	s_or_b32 s2, s2, exec_lo
	s_or_b32 s0, s0, s1
	s_or_b32 exec_lo, exec_lo, s37
	s_and_saveexec_b32 s1, s0
	s_cbranch_execz .LBB50_59
.LBB50_56:                              ;   in Loop: Header=BB50_3 Depth=1
	v_cmp_le_f32_e32 vcc_lo, 0, v0
	v_cmp_ge_f32_e64 s0, 1.0, v0
	s_delay_alu instid0(VALU_DEP_1)
	s_and_b32 s38, vcc_lo, s0
	s_mov_b32 s0, 0
	s_and_saveexec_b32 s37, s38
	s_cbranch_execz .LBB50_58
; %bb.57:                               ;   in Loop: Header=BB50_3 Depth=1
	v_cvt_f32_u32_e32 v3, v10
	v_mov_b32_e32 v6, v4
	v_mov_b32_e32 v8, s15
	s_mov_b32 s0, exec_lo
	s_delay_alu instid0(VALU_DEP_3) | instskip(NEXT) | instid1(VALU_DEP_3)
	v_fmaak_f32 v3, 0x2f800000, v3, 0x2f800000
	v_lshlrev_b64 v[5:6], 3, v[5:6]
	s_delay_alu instid0(VALU_DEP_2) | instskip(SKIP_1) | instid1(VALU_DEP_3)
	v_cmp_le_f32_e32 vcc_lo, v3, v0
	v_cndmask_b32_e64 v7, 0, 1, vcc_lo
	v_add_co_u32 v5, vcc_lo, s12, v5
	s_delay_alu instid0(VALU_DEP_4)
	v_add_co_ci_u32_e32 v6, vcc_lo, s13, v6, vcc_lo
	global_store_b64 v[5:6], v[7:8], off
.LBB50_58:                              ;   in Loop: Header=BB50_3 Depth=1
	s_or_b32 exec_lo, exec_lo, s37
	s_delay_alu instid0(SALU_CYCLE_1)
	s_and_not1_b32 s2, s2, exec_lo
	s_and_b32 s0, s0, exec_lo
	s_or_b32 s36, s36, exec_lo
	s_and_not1_b32 s19, s19, exec_lo
	s_and_not1_b32 s18, s18, exec_lo
	;; [unrolled: 1-line block ×3, first 2 shown]
	s_or_b32 s2, s2, s0
.LBB50_59:                              ;   in Loop: Header=BB50_3 Depth=1
	s_or_b32 exec_lo, exec_lo, s1
	s_delay_alu instid0(SALU_CYCLE_1)
	s_and_not1_b32 s1, s35, exec_lo
	s_and_b32 s35, s36, exec_lo
	s_and_not1_b32 s33, s33, exec_lo
	s_and_b32 s19, s19, exec_lo
	s_or_b32 s35, s1, s35
	s_or_b32 s33, s33, s19
	s_and_not1_b32 s1, s34, exec_lo
	s_and_b32 s18, s18, exec_lo
	s_and_not1_b32 s19, s31, exec_lo
	s_and_b32 s3, s3, exec_lo
	s_mov_b32 s0, -1
	s_or_b32 s34, s1, s18
	s_or_b32 s31, s19, s3
	s_and_saveexec_b32 s1, s2
	s_cbranch_execz .LBB50_2
; %bb.60:                               ;   in Loop: Header=BB50_3 Depth=1
	v_add_nc_u32_e32 v29, s25, v29
	s_and_not1_b32 s35, s35, exec_lo
	s_and_not1_b32 s33, s33, exec_lo
	;; [unrolled: 1-line block ×4, first 2 shown]
	v_cmp_le_u32_e32 vcc_lo, s20, v29
	s_or_not1_b32 s0, vcc_lo, exec_lo
	s_branch .LBB50_2
.LBB50_61:
	s_or_b32 exec_lo, exec_lo, s27
	s_xor_b32 s3, s29, -1
	s_xor_b32 s4, s30, -1
	;; [unrolled: 1-line block ×3, first 2 shown]
	s_mov_b32 s1, 0
	s_and_saveexec_b32 s2, s0
	s_delay_alu instid0(SALU_CYCLE_1)
	s_xor_b32 s0, exec_lo, s2
	s_cbranch_execz .LBB50_70
; %bb.62:
	s_mov_b32 s2, 0
	s_and_saveexec_b32 s1, s4
	s_delay_alu instid0(SALU_CYCLE_1)
	s_xor_b32 s1, exec_lo, s1
	s_cbranch_execz .LBB50_68
; %bb.63:
	s_and_saveexec_b32 s4, s3
	s_delay_alu instid0(SALU_CYCLE_1)
	s_xor_b32 s3, exec_lo, s4
	s_cbranch_execz .LBB50_66
; %bb.64:
	s_and_saveexec_b32 s4, s14
	s_delay_alu instid0(SALU_CYCLE_1)
	s_xor_b32 s4, exec_lo, s4
	s_cbranch_execnz .LBB50_84
.LBB50_65:
	s_or_b32 exec_lo, exec_lo, s4
	s_delay_alu instid0(SALU_CYCLE_1)
	s_and_b32 s2, s2, exec_lo
.LBB50_66:
	s_and_not1_saveexec_b32 s3, s3
	s_cbranch_execnz .LBB50_80
.LBB50_67:
	s_or_b32 exec_lo, exec_lo, s3
	s_delay_alu instid0(SALU_CYCLE_1)
	s_and_b32 s2, s2, exec_lo
.LBB50_68:
	s_and_not1_saveexec_b32 s1, s1
	s_cbranch_execnz .LBB50_76
.LBB50_69:
	s_or_b32 exec_lo, exec_lo, s1
	s_delay_alu instid0(SALU_CYCLE_1)
	s_and_b32 s1, s2, exec_lo
.LBB50_70:
	s_and_not1_saveexec_b32 s0, s0
	s_cbranch_execnz .LBB50_74
; %bb.71:
	s_or_b32 exec_lo, exec_lo, s0
	s_delay_alu instid0(SALU_CYCLE_1)
	s_and_b32 exec_lo, exec_lo, s1
.LBB50_72:
	; divergent unreachable
.LBB50_73:
	s_nop 0
	s_sendmsg sendmsg(MSG_DEALLOC_VGPRS)
	s_endpgm
.LBB50_74:
	s_cbranch_execnz .LBB50_78
; %bb.75:
	s_or_b32 s1, s1, exec_lo
	s_or_b32 exec_lo, exec_lo, s0
	s_delay_alu instid0(SALU_CYCLE_1)
	s_and_b32 exec_lo, exec_lo, s1
	s_cbranch_execnz .LBB50_72
	s_branch .LBB50_73
.LBB50_76:
	s_cbranch_execnz .LBB50_82
; %bb.77:
	s_or_b32 s2, s2, exec_lo
	s_branch .LBB50_69
.LBB50_78:
	s_trap 2
	s_sendmsg_rtn_b32 s0, sendmsg(MSG_RTN_GET_DOORBELL)
	s_mov_b32 ttmp2, m0
	s_waitcnt lgkmcnt(0)
	s_and_b32 s0, s0, 0x3ff
	s_delay_alu instid0(SALU_CYCLE_1) | instskip(NEXT) | instid1(SALU_CYCLE_1)
	s_bitset1_b32 s0, 10
	s_mov_b32 m0, s0
	s_sendmsg sendmsg(MSG_INTERRUPT)
	s_mov_b32 m0, ttmp2
.LBB50_79:                              ; =>This Inner Loop Header: Depth=1
	s_sethalt 5
	s_branch .LBB50_79
.LBB50_80:
	s_cbranch_execnz .LBB50_86
; %bb.81:
	s_or_b32 s2, s2, exec_lo
	s_branch .LBB50_67
.LBB50_82:
	s_trap 2
	s_sendmsg_rtn_b32 s0, sendmsg(MSG_RTN_GET_DOORBELL)
	s_mov_b32 ttmp2, m0
	s_waitcnt lgkmcnt(0)
	s_and_b32 s0, s0, 0x3ff
	s_delay_alu instid0(SALU_CYCLE_1) | instskip(NEXT) | instid1(SALU_CYCLE_1)
	s_bitset1_b32 s0, 10
	s_mov_b32 m0, s0
	s_sendmsg sendmsg(MSG_INTERRUPT)
	s_mov_b32 m0, ttmp2
.LBB50_83:                              ; =>This Inner Loop Header: Depth=1
	s_sethalt 5
	s_branch .LBB50_83
.LBB50_84:
	s_cbranch_execnz .LBB50_88
; %bb.85:
	s_mov_b32 s2, exec_lo
	s_branch .LBB50_65
.LBB50_86:
	s_trap 2
	s_sendmsg_rtn_b32 s0, sendmsg(MSG_RTN_GET_DOORBELL)
	s_mov_b32 ttmp2, m0
	s_waitcnt lgkmcnt(0)
	s_and_b32 s0, s0, 0x3ff
	s_delay_alu instid0(SALU_CYCLE_1) | instskip(NEXT) | instid1(SALU_CYCLE_1)
	s_bitset1_b32 s0, 10
	s_mov_b32 m0, s0
	s_sendmsg sendmsg(MSG_INTERRUPT)
	s_mov_b32 m0, ttmp2
.LBB50_87:                              ; =>This Inner Loop Header: Depth=1
	s_sethalt 5
	s_branch .LBB50_87
.LBB50_88:
	s_trap 2
	s_sendmsg_rtn_b32 s0, sendmsg(MSG_RTN_GET_DOORBELL)
	s_mov_b32 ttmp2, m0
	s_waitcnt lgkmcnt(0)
	s_and_b32 s0, s0, 0x3ff
	s_delay_alu instid0(SALU_CYCLE_1) | instskip(NEXT) | instid1(SALU_CYCLE_1)
	s_bitset1_b32 s0, 10
	s_mov_b32 m0, s0
	s_sendmsg sendmsg(MSG_INTERRUPT)
	s_mov_b32 m0, ttmp2
.LBB50_89:                              ; =>This Inner Loop Header: Depth=1
	s_sethalt 5
	s_branch .LBB50_89
	.section	.rodata,"a",@progbits
	.p2align	6, 0x0
	.amdhsa_kernel _ZN2at4cuda12_GLOBAL__N_121kernelPointwiseApply2IZNS_6native9templates4cuda28bernoulli_tensor_cuda_kernelIlfEEvRKNS_10TensorBaseES9_NS_15PhiloxCudaStateEEUliRlSB_SB_SB_RKfSD_SD_SD_E_lSC_jLin1ELi1ELi4ELi512ELi2EEEvNS0_6detail10TensorInfoIT0_T2_EENSG_IT1_SI_EESI_T_
		.amdhsa_group_segment_fixed_size 0
		.amdhsa_private_segment_fixed_size 0
		.amdhsa_kernarg_size 728
		.amdhsa_user_sgpr_count 15
		.amdhsa_user_sgpr_dispatch_ptr 0
		.amdhsa_user_sgpr_queue_ptr 0
		.amdhsa_user_sgpr_kernarg_segment_ptr 1
		.amdhsa_user_sgpr_dispatch_id 0
		.amdhsa_user_sgpr_private_segment_size 0
		.amdhsa_wavefront_size32 1
		.amdhsa_uses_dynamic_stack 0
		.amdhsa_enable_private_segment 0
		.amdhsa_system_sgpr_workgroup_id_x 1
		.amdhsa_system_sgpr_workgroup_id_y 0
		.amdhsa_system_sgpr_workgroup_id_z 0
		.amdhsa_system_sgpr_workgroup_info 0
		.amdhsa_system_vgpr_workitem_id 0
		.amdhsa_next_free_vgpr 41
		.amdhsa_next_free_sgpr 41
		.amdhsa_reserve_vcc 1
		.amdhsa_float_round_mode_32 0
		.amdhsa_float_round_mode_16_64 0
		.amdhsa_float_denorm_mode_32 3
		.amdhsa_float_denorm_mode_16_64 3
		.amdhsa_dx10_clamp 1
		.amdhsa_ieee_mode 1
		.amdhsa_fp16_overflow 0
		.amdhsa_workgroup_processor_mode 1
		.amdhsa_memory_ordered 1
		.amdhsa_forward_progress 0
		.amdhsa_shared_vgpr_count 0
		.amdhsa_exception_fp_ieee_invalid_op 0
		.amdhsa_exception_fp_denorm_src 0
		.amdhsa_exception_fp_ieee_div_zero 0
		.amdhsa_exception_fp_ieee_overflow 0
		.amdhsa_exception_fp_ieee_underflow 0
		.amdhsa_exception_fp_ieee_inexact 0
		.amdhsa_exception_int_div_zero 0
	.end_amdhsa_kernel
	.section	.text._ZN2at4cuda12_GLOBAL__N_121kernelPointwiseApply2IZNS_6native9templates4cuda28bernoulli_tensor_cuda_kernelIlfEEvRKNS_10TensorBaseES9_NS_15PhiloxCudaStateEEUliRlSB_SB_SB_RKfSD_SD_SD_E_lSC_jLin1ELi1ELi4ELi512ELi2EEEvNS0_6detail10TensorInfoIT0_T2_EENSG_IT1_SI_EESI_T_,"axG",@progbits,_ZN2at4cuda12_GLOBAL__N_121kernelPointwiseApply2IZNS_6native9templates4cuda28bernoulli_tensor_cuda_kernelIlfEEvRKNS_10TensorBaseES9_NS_15PhiloxCudaStateEEUliRlSB_SB_SB_RKfSD_SD_SD_E_lSC_jLin1ELi1ELi4ELi512ELi2EEEvNS0_6detail10TensorInfoIT0_T2_EENSG_IT1_SI_EESI_T_,comdat
.Lfunc_end50:
	.size	_ZN2at4cuda12_GLOBAL__N_121kernelPointwiseApply2IZNS_6native9templates4cuda28bernoulli_tensor_cuda_kernelIlfEEvRKNS_10TensorBaseES9_NS_15PhiloxCudaStateEEUliRlSB_SB_SB_RKfSD_SD_SD_E_lSC_jLin1ELi1ELi4ELi512ELi2EEEvNS0_6detail10TensorInfoIT0_T2_EENSG_IT1_SI_EESI_T_, .Lfunc_end50-_ZN2at4cuda12_GLOBAL__N_121kernelPointwiseApply2IZNS_6native9templates4cuda28bernoulli_tensor_cuda_kernelIlfEEvRKNS_10TensorBaseES9_NS_15PhiloxCudaStateEEUliRlSB_SB_SB_RKfSD_SD_SD_E_lSC_jLin1ELi1ELi4ELi512ELi2EEEvNS0_6detail10TensorInfoIT0_T2_EENSG_IT1_SI_EESI_T_
                                        ; -- End function
	.section	.AMDGPU.csdata,"",@progbits
; Kernel info:
; codeLenInByte = 4284
; NumSgprs: 43
; NumVgprs: 41
; ScratchSize: 0
; MemoryBound: 0
; FloatMode: 240
; IeeeMode: 1
; LDSByteSize: 0 bytes/workgroup (compile time only)
; SGPRBlocks: 5
; VGPRBlocks: 5
; NumSGPRsForWavesPerEU: 43
; NumVGPRsForWavesPerEU: 41
; Occupancy: 16
; WaveLimiterHint : 1
; COMPUTE_PGM_RSRC2:SCRATCH_EN: 0
; COMPUTE_PGM_RSRC2:USER_SGPR: 15
; COMPUTE_PGM_RSRC2:TRAP_HANDLER: 0
; COMPUTE_PGM_RSRC2:TGID_X_EN: 1
; COMPUTE_PGM_RSRC2:TGID_Y_EN: 0
; COMPUTE_PGM_RSRC2:TGID_Z_EN: 0
; COMPUTE_PGM_RSRC2:TIDIG_COMP_CNT: 0
	.section	.text._ZN2at4cuda12_GLOBAL__N_121kernelPointwiseApply2IZNS_6native9templates4cuda28bernoulli_tensor_cuda_kernelIlfEEvRKNS_10TensorBaseES9_NS_15PhiloxCudaStateEEUliRlSB_SB_SB_RKfSD_SD_SD_E_lSC_jLin1ELi2ELi4ELi512ELi2EEEvNS0_6detail10TensorInfoIT0_T2_EENSG_IT1_SI_EESI_T_,"axG",@progbits,_ZN2at4cuda12_GLOBAL__N_121kernelPointwiseApply2IZNS_6native9templates4cuda28bernoulli_tensor_cuda_kernelIlfEEvRKNS_10TensorBaseES9_NS_15PhiloxCudaStateEEUliRlSB_SB_SB_RKfSD_SD_SD_E_lSC_jLin1ELi2ELi4ELi512ELi2EEEvNS0_6detail10TensorInfoIT0_T2_EENSG_IT1_SI_EESI_T_,comdat
	.globl	_ZN2at4cuda12_GLOBAL__N_121kernelPointwiseApply2IZNS_6native9templates4cuda28bernoulli_tensor_cuda_kernelIlfEEvRKNS_10TensorBaseES9_NS_15PhiloxCudaStateEEUliRlSB_SB_SB_RKfSD_SD_SD_E_lSC_jLin1ELi2ELi4ELi512ELi2EEEvNS0_6detail10TensorInfoIT0_T2_EENSG_IT1_SI_EESI_T_ ; -- Begin function _ZN2at4cuda12_GLOBAL__N_121kernelPointwiseApply2IZNS_6native9templates4cuda28bernoulli_tensor_cuda_kernelIlfEEvRKNS_10TensorBaseES9_NS_15PhiloxCudaStateEEUliRlSB_SB_SB_RKfSD_SD_SD_E_lSC_jLin1ELi2ELi4ELi512ELi2EEEvNS0_6detail10TensorInfoIT0_T2_EENSG_IT1_SI_EESI_T_
	.p2align	8
	.type	_ZN2at4cuda12_GLOBAL__N_121kernelPointwiseApply2IZNS_6native9templates4cuda28bernoulli_tensor_cuda_kernelIlfEEvRKNS_10TensorBaseES9_NS_15PhiloxCudaStateEEUliRlSB_SB_SB_RKfSD_SD_SD_E_lSC_jLin1ELi2ELi4ELi512ELi2EEEvNS0_6detail10TensorInfoIT0_T2_EENSG_IT1_SI_EESI_T_,@function
_ZN2at4cuda12_GLOBAL__N_121kernelPointwiseApply2IZNS_6native9templates4cuda28bernoulli_tensor_cuda_kernelIlfEEvRKNS_10TensorBaseES9_NS_15PhiloxCudaStateEEUliRlSB_SB_SB_RKfSD_SD_SD_E_lSC_jLin1ELi2ELi4ELi512ELi2EEEvNS0_6detail10TensorInfoIT0_T2_EENSG_IT1_SI_EESI_T_: ; @_ZN2at4cuda12_GLOBAL__N_121kernelPointwiseApply2IZNS_6native9templates4cuda28bernoulli_tensor_cuda_kernelIlfEEvRKNS_10TensorBaseES9_NS_15PhiloxCudaStateEEUliRlSB_SB_SB_RKfSD_SD_SD_E_lSC_jLin1ELi2ELi4ELi512ELi2EEEvNS0_6detail10TensorInfoIT0_T2_EENSG_IT1_SI_EESI_T_
; %bb.0:
	s_clause 0x1
	s_load_b32 s2, s[0:1], 0x1e4
	s_load_b32 s20, s[0:1], 0x1b0
	s_add_u32 s4, s0, 0x1d8
	s_addc_u32 s5, s1, 0
	s_waitcnt lgkmcnt(0)
	s_and_b32 s14, s2, 0xffff
	s_mov_b32 s2, exec_lo
	v_mad_u64_u32 v[1:2], null, s15, s14, v[0:1]
	s_delay_alu instid0(VALU_DEP_1) | instskip(NEXT) | instid1(VALU_DEP_1)
	v_lshlrev_b32_e32 v28, 2, v1
	v_cmpx_gt_u32_e64 s20, v28
	s_cbranch_execz .LBB51_81
; %bb.1:
	s_clause 0x3
	s_load_b32 s21, s[0:1], 0xe4
	s_load_b32 s18, s[0:1], 0xd0
	s_load_b64 s[2:3], s[0:1], 0x144
	s_load_b32 s6, s[0:1], 0x1d0
	v_mad_u64_u32 v[2:3], null, 0xcd9e8d57, v1, 0
	s_load_b32 s16, s[4:5], 0x0
	s_clause 0x1
	s_load_b32 s22, s[0:1], 0x6c
	s_load_b64 s[8:9], s[0:1], 0xd8
	s_mov_b32 s15, 0
	v_mov_b32_e32 v4, 0
	s_mov_b32 s26, 0
                                        ; implicit-def: $sgpr27
                                        ; implicit-def: $sgpr29
                                        ; implicit-def: $sgpr28
                                        ; implicit-def: $sgpr30
                                        ; implicit-def: $sgpr33
                                        ; implicit-def: $sgpr31
                                        ; implicit-def: $sgpr34
	v_mov_b32_e32 v29, v3
	s_waitcnt lgkmcnt(0)
	v_cvt_f32_u32_e32 v0, s21
	s_cmp_gt_i32 s18, 1
	s_cselect_b32 s23, -1, 0
	s_bitcmp1_b32 s6, 0
	s_delay_alu instid0(VALU_DEP_1)
	v_rcp_iflag_f32_e32 v0, v0
	s_cselect_b32 s24, -1, 0
	s_sub_i32 s4, 0, s21
	s_mul_i32 s16, s16, s14
	s_add_i32 s14, s18, -1
	s_lshl_b32 s25, s16, 2
	s_lshl_b64 s[16:17], s[14:15], 2
	s_add_i32 s14, s18, 1
	s_waitcnt_depctr 0xfff
	v_mul_f32_e32 v0, 0x4f7ffffe, v0
	s_delay_alu instid0(VALU_DEP_1) | instskip(NEXT) | instid1(VALU_DEP_1)
	v_cvt_u32_f32_e32 v0, v0
	v_mul_lo_u32 v5, s4, v0
	s_clause 0x2
	s_load_b64 s[10:11], s[0:1], 0x1c8
	s_load_b128 s[4:7], s[0:1], 0x1b8
	s_load_b64 s[12:13], s[0:1], 0x0
	s_add_u32 s0, s16, s0
	s_addc_u32 s1, s17, s1
	s_add_u32 s16, s0, 8
	s_addc_u32 s17, s1, 0
                                        ; implicit-def: $sgpr1
	v_mul_hi_u32 v3, v0, v5
	s_delay_alu instid0(VALU_DEP_1)
	v_add_nc_u32_e32 v30, v0, v3
	s_branch .LBB51_3
.LBB51_2:                               ;   in Loop: Header=BB51_3 Depth=1
	s_or_b32 exec_lo, exec_lo, s18
	s_delay_alu instid0(SALU_CYCLE_1) | instskip(NEXT) | instid1(SALU_CYCLE_1)
	s_and_b32 s0, exec_lo, s0
	s_or_b32 s26, s0, s26
	s_and_not1_b32 s0, s1, exec_lo
	s_and_b32 s1, s34, exec_lo
	s_and_not1_b32 s18, s28, exec_lo
	s_and_b32 s19, s31, exec_lo
	s_or_b32 s1, s0, s1
	s_or_b32 s28, s18, s19
	s_and_not1_b32 s0, s29, exec_lo
	s_and_b32 s18, s33, exec_lo
	s_and_not1_b32 s19, s27, exec_lo
	s_and_b32 s27, s30, exec_lo
	s_or_b32 s29, s0, s18
	s_or_b32 s27, s19, s27
	s_and_not1_b32 exec_lo, exec_lo, s26
	s_cbranch_execz .LBB51_69
.LBB51_3:                               ; =>This Loop Header: Depth=1
                                        ;     Child Loop BB51_6 Depth 2
                                        ;     Child Loop BB51_13 Depth 2
	;; [unrolled: 1-line block ×4, first 2 shown]
	v_sub_nc_u32_e32 v31, s20, v28
	v_mov_b32_e32 v5, 0
	s_delay_alu instid0(VALU_DEP_2) | instskip(NEXT) | instid1(VALU_DEP_1)
	v_cmp_lt_i32_e64 s0, 0, v31
	s_and_saveexec_b32 s35, s0
	s_cbranch_execz .LBB51_8
; %bb.4:                                ;   in Loop: Header=BB51_3 Depth=1
	v_dual_mov_b32 v0, 0 :: v_dual_mov_b32 v3, v28
	s_and_not1_b32 vcc_lo, exec_lo, s23
	s_cbranch_vccnz .LBB51_7
; %bb.5:                                ;   in Loop: Header=BB51_3 Depth=1
	v_dual_mov_b32 v0, 0 :: v_dual_mov_b32 v3, v28
	s_mov_b64 s[18:19], s[16:17]
	s_mov_b32 s36, s14
	s_set_inst_prefetch_distance 0x1
	.p2align	6
.LBB51_6:                               ;   Parent Loop BB51_3 Depth=1
                                        ; =>  This Inner Loop Header: Depth=2
	s_clause 0x1
	s_load_b32 s37, s[18:19], 0x0
	s_load_b32 s38, s[18:19], 0x64
	v_mov_b32_e32 v7, v3
	s_add_i32 s36, s36, -1
	s_waitcnt lgkmcnt(0)
	v_cvt_f32_u32_e32 v5, s37
	s_sub_i32 s39, 0, s37
	s_add_u32 s18, s18, -4
	s_addc_u32 s19, s19, -1
	s_cmp_gt_u32 s36, 2
	v_rcp_iflag_f32_e32 v5, v5
	s_waitcnt_depctr 0xfff
	v_mul_f32_e32 v5, 0x4f7ffffe, v5
	s_delay_alu instid0(VALU_DEP_1) | instskip(NEXT) | instid1(VALU_DEP_1)
	v_cvt_u32_f32_e32 v5, v5
	v_mul_lo_u32 v6, s39, v5
	s_delay_alu instid0(VALU_DEP_1) | instskip(NEXT) | instid1(VALU_DEP_1)
	v_mul_hi_u32 v6, v5, v6
	v_add_nc_u32_e32 v3, v5, v6
	s_delay_alu instid0(VALU_DEP_1) | instskip(NEXT) | instid1(VALU_DEP_1)
	v_mul_hi_u32 v3, v7, v3
	v_add_nc_u32_e32 v6, 1, v3
	v_mul_lo_u32 v5, v3, s37
	s_delay_alu instid0(VALU_DEP_1) | instskip(NEXT) | instid1(VALU_DEP_1)
	v_sub_nc_u32_e32 v5, v7, v5
	v_subrev_nc_u32_e32 v8, s37, v5
	v_cmp_le_u32_e32 vcc_lo, s37, v5
	v_cndmask_b32_e32 v3, v3, v6, vcc_lo
	s_delay_alu instid0(VALU_DEP_1) | instskip(NEXT) | instid1(VALU_DEP_1)
	v_dual_cndmask_b32 v5, v5, v8 :: v_dual_add_nc_u32 v6, 1, v3
	v_cmp_le_u32_e32 vcc_lo, s37, v5
	s_delay_alu instid0(VALU_DEP_2) | instskip(NEXT) | instid1(VALU_DEP_1)
	v_cndmask_b32_e32 v3, v3, v6, vcc_lo
	v_mul_lo_u32 v5, v3, s37
	s_delay_alu instid0(VALU_DEP_1) | instskip(NEXT) | instid1(VALU_DEP_1)
	v_sub_nc_u32_e32 v7, v7, v5
	v_mad_u64_u32 v[5:6], null, s38, v7, v[0:1]
	s_delay_alu instid0(VALU_DEP_1)
	v_mov_b32_e32 v0, v5
	s_cbranch_scc1 .LBB51_6
.LBB51_7:                               ;   in Loop: Header=BB51_3 Depth=1
	s_set_inst_prefetch_distance 0x2
	s_delay_alu instid0(VALU_DEP_1)
	v_mad_u64_u32 v[5:6], null, s22, v3, v[0:1]
.LBB51_8:                               ;   in Loop: Header=BB51_3 Depth=1
	s_or_b32 exec_lo, exec_lo, s35
	v_dual_mov_b32 v6, 0 :: v_dual_mov_b32 v3, 0
	s_and_saveexec_b32 s18, s0
	s_cbranch_execz .LBB51_10
; %bb.9:                                ;   in Loop: Header=BB51_3 Depth=1
	v_mul_hi_u32 v0, v28, v30
	s_delay_alu instid0(VALU_DEP_1) | instskip(SKIP_1) | instid1(VALU_DEP_2)
	v_mul_lo_u32 v3, v0, s21
	v_add_nc_u32_e32 v7, 1, v0
	v_sub_nc_u32_e32 v3, v28, v3
	s_delay_alu instid0(VALU_DEP_1) | instskip(SKIP_1) | instid1(VALU_DEP_2)
	v_subrev_nc_u32_e32 v8, s21, v3
	v_cmp_le_u32_e32 vcc_lo, s21, v3
	v_dual_cndmask_b32 v0, v0, v7 :: v_dual_cndmask_b32 v3, v3, v8
	s_delay_alu instid0(VALU_DEP_1) | instskip(NEXT) | instid1(VALU_DEP_2)
	v_add_nc_u32_e32 v7, 1, v0
	v_cmp_le_u32_e32 vcc_lo, s21, v3
	s_delay_alu instid0(VALU_DEP_2) | instskip(NEXT) | instid1(VALU_DEP_1)
	v_cndmask_b32_e32 v3, v0, v7, vcc_lo
	v_mul_lo_u32 v0, v3, s21
	s_delay_alu instid0(VALU_DEP_1) | instskip(NEXT) | instid1(VALU_DEP_1)
	v_sub_nc_u32_e32 v0, v28, v0
	v_mul_lo_u32 v0, v0, s3
	s_delay_alu instid0(VALU_DEP_1) | instskip(NEXT) | instid1(VALU_DEP_1)
	v_mad_u64_u32 v[7:8], null, v3, s2, v[0:1]
	v_mov_b32_e32 v3, v7
.LBB51_10:                              ;   in Loop: Header=BB51_3 Depth=1
	s_or_b32 exec_lo, exec_lo, s18
	v_or_b32_e32 v8, 1, v28
	v_cmp_lt_i32_e64 s0, 1, v31
	s_delay_alu instid0(VALU_DEP_1)
	s_and_saveexec_b32 s35, s0
	s_cbranch_execz .LBB51_15
; %bb.11:                               ;   in Loop: Header=BB51_3 Depth=1
	s_delay_alu instid0(VALU_DEP_2)
	v_dual_mov_b32 v0, 0 :: v_dual_mov_b32 v9, v8
	s_and_not1_b32 vcc_lo, exec_lo, s23
	s_cbranch_vccnz .LBB51_14
; %bb.12:                               ;   in Loop: Header=BB51_3 Depth=1
	v_dual_mov_b32 v0, 0 :: v_dual_mov_b32 v9, v8
	s_mov_b64 s[18:19], s[16:17]
	s_mov_b32 s36, s14
	s_set_inst_prefetch_distance 0x1
	.p2align	6
.LBB51_13:                              ;   Parent Loop BB51_3 Depth=1
                                        ; =>  This Inner Loop Header: Depth=2
	s_clause 0x1
	s_load_b32 s37, s[18:19], 0x0
	s_load_b32 s38, s[18:19], 0x64
	v_mov_b32_e32 v10, v9
	s_add_i32 s36, s36, -1
	s_waitcnt lgkmcnt(0)
	v_cvt_f32_u32_e32 v6, s37
	s_sub_i32 s39, 0, s37
	s_add_u32 s18, s18, -4
	s_addc_u32 s19, s19, -1
	s_cmp_gt_u32 s36, 2
	v_rcp_iflag_f32_e32 v6, v6
	s_waitcnt_depctr 0xfff
	v_mul_f32_e32 v6, 0x4f7ffffe, v6
	s_delay_alu instid0(VALU_DEP_1) | instskip(NEXT) | instid1(VALU_DEP_1)
	v_cvt_u32_f32_e32 v6, v6
	v_mul_lo_u32 v7, s39, v6
	s_delay_alu instid0(VALU_DEP_1) | instskip(NEXT) | instid1(VALU_DEP_1)
	v_mul_hi_u32 v7, v6, v7
	v_add_nc_u32_e32 v6, v6, v7
	s_delay_alu instid0(VALU_DEP_1) | instskip(NEXT) | instid1(VALU_DEP_1)
	v_mul_hi_u32 v6, v10, v6
	v_mul_lo_u32 v7, v6, s37
	v_add_nc_u32_e32 v9, 1, v6
	s_delay_alu instid0(VALU_DEP_2) | instskip(NEXT) | instid1(VALU_DEP_1)
	v_sub_nc_u32_e32 v7, v10, v7
	v_subrev_nc_u32_e32 v11, s37, v7
	v_cmp_le_u32_e32 vcc_lo, s37, v7
	s_delay_alu instid0(VALU_DEP_2) | instskip(NEXT) | instid1(VALU_DEP_1)
	v_dual_cndmask_b32 v7, v7, v11 :: v_dual_cndmask_b32 v6, v6, v9
	v_cmp_le_u32_e32 vcc_lo, s37, v7
	s_delay_alu instid0(VALU_DEP_2) | instskip(NEXT) | instid1(VALU_DEP_1)
	v_add_nc_u32_e32 v9, 1, v6
	v_cndmask_b32_e32 v9, v6, v9, vcc_lo
	s_delay_alu instid0(VALU_DEP_1) | instskip(NEXT) | instid1(VALU_DEP_1)
	v_mul_lo_u32 v6, v9, s37
	v_sub_nc_u32_e32 v10, v10, v6
	s_delay_alu instid0(VALU_DEP_1) | instskip(NEXT) | instid1(VALU_DEP_1)
	v_mad_u64_u32 v[6:7], null, s38, v10, v[0:1]
	v_mov_b32_e32 v0, v6
	s_cbranch_scc1 .LBB51_13
.LBB51_14:                              ;   in Loop: Header=BB51_3 Depth=1
	s_set_inst_prefetch_distance 0x2
	s_delay_alu instid0(VALU_DEP_1)
	v_mad_u64_u32 v[6:7], null, s22, v9, v[0:1]
.LBB51_15:                              ;   in Loop: Header=BB51_3 Depth=1
	s_or_b32 exec_lo, exec_lo, s35
	v_mov_b32_e32 v11, 0
	s_and_saveexec_b32 s18, s0
	s_cbranch_execz .LBB51_17
; %bb.16:                               ;   in Loop: Header=BB51_3 Depth=1
	v_mul_hi_u32 v0, v8, v30
	s_delay_alu instid0(VALU_DEP_1) | instskip(SKIP_1) | instid1(VALU_DEP_2)
	v_mul_lo_u32 v7, v0, s21
	v_add_nc_u32_e32 v9, 1, v0
	v_sub_nc_u32_e32 v7, v8, v7
	s_delay_alu instid0(VALU_DEP_1) | instskip(SKIP_1) | instid1(VALU_DEP_2)
	v_subrev_nc_u32_e32 v10, s21, v7
	v_cmp_le_u32_e32 vcc_lo, s21, v7
	v_dual_cndmask_b32 v0, v0, v9 :: v_dual_cndmask_b32 v7, v7, v10
	s_delay_alu instid0(VALU_DEP_1) | instskip(NEXT) | instid1(VALU_DEP_2)
	v_add_nc_u32_e32 v9, 1, v0
	v_cmp_le_u32_e32 vcc_lo, s21, v7
	s_delay_alu instid0(VALU_DEP_2) | instskip(NEXT) | instid1(VALU_DEP_1)
	v_cndmask_b32_e32 v7, v0, v9, vcc_lo
	v_mul_lo_u32 v0, v7, s21
	s_delay_alu instid0(VALU_DEP_1) | instskip(NEXT) | instid1(VALU_DEP_1)
	v_sub_nc_u32_e32 v0, v8, v0
	v_mul_lo_u32 v0, v0, s3
	s_delay_alu instid0(VALU_DEP_1)
	v_mad_u64_u32 v[11:12], null, v7, s2, v[0:1]
.LBB51_17:                              ;   in Loop: Header=BB51_3 Depth=1
	s_or_b32 exec_lo, exec_lo, s18
	v_mov_b32_e32 v7, 0
	v_or_b32_e32 v12, 2, v28
	v_mov_b32_e32 v8, 0
	v_cmp_lt_i32_e64 s0, 2, v31
	s_delay_alu instid0(VALU_DEP_1)
	s_and_saveexec_b32 s35, s0
	s_cbranch_execz .LBB51_22
; %bb.18:                               ;   in Loop: Header=BB51_3 Depth=1
	v_dual_mov_b32 v0, 0 :: v_dual_mov_b32 v9, v12
	s_and_not1_b32 vcc_lo, exec_lo, s23
	s_cbranch_vccnz .LBB51_21
; %bb.19:                               ;   in Loop: Header=BB51_3 Depth=1
	v_dual_mov_b32 v0, 0 :: v_dual_mov_b32 v9, v12
	s_mov_b64 s[18:19], s[16:17]
	s_mov_b32 s36, s14
	s_set_inst_prefetch_distance 0x1
	.p2align	6
.LBB51_20:                              ;   Parent Loop BB51_3 Depth=1
                                        ; =>  This Inner Loop Header: Depth=2
	s_clause 0x1
	s_load_b32 s37, s[18:19], 0x0
	s_load_b32 s38, s[18:19], 0x64
	s_add_i32 s36, s36, -1
	v_mov_b32_e32 v10, v9
	s_waitcnt lgkmcnt(0)
	v_cvt_f32_u32_e32 v7, s37
	s_sub_i32 s39, 0, s37
	s_add_u32 s18, s18, -4
	s_addc_u32 s19, s19, -1
	s_cmp_gt_u32 s36, 2
	v_rcp_iflag_f32_e32 v7, v7
	s_waitcnt_depctr 0xfff
	v_mul_f32_e32 v7, 0x4f7ffffe, v7
	s_delay_alu instid0(VALU_DEP_1) | instskip(NEXT) | instid1(VALU_DEP_1)
	v_cvt_u32_f32_e32 v7, v7
	v_mul_lo_u32 v8, s39, v7
	s_delay_alu instid0(VALU_DEP_1) | instskip(NEXT) | instid1(VALU_DEP_1)
	v_mul_hi_u32 v8, v7, v8
	v_add_nc_u32_e32 v7, v7, v8
	s_delay_alu instid0(VALU_DEP_1) | instskip(NEXT) | instid1(VALU_DEP_1)
	v_mul_hi_u32 v7, v10, v7
	v_mul_lo_u32 v8, v7, s37
	v_add_nc_u32_e32 v9, 1, v7
	s_delay_alu instid0(VALU_DEP_2) | instskip(NEXT) | instid1(VALU_DEP_1)
	v_sub_nc_u32_e32 v8, v10, v8
	v_subrev_nc_u32_e32 v13, s37, v8
	v_cmp_le_u32_e32 vcc_lo, s37, v8
	s_delay_alu instid0(VALU_DEP_4) | instskip(NEXT) | instid1(VALU_DEP_1)
	v_cndmask_b32_e32 v7, v7, v9, vcc_lo
	v_dual_cndmask_b32 v8, v8, v13 :: v_dual_add_nc_u32 v9, 1, v7
	s_delay_alu instid0(VALU_DEP_1) | instskip(NEXT) | instid1(VALU_DEP_2)
	v_cmp_le_u32_e32 vcc_lo, s37, v8
	v_cndmask_b32_e32 v9, v7, v9, vcc_lo
	s_delay_alu instid0(VALU_DEP_1) | instskip(NEXT) | instid1(VALU_DEP_1)
	v_mul_lo_u32 v7, v9, s37
	v_sub_nc_u32_e32 v10, v10, v7
	s_delay_alu instid0(VALU_DEP_1) | instskip(NEXT) | instid1(VALU_DEP_1)
	v_mad_u64_u32 v[7:8], null, s38, v10, v[0:1]
	v_mov_b32_e32 v0, v7
	s_cbranch_scc1 .LBB51_20
.LBB51_21:                              ;   in Loop: Header=BB51_3 Depth=1
	s_set_inst_prefetch_distance 0x2
	s_delay_alu instid0(VALU_DEP_1)
	v_mad_u64_u32 v[7:8], null, s22, v9, v[0:1]
	v_mov_b32_e32 v8, v4
.LBB51_22:                              ;   in Loop: Header=BB51_3 Depth=1
	s_or_b32 exec_lo, exec_lo, s35
	v_mov_b32_e32 v9, 0
	v_mov_b32_e32 v10, 0
	s_delay_alu instid0(VALU_DEP_1)
	v_dual_mov_b32 v14, v10 :: v_dual_mov_b32 v13, v9
	s_and_saveexec_b32 s18, s0
	s_cbranch_execz .LBB51_24
; %bb.23:                               ;   in Loop: Header=BB51_3 Depth=1
	v_mul_hi_u32 v0, v12, v30
	s_delay_alu instid0(VALU_DEP_1) | instskip(NEXT) | instid1(VALU_DEP_1)
	v_mul_lo_u32 v13, v0, s21
	v_sub_nc_u32_e32 v13, v12, v13
	s_delay_alu instid0(VALU_DEP_1) | instskip(SKIP_1) | instid1(VALU_DEP_2)
	v_subrev_nc_u32_e32 v15, s21, v13
	v_cmp_le_u32_e32 vcc_lo, s21, v13
	v_dual_cndmask_b32 v13, v13, v15 :: v_dual_add_nc_u32 v14, 1, v0
	s_delay_alu instid0(VALU_DEP_1) | instskip(NEXT) | instid1(VALU_DEP_2)
	v_cndmask_b32_e32 v0, v0, v14, vcc_lo
	v_cmp_le_u32_e32 vcc_lo, s21, v13
	s_delay_alu instid0(VALU_DEP_2) | instskip(NEXT) | instid1(VALU_DEP_1)
	v_add_nc_u32_e32 v14, 1, v0
	v_cndmask_b32_e32 v15, v0, v14, vcc_lo
	s_delay_alu instid0(VALU_DEP_1) | instskip(NEXT) | instid1(VALU_DEP_1)
	v_mul_lo_u32 v0, v15, s21
	v_sub_nc_u32_e32 v0, v12, v0
	s_delay_alu instid0(VALU_DEP_1) | instskip(NEXT) | instid1(VALU_DEP_1)
	v_mul_lo_u32 v0, v0, s3
	v_mad_u64_u32 v[13:14], null, v15, s2, v[0:1]
	v_mov_b32_e32 v14, v4
.LBB51_24:                              ;   in Loop: Header=BB51_3 Depth=1
	s_or_b32 exec_lo, exec_lo, s18
	v_or_b32_e32 v12, 3, v28
	v_cmp_lt_i32_e64 s0, 3, v31
	s_delay_alu instid0(VALU_DEP_1)
	s_and_saveexec_b32 s35, s0
	s_cbranch_execz .LBB51_29
; %bb.25:                               ;   in Loop: Header=BB51_3 Depth=1
	s_delay_alu instid0(VALU_DEP_2)
	v_dual_mov_b32 v0, 0 :: v_dual_mov_b32 v15, v12
	s_and_not1_b32 vcc_lo, exec_lo, s23
	s_cbranch_vccnz .LBB51_28
; %bb.26:                               ;   in Loop: Header=BB51_3 Depth=1
	v_dual_mov_b32 v0, 0 :: v_dual_mov_b32 v15, v12
	s_mov_b64 s[18:19], s[16:17]
	s_mov_b32 s36, s14
	s_set_inst_prefetch_distance 0x1
	.p2align	6
.LBB51_27:                              ;   Parent Loop BB51_3 Depth=1
                                        ; =>  This Inner Loop Header: Depth=2
	s_clause 0x1
	s_load_b32 s37, s[18:19], 0x0
	s_load_b32 s38, s[18:19], 0x64
	s_add_i32 s36, s36, -1
	v_mov_b32_e32 v16, v15
	s_waitcnt lgkmcnt(0)
	v_cvt_f32_u32_e32 v9, s37
	s_sub_i32 s39, 0, s37
	s_add_u32 s18, s18, -4
	s_addc_u32 s19, s19, -1
	s_cmp_gt_u32 s36, 2
	v_rcp_iflag_f32_e32 v9, v9
	s_waitcnt_depctr 0xfff
	v_mul_f32_e32 v9, 0x4f7ffffe, v9
	s_delay_alu instid0(VALU_DEP_1) | instskip(NEXT) | instid1(VALU_DEP_1)
	v_cvt_u32_f32_e32 v9, v9
	v_mul_lo_u32 v10, s39, v9
	s_delay_alu instid0(VALU_DEP_1) | instskip(NEXT) | instid1(VALU_DEP_1)
	v_mul_hi_u32 v10, v9, v10
	v_add_nc_u32_e32 v9, v9, v10
	s_delay_alu instid0(VALU_DEP_1) | instskip(NEXT) | instid1(VALU_DEP_1)
	v_mul_hi_u32 v9, v16, v9
	v_mul_lo_u32 v10, v9, s37
	v_add_nc_u32_e32 v15, 1, v9
	s_delay_alu instid0(VALU_DEP_2) | instskip(NEXT) | instid1(VALU_DEP_1)
	v_sub_nc_u32_e32 v10, v16, v10
	v_subrev_nc_u32_e32 v17, s37, v10
	v_cmp_le_u32_e32 vcc_lo, s37, v10
	s_delay_alu instid0(VALU_DEP_2) | instskip(NEXT) | instid1(VALU_DEP_1)
	v_dual_cndmask_b32 v9, v9, v15 :: v_dual_cndmask_b32 v10, v10, v17
	v_add_nc_u32_e32 v15, 1, v9
	s_delay_alu instid0(VALU_DEP_2) | instskip(NEXT) | instid1(VALU_DEP_2)
	v_cmp_le_u32_e32 vcc_lo, s37, v10
	v_cndmask_b32_e32 v15, v9, v15, vcc_lo
	s_delay_alu instid0(VALU_DEP_1) | instskip(NEXT) | instid1(VALU_DEP_1)
	v_mul_lo_u32 v9, v15, s37
	v_sub_nc_u32_e32 v16, v16, v9
	s_delay_alu instid0(VALU_DEP_1) | instskip(NEXT) | instid1(VALU_DEP_1)
	v_mad_u64_u32 v[9:10], null, s38, v16, v[0:1]
	v_mov_b32_e32 v0, v9
	s_cbranch_scc1 .LBB51_27
.LBB51_28:                              ;   in Loop: Header=BB51_3 Depth=1
	s_set_inst_prefetch_distance 0x2
	s_delay_alu instid0(VALU_DEP_1)
	v_mad_u64_u32 v[9:10], null, s22, v15, v[0:1]
	v_mov_b32_e32 v10, v4
.LBB51_29:                              ;   in Loop: Header=BB51_3 Depth=1
	s_or_b32 exec_lo, exec_lo, s35
	v_mov_b32_e32 v15, 0
	v_mov_b32_e32 v16, 0
	s_and_saveexec_b32 s18, s0
	s_cbranch_execz .LBB51_31
; %bb.30:                               ;   in Loop: Header=BB51_3 Depth=1
	v_mul_hi_u32 v0, v12, v30
	s_delay_alu instid0(VALU_DEP_1) | instskip(NEXT) | instid1(VALU_DEP_1)
	v_mul_lo_u32 v15, v0, s21
	v_sub_nc_u32_e32 v15, v12, v15
	s_delay_alu instid0(VALU_DEP_1) | instskip(SKIP_1) | instid1(VALU_DEP_2)
	v_subrev_nc_u32_e32 v17, s21, v15
	v_cmp_le_u32_e32 vcc_lo, s21, v15
	v_dual_cndmask_b32 v15, v15, v17 :: v_dual_add_nc_u32 v16, 1, v0
	s_delay_alu instid0(VALU_DEP_1) | instskip(NEXT) | instid1(VALU_DEP_2)
	v_cndmask_b32_e32 v0, v0, v16, vcc_lo
	v_cmp_le_u32_e32 vcc_lo, s21, v15
	s_delay_alu instid0(VALU_DEP_2) | instskip(NEXT) | instid1(VALU_DEP_1)
	v_add_nc_u32_e32 v16, 1, v0
	v_cndmask_b32_e32 v17, v0, v16, vcc_lo
	s_delay_alu instid0(VALU_DEP_1) | instskip(NEXT) | instid1(VALU_DEP_1)
	v_mul_lo_u32 v0, v17, s21
	v_sub_nc_u32_e32 v0, v12, v0
	s_delay_alu instid0(VALU_DEP_1) | instskip(NEXT) | instid1(VALU_DEP_1)
	v_mul_lo_u32 v0, v0, s3
	v_mad_u64_u32 v[15:16], null, v17, s2, v[0:1]
	v_mov_b32_e32 v16, v4
.LBB51_31:                              ;   in Loop: Header=BB51_3 Depth=1
	s_or_b32 exec_lo, exec_lo, s18
	v_mov_b32_e32 v12, v4
	v_lshlrev_b64 v[17:18], 2, v[3:4]
	v_lshlrev_b64 v[13:14], 2, v[13:14]
	;; [unrolled: 1-line block ×3, first 2 shown]
	s_delay_alu instid0(VALU_DEP_4) | instskip(NEXT) | instid1(VALU_DEP_4)
	v_lshlrev_b64 v[11:12], 2, v[11:12]
	v_add_co_u32 v17, vcc_lo, s8, v17
	v_add_co_ci_u32_e32 v18, vcc_lo, s9, v18, vcc_lo
	s_delay_alu instid0(VALU_DEP_3) | instskip(NEXT) | instid1(VALU_DEP_4)
	v_add_co_u32 v11, vcc_lo, s8, v11
	v_add_co_ci_u32_e32 v12, vcc_lo, s9, v12, vcc_lo
	v_add_co_u32 v13, vcc_lo, s8, v13
	v_add_co_ci_u32_e32 v14, vcc_lo, s9, v14, vcc_lo
	;; [unrolled: 2-line block ×3, first 2 shown]
	s_clause 0x3
	global_load_b32 v0, v[17:18], off
	global_load_b32 v3, v[11:12], off
	;; [unrolled: 1-line block ×4, first 2 shown]
	s_waitcnt lgkmcnt(0)
	v_mov_b32_e32 v16, s7
	v_dual_mov_b32 v18, s5 :: v_dual_mov_b32 v17, s4
	v_mov_b32_e32 v15, s6
	s_and_not1_b32 vcc_lo, exec_lo, s24
	s_cbranch_vccnz .LBB51_33
; %bb.32:                               ;   in Loop: Header=BB51_3 Depth=1
	v_dual_mov_b32 v12, s7 :: v_dual_mov_b32 v11, s6
	v_dual_mov_b32 v14, s5 :: v_dual_mov_b32 v13, s4
	flat_load_b64 v[11:12], v[11:12]
	flat_load_b64 v[17:18], v[13:14]
	s_waitcnt vmcnt(1) lgkmcnt(1)
	v_add_co_u32 v15, vcc_lo, v11, s10
	v_add_co_ci_u32_e32 v16, vcc_lo, s11, v12, vcc_lo
.LBB51_33:                              ;   in Loop: Header=BB51_3 Depth=1
	s_delay_alu instid0(VALU_DEP_1)
	v_alignbit_b32 v14, v16, v15, 2
	v_lshrrev_b32_e32 v13, 2, v16
	s_waitcnt vmcnt(0) lgkmcnt(0)
	v_add_nc_u32_e32 v35, 0xbb67ae85, v18
	v_add_nc_u32_e32 v36, 0x76cf5d0a, v18
	;; [unrolled: 1-line block ×3, first 2 shown]
	v_add_co_u32 v16, vcc_lo, v14, 1
	s_delay_alu instid0(VALU_DEP_1) | instskip(SKIP_4) | instid1(VALU_DEP_4)
	v_cndmask_b32_e64 v11, 0, 1, vcc_lo
	v_add_co_ci_u32_e32 v25, vcc_lo, 0, v13, vcc_lo
	v_xor3_b32 v21, v29, v17, v13
	v_add_nc_u32_e32 v38, 0x32370b8f, v18
	v_add_nc_u32_e32 v39, 0xed9eba14, v18
	v_cmp_eq_u32_e32 vcc_lo, 0, v25
	v_add_nc_u32_e32 v40, 0x1715609d, v17
	v_add_nc_u32_e32 v41, 0xa9066899, v18
	s_mov_b32 s0, exec_lo
	v_dual_cndmask_b32 v19, 0, v11 :: v_dual_add_nc_u32 v34, 0x9e3779b9, v17
	v_mad_u64_u32 v[11:12], null, 0xd2511f53, v16, 0
	s_delay_alu instid0(VALU_DEP_2) | instskip(NEXT) | instid1(VALU_DEP_2)
	v_add_nc_u32_e32 v16, v19, v1
	v_xor_b32_e32 v20, v12, v18
	s_delay_alu instid0(VALU_DEP_2) | instskip(SKIP_2) | instid1(VALU_DEP_1)
	v_cmp_eq_u32_e32 vcc_lo, 0, v16
	v_mad_u64_u32 v[12:13], null, 0xd2511f53, v14, 0
	v_cndmask_b32_e32 v19, 0, v19, vcc_lo
	v_xor_b32_e32 v14, v19, v20
	v_mad_u64_u32 v[19:20], null, 0xd2511f53, v21, 0
	v_mad_u64_u32 v[21:22], null, 0xcd9e8d57, v16, 0
	s_delay_alu instid0(VALU_DEP_3) | instskip(SKIP_3) | instid1(VALU_DEP_3)
	v_mad_u64_u32 v[23:24], null, 0xcd9e8d57, v14, 0
	v_xor_b32_e32 v14, v13, v18
	v_add_nc_u32_e32 v16, 0x3c6ef372, v17
	v_xor3_b32 v26, v35, v20, v12
	v_mad_u64_u32 v[12:13], null, 0xcd9e8d57, v14, 0
	v_xor3_b32 v14, v22, v17, v25
	v_xor3_b32 v22, v34, v24, v21
	s_delay_alu instid0(VALU_DEP_4) | instskip(NEXT) | instid1(VALU_DEP_3)
	v_mad_u64_u32 v[20:21], null, 0xcd9e8d57, v26, 0
	v_mad_u64_u32 v[24:25], null, 0xd2511f53, v14, 0
	s_delay_alu instid0(VALU_DEP_3) | instskip(SKIP_1) | instid1(VALU_DEP_4)
	v_mad_u64_u32 v[26:27], null, 0xd2511f53, v22, 0
	v_xor3_b32 v14, v2, v13, v34
	v_xor3_b32 v34, v16, v21, v12
	s_delay_alu instid0(VALU_DEP_4) | instskip(NEXT) | instid1(VALU_DEP_3)
	v_xor3_b32 v11, v35, v25, v11
	v_mad_u64_u32 v[12:13], null, 0xd2511f53, v14, 0
	v_xor3_b32 v14, v36, v27, v24
	s_delay_alu instid0(VALU_DEP_4) | instskip(NEXT) | instid1(VALU_DEP_4)
	v_mad_u64_u32 v[21:22], null, 0xd2511f53, v34, 0
	v_mad_u64_u32 v[24:25], null, 0xcd9e8d57, v11, 0
	s_delay_alu instid0(VALU_DEP_3) | instskip(SKIP_4) | instid1(VALU_DEP_4)
	v_mad_u64_u32 v[34:35], null, 0xcd9e8d57, v14, 0
	v_xor3_b32 v13, v36, v13, v19
	v_add_nc_u32_e32 v27, 0x78dde6e4, v17
	v_xor3_b32 v19, v38, v22, v12
	v_xor3_b32 v16, v16, v25, v23
	v_mad_u64_u32 v[11:12], null, 0xcd9e8d57, v13, 0
	v_xor3_b32 v35, v37, v35, v24
	s_delay_alu instid0(VALU_DEP_4) | instskip(NEXT) | instid1(VALU_DEP_4)
	v_mad_u64_u32 v[13:14], null, 0xcd9e8d57, v19, 0
	v_mad_u64_u32 v[22:23], null, 0xd2511f53, v16, 0
	s_delay_alu instid0(VALU_DEP_3) | instskip(SKIP_1) | instid1(VALU_DEP_4)
	v_mad_u64_u32 v[24:25], null, 0xd2511f53, v35, 0
	v_xor3_b32 v16, v37, v12, v20
	v_xor3_b32 v14, v27, v14, v11
	s_delay_alu instid0(VALU_DEP_2) | instskip(SKIP_2) | instid1(VALU_DEP_4)
	v_mad_u64_u32 v[11:12], null, 0xd2511f53, v16, 0
	v_xor3_b32 v16, v38, v23, v26
	v_xor3_b32 v22, v39, v25, v22
	v_mad_u64_u32 v[25:26], null, 0xd2511f53, v14, 0
	s_delay_alu instid0(VALU_DEP_3) | instskip(NEXT) | instid1(VALU_DEP_3)
	v_mad_u64_u32 v[19:20], null, 0xcd9e8d57, v16, 0
	v_mad_u64_u32 v[35:36], null, 0xcd9e8d57, v22, 0
	v_xor3_b32 v14, v39, v12, v21
	s_delay_alu instid0(VALU_DEP_4) | instskip(SKIP_2) | instid1(VALU_DEP_4)
	v_xor3_b32 v22, v41, v26, v11
	v_add_nc_u32_e32 v16, 0xb54cda56, v17
	v_add_nc_u32_e32 v21, 0x646e171e, v18
	v_mad_u64_u32 v[11:12], null, 0xcd9e8d57, v14, 0
	v_xor3_b32 v14, v27, v20, v34
	v_xor3_b32 v23, v40, v36, v19
	v_mad_u64_u32 v[36:37], null, 0xcd9e8d57, v22, 0
	v_add_nc_u32_e32 v27, 0x5384540f, v17
	s_delay_alu instid0(VALU_DEP_4) | instskip(NEXT) | instid1(VALU_DEP_4)
	v_mad_u64_u32 v[19:20], null, 0xd2511f53, v14, 0
	v_mad_u64_u32 v[38:39], null, 0xd2511f53, v23, 0
	v_xor3_b32 v13, v40, v12, v13
	v_xor3_b32 v14, v16, v37, v11
	v_add_nc_u32_e32 v40, 0x1fd5c5a3, v18
	v_add_co_u32 v34, null, 0xf1bbcdc8, v17
	v_xor3_b32 v22, v41, v20, v24
	v_xor3_b32 v24, v21, v39, v19
	v_mad_u64_u32 v[11:12], null, 0xd2511f53, v13, 0
	v_mad_u64_u32 v[19:20], null, 0xd2511f53, v14, 0
	s_delay_alu instid0(VALU_DEP_4) | instskip(NEXT) | instid1(VALU_DEP_4)
	v_mad_u64_u32 v[13:14], null, 0xcd9e8d57, v22, 0
	v_mad_u64_u32 v[22:23], null, 0xcd9e8d57, v24, 0
	s_delay_alu instid0(VALU_DEP_4) | instskip(NEXT) | instid1(VALU_DEP_4)
	v_xor3_b32 v21, v21, v12, v25
	v_xor3_b32 v24, v40, v20, v11
	s_delay_alu instid0(VALU_DEP_4) | instskip(NEXT) | instid1(VALU_DEP_3)
	v_xor3_b32 v16, v16, v14, v35
	v_mad_u64_u32 v[11:12], null, 0xcd9e8d57, v21, 0
	v_xor3_b32 v23, v27, v23, v13
	s_delay_alu instid0(VALU_DEP_4) | instskip(NEXT) | instid1(VALU_DEP_4)
	v_mad_u64_u32 v[20:21], null, 0xcd9e8d57, v24, 0
	v_mad_u64_u32 v[13:14], null, 0xd2511f53, v16, 0
	s_delay_alu instid0(VALU_DEP_3)
	v_mad_u64_u32 v[25:26], null, 0xd2511f53, v23, 0
	v_add_nc_u32_e32 v35, 0xdb3d7428, v18
	v_xor3_b32 v12, v27, v12, v36
	v_xor3_b32 v16, v34, v21, v11
	v_add_nc_u32_e32 v36, 0x96a522ad, v18
	v_xor3_b32 v14, v40, v14, v38
	v_and_b32_e32 v18, 3, v15
	v_xor3_b32 v21, v35, v26, v13
	v_mad_u64_u32 v[23:24], null, 0xd2511f53, v12, 0
	v_mad_u64_u32 v[11:12], null, 0xd2511f53, v16, 0
	;; [unrolled: 1-line block ×3, first 2 shown]
	s_delay_alu instid0(VALU_DEP_4) | instskip(SKIP_1) | instid1(VALU_DEP_4)
	v_mad_u64_u32 v[13:14], null, 0xcd9e8d57, v21, 0
	v_add_nc_u32_e32 v21, 0x8ff34781, v17
                                        ; implicit-def: $vgpr16
	v_xor3_b32 v17, v12, v23, v36
	s_delay_alu instid0(VALU_DEP_2)
	v_xor3_b32 v12, v14, v26, v21
	v_cmpx_lt_i32_e32 1, v18
	s_xor_b32 s0, exec_lo, s0
	s_cbranch_execz .LBB51_39
; %bb.34:                               ;   in Loop: Header=BB51_3 Depth=1
	s_mov_b32 s18, exec_lo
                                        ; implicit-def: $vgpr16
	v_cmpx_lt_i32_e32 2, v18
	s_xor_b32 s18, exec_lo, s18
; %bb.35:                               ;   in Loop: Header=BB51_3 Depth=1
	v_xor3_b32 v14, v34, v27, v22
                                        ; implicit-def: $vgpr17
	s_delay_alu instid0(VALU_DEP_1) | instskip(NEXT) | instid1(VALU_DEP_1)
	v_mul_hi_u32 v14, 0xd2511f53, v14
	v_xor3_b32 v16, v14, v25, v36
; %bb.36:                               ;   in Loop: Header=BB51_3 Depth=1
	s_and_not1_saveexec_b32 s18, s18
; %bb.37:                               ;   in Loop: Header=BB51_3 Depth=1
	v_dual_mov_b32 v16, v13 :: v_dual_mov_b32 v13, v12
	v_dual_mov_b32 v12, v11 :: v_dual_mov_b32 v11, v17
; %bb.38:                               ;   in Loop: Header=BB51_3 Depth=1
	s_or_b32 exec_lo, exec_lo, s18
                                        ; implicit-def: $vgpr19_vgpr20
                                        ; implicit-def: $vgpr18
                                        ; implicit-def: $vgpr17
                                        ; implicit-def: $vgpr35
                                        ; implicit-def: $vgpr23_vgpr24
                                        ; implicit-def: $vgpr20_vgpr21
                                        ; implicit-def: $vgpr21
.LBB51_39:                              ;   in Loop: Header=BB51_3 Depth=1
	s_and_not1_saveexec_b32 s0, s0
	s_cbranch_execz .LBB51_43
; %bb.40:                               ;   in Loop: Header=BB51_3 Depth=1
	v_xor3_b32 v13, v35, v24, v19
	v_cmp_eq_u32_e32 vcc_lo, 1, v18
	v_mov_b32_e32 v16, v11
	s_delay_alu instid0(VALU_DEP_3) | instskip(SKIP_1) | instid1(VALU_DEP_2)
	v_mad_u64_u32 v[14:15], null, 0xcd9e8d57, v13, 0
	v_mov_b32_e32 v13, v17
	v_xor3_b32 v18, v15, v20, v21
	s_delay_alu instid0(VALU_DEP_3)
	v_mov_b32_e32 v15, v14
	s_and_saveexec_b32 s18, vcc_lo
; %bb.41:                               ;   in Loop: Header=BB51_3 Depth=1
	v_dual_mov_b32 v16, v12 :: v_dual_mov_b32 v13, v11
	v_dual_mov_b32 v15, v17 :: v_dual_mov_b32 v18, v14
; %bb.42:                               ;   in Loop: Header=BB51_3 Depth=1
	s_or_b32 exec_lo, exec_lo, s18
	s_delay_alu instid0(VALU_DEP_1)
	v_dual_mov_b32 v11, v18 :: v_dual_mov_b32 v12, v15
.LBB51_43:                              ;   in Loop: Header=BB51_3 Depth=1
	s_or_b32 exec_lo, exec_lo, s0
	v_min_i32_e32 v14, 4, v31
	s_mov_b32 s18, 0
	s_mov_b32 s39, 0
	;; [unrolled: 1-line block ×3, first 2 shown]
                                        ; implicit-def: $sgpr35
                                        ; implicit-def: $sgpr36
                                        ; implicit-def: $sgpr37
	s_mov_b32 s0, exec_lo
	v_cmpx_lt_i32_e32 2, v14
	s_xor_b32 s38, exec_lo, s0
	s_cbranch_execz .LBB51_55
; %bb.44:                               ;   in Loop: Header=BB51_3 Depth=1
	s_mov_b32 s0, -1
	s_mov_b32 s40, 0
	s_mov_b32 s36, exec_lo
                                        ; implicit-def: $sgpr19
                                        ; implicit-def: $sgpr35
	v_cmpx_lt_i32_e32 3, v14
	s_cbranch_execz .LBB51_50
; %bb.45:                               ;   in Loop: Header=BB51_3 Depth=1
	s_mov_b32 s0, 0
	s_mov_b32 s40, -1
	s_mov_b32 s37, exec_lo
                                        ; implicit-def: $sgpr19
                                        ; implicit-def: $sgpr35
	v_cmpx_eq_u32_e32 4, v14
	s_cbranch_execz .LBB51_49
; %bb.46:                               ;   in Loop: Header=BB51_3 Depth=1
	v_cmp_le_f32_e32 vcc_lo, 0, v33
	v_cmp_ge_f32_e64 s0, 1.0, v33
	s_mov_b32 s19, 0
	s_delay_alu instid0(VALU_DEP_1)
	s_and_b32 s40, vcc_lo, s0
	s_mov_b32 s0, 0
	s_and_saveexec_b32 s35, s40
	s_cbranch_execz .LBB51_48
; %bb.47:                               ;   in Loop: Header=BB51_3 Depth=1
	v_cvt_f32_u32_e32 v15, v16
	v_lshlrev_b64 v[9:10], 3, v[9:10]
	s_mov_b32 s0, exec_lo
	s_delay_alu instid0(VALU_DEP_2) | instskip(NEXT) | instid1(VALU_DEP_2)
	v_dual_mov_b32 v16, s15 :: v_dual_fmaak_f32 v15, 0x2f800000, v15, 0x2f800000
	v_add_co_u32 v9, vcc_lo, s12, v9
	s_delay_alu instid0(VALU_DEP_3) | instskip(NEXT) | instid1(VALU_DEP_3)
	v_add_co_ci_u32_e32 v10, vcc_lo, s13, v10, vcc_lo
	v_cmp_le_f32_e32 vcc_lo, v15, v33
	v_cndmask_b32_e64 v15, 0, 1, vcc_lo
	global_store_b64 v[9:10], v[15:16], off
.LBB51_48:                              ;   in Loop: Header=BB51_3 Depth=1
	s_or_b32 exec_lo, exec_lo, s35
	s_mov_b32 s35, -1
	s_xor_b32 s40, exec_lo, -1
	s_and_b32 s0, s0, exec_lo
.LBB51_49:                              ;   in Loop: Header=BB51_3 Depth=1
	s_or_b32 exec_lo, exec_lo, s37
	s_delay_alu instid0(SALU_CYCLE_1)
	s_and_b32 s40, s40, exec_lo
	s_or_not1_b32 s0, s0, exec_lo
.LBB51_50:                              ;   in Loop: Header=BB51_3 Depth=1
	s_or_b32 exec_lo, exec_lo, s36
	s_mov_b32 s37, s19
	s_and_saveexec_b32 s36, s0
	s_cbranch_execz .LBB51_54
; %bb.51:                               ;   in Loop: Header=BB51_3 Depth=1
	v_cmp_le_f32_e32 vcc_lo, 0, v32
	v_cmp_ge_f32_e64 s0, 1.0, v32
	s_delay_alu instid0(VALU_DEP_1) | instskip(SKIP_2) | instid1(SALU_CYCLE_1)
	s_and_b32 s37, vcc_lo, s0
	s_mov_b32 s0, 0
	s_and_saveexec_b32 s39, s37
	s_xor_b32 s37, exec_lo, s39
	s_cbranch_execz .LBB51_53
; %bb.52:                               ;   in Loop: Header=BB51_3 Depth=1
	v_cvt_f32_u32_e32 v9, v13
	v_lshlrev_b64 v[7:8], 3, v[7:8]
	s_mov_b32 s0, exec_lo
	s_delay_alu instid0(VALU_DEP_2) | instskip(NEXT) | instid1(VALU_DEP_2)
	v_dual_mov_b32 v10, s15 :: v_dual_fmaak_f32 v9, 0x2f800000, v9, 0x2f800000
	v_add_co_u32 v7, vcc_lo, s12, v7
	s_delay_alu instid0(VALU_DEP_3) | instskip(NEXT) | instid1(VALU_DEP_3)
	v_add_co_ci_u32_e32 v8, vcc_lo, s13, v8, vcc_lo
	v_cmp_le_f32_e32 vcc_lo, v9, v32
	v_cndmask_b32_e64 v9, 0, 1, vcc_lo
	global_store_b64 v[7:8], v[9:10], off
.LBB51_53:                              ;   in Loop: Header=BB51_3 Depth=1
	s_or_b32 exec_lo, exec_lo, s37
	s_delay_alu instid0(SALU_CYCLE_1)
	s_and_not1_b32 s37, s19, exec_lo
	s_or_b32 s19, s19, exec_lo
	s_and_not1_b32 s35, s35, exec_lo
	s_and_b32 s39, s0, exec_lo
.LBB51_54:                              ;   in Loop: Header=BB51_3 Depth=1
	s_or_b32 exec_lo, exec_lo, s36
	s_delay_alu instid0(SALU_CYCLE_1)
	s_and_b32 s37, s37, exec_lo
	s_and_b32 s36, s19, exec_lo
	;; [unrolled: 1-line block ×5, first 2 shown]
.LBB51_55:                              ;   in Loop: Header=BB51_3 Depth=1
	s_and_not1_saveexec_b32 s0, s38
; %bb.56:                               ;   in Loop: Header=BB51_3 Depth=1
	v_cmp_lt_i32_e32 vcc_lo, 1, v14
	s_and_not1_b32 s38, s39, exec_lo
	s_mov_b32 s18, exec_lo
	s_and_not1_b32 s37, s37, exec_lo
	s_and_not1_b32 s36, s36, exec_lo
	s_and_b32 s39, vcc_lo, exec_lo
	s_and_not1_b32 s35, s35, exec_lo
	s_or_b32 s39, s38, s39
; %bb.57:                               ;   in Loop: Header=BB51_3 Depth=1
	s_or_b32 exec_lo, exec_lo, s0
	s_mov_b32 s0, 0
	s_mov_b32 s38, s37
	s_and_saveexec_b32 s40, s39
	s_cbranch_execnz .LBB51_60
; %bb.58:                               ;   in Loop: Header=BB51_3 Depth=1
	s_or_b32 exec_lo, exec_lo, s40
	s_and_saveexec_b32 s39, s18
	s_cbranch_execnz .LBB51_63
.LBB51_59:                              ;   in Loop: Header=BB51_3 Depth=1
	s_or_b32 exec_lo, exec_lo, s39
	s_and_saveexec_b32 s18, s0
	s_cbranch_execnz .LBB51_64
	s_branch .LBB51_67
.LBB51_60:                              ;   in Loop: Header=BB51_3 Depth=1
	v_cmp_le_f32_e32 vcc_lo, 0, v3
	v_cmp_ge_f32_e64 s0, 1.0, v3
	s_delay_alu instid0(VALU_DEP_1) | instskip(SKIP_2) | instid1(SALU_CYCLE_1)
	s_and_b32 s38, vcc_lo, s0
	s_mov_b32 s0, 0
	s_and_saveexec_b32 s39, s38
	s_xor_b32 s38, exec_lo, s39
	s_cbranch_execz .LBB51_62
; %bb.61:                               ;   in Loop: Header=BB51_3 Depth=1
	v_cvt_f32_u32_e32 v8, v12
	v_mov_b32_e32 v7, v4
	v_mov_b32_e32 v9, s15
	s_mov_b32 s0, exec_lo
	s_delay_alu instid0(VALU_DEP_3) | instskip(NEXT) | instid1(VALU_DEP_3)
	v_fmaak_f32 v8, 0x2f800000, v8, 0x2f800000
	v_lshlrev_b64 v[6:7], 3, v[6:7]
	s_delay_alu instid0(VALU_DEP_2) | instskip(SKIP_1) | instid1(VALU_DEP_3)
	v_cmp_le_f32_e32 vcc_lo, v8, v3
	v_cndmask_b32_e64 v8, 0, 1, vcc_lo
	v_add_co_u32 v6, vcc_lo, s12, v6
	s_delay_alu instid0(VALU_DEP_4)
	v_add_co_ci_u32_e32 v7, vcc_lo, s13, v7, vcc_lo
	global_store_b64 v[6:7], v[8:9], off
.LBB51_62:                              ;   in Loop: Header=BB51_3 Depth=1
	s_or_b32 exec_lo, exec_lo, s38
	s_delay_alu instid0(SALU_CYCLE_1)
	s_and_not1_b32 s38, s37, exec_lo
	s_or_b32 s37, s37, exec_lo
	s_and_not1_b32 s36, s36, exec_lo
	s_and_not1_b32 s35, s35, exec_lo
	s_and_b32 s0, s0, exec_lo
	s_and_not1_b32 s18, s18, exec_lo
	s_or_b32 exec_lo, exec_lo, s40
	s_and_saveexec_b32 s39, s18
	s_cbranch_execz .LBB51_59
.LBB51_63:                              ;   in Loop: Header=BB51_3 Depth=1
	v_cmp_eq_u32_e32 vcc_lo, 1, v14
	s_and_not1_b32 s0, s0, exec_lo
	s_and_not1_b32 s38, s38, exec_lo
	;; [unrolled: 1-line block ×4, first 2 shown]
	s_and_b32 s18, vcc_lo, exec_lo
	s_and_not1_b32 s35, s35, exec_lo
	s_or_b32 s19, s19, exec_lo
	s_or_b32 s0, s0, s18
	s_or_b32 exec_lo, exec_lo, s39
	s_and_saveexec_b32 s18, s0
	s_cbranch_execz .LBB51_67
.LBB51_64:                              ;   in Loop: Header=BB51_3 Depth=1
	v_cmp_le_f32_e32 vcc_lo, 0, v0
	v_cmp_ge_f32_e64 s0, 1.0, v0
	s_delay_alu instid0(VALU_DEP_1)
	s_and_b32 s40, vcc_lo, s0
	s_mov_b32 s0, 0
	s_and_saveexec_b32 s39, s40
	s_cbranch_execz .LBB51_66
; %bb.65:                               ;   in Loop: Header=BB51_3 Depth=1
	v_cvt_f32_u32_e32 v3, v11
	v_mov_b32_e32 v6, v4
	v_mov_b32_e32 v8, s15
	s_mov_b32 s0, exec_lo
	s_delay_alu instid0(VALU_DEP_3) | instskip(NEXT) | instid1(VALU_DEP_3)
	v_fmaak_f32 v3, 0x2f800000, v3, 0x2f800000
	v_lshlrev_b64 v[5:6], 3, v[5:6]
	s_delay_alu instid0(VALU_DEP_2) | instskip(SKIP_1) | instid1(VALU_DEP_3)
	v_cmp_le_f32_e32 vcc_lo, v3, v0
	v_cndmask_b32_e64 v7, 0, 1, vcc_lo
	v_add_co_u32 v5, vcc_lo, s12, v5
	s_delay_alu instid0(VALU_DEP_4)
	v_add_co_ci_u32_e32 v6, vcc_lo, s13, v6, vcc_lo
	global_store_b64 v[5:6], v[7:8], off
.LBB51_66:                              ;   in Loop: Header=BB51_3 Depth=1
	s_or_b32 exec_lo, exec_lo, s39
	s_delay_alu instid0(SALU_CYCLE_1)
	s_and_not1_b32 s19, s19, exec_lo
	s_and_b32 s0, s0, exec_lo
	s_or_b32 s38, s38, exec_lo
	s_and_not1_b32 s37, s37, exec_lo
	s_and_not1_b32 s36, s36, exec_lo
	;; [unrolled: 1-line block ×3, first 2 shown]
	s_or_b32 s19, s19, s0
.LBB51_67:                              ;   in Loop: Header=BB51_3 Depth=1
	s_or_b32 exec_lo, exec_lo, s18
	s_delay_alu instid0(SALU_CYCLE_1)
	s_and_not1_b32 s18, s34, exec_lo
	s_and_b32 s34, s38, exec_lo
	s_and_not1_b32 s31, s31, exec_lo
	s_and_b32 s37, s37, exec_lo
	s_or_b32 s34, s18, s34
	s_and_not1_b32 s18, s33, exec_lo
	s_and_b32 s33, s36, exec_lo
	s_and_not1_b32 s30, s30, exec_lo
	s_and_b32 s35, s35, exec_lo
	s_mov_b32 s0, -1
	s_or_b32 s31, s31, s37
	s_or_b32 s33, s18, s33
	;; [unrolled: 1-line block ×3, first 2 shown]
	s_and_saveexec_b32 s18, s19
	s_cbranch_execz .LBB51_2
; %bb.68:                               ;   in Loop: Header=BB51_3 Depth=1
	v_add_nc_u32_e32 v28, s25, v28
	s_and_not1_b32 s34, s34, exec_lo
	s_and_not1_b32 s31, s31, exec_lo
	;; [unrolled: 1-line block ×4, first 2 shown]
	v_cmp_le_u32_e32 vcc_lo, s20, v28
	s_or_not1_b32 s0, vcc_lo, exec_lo
	s_branch .LBB51_2
.LBB51_69:
	s_or_b32 exec_lo, exec_lo, s26
	s_xor_b32 s4, s28, -1
	s_xor_b32 s5, s29, -1
	;; [unrolled: 1-line block ×3, first 2 shown]
	s_mov_b32 s2, 0
	s_and_saveexec_b32 s3, s0
	s_delay_alu instid0(SALU_CYCLE_1)
	s_xor_b32 s0, exec_lo, s3
	s_cbranch_execz .LBB51_78
; %bb.70:
	s_mov_b32 s3, 0
	s_and_saveexec_b32 s2, s5
	s_delay_alu instid0(SALU_CYCLE_1)
	s_xor_b32 s2, exec_lo, s2
	s_cbranch_execz .LBB51_76
; %bb.71:
	s_and_saveexec_b32 s5, s4
	s_delay_alu instid0(SALU_CYCLE_1)
	s_xor_b32 s4, exec_lo, s5
	s_cbranch_execz .LBB51_74
; %bb.72:
	s_and_saveexec_b32 s5, s1
	s_delay_alu instid0(SALU_CYCLE_1)
	s_xor_b32 s1, exec_lo, s5
	s_cbranch_execnz .LBB51_92
.LBB51_73:
	s_or_b32 exec_lo, exec_lo, s1
	s_delay_alu instid0(SALU_CYCLE_1)
	s_and_b32 s3, s3, exec_lo
.LBB51_74:
	s_and_not1_saveexec_b32 s1, s4
	s_cbranch_execnz .LBB51_88
.LBB51_75:
	s_or_b32 exec_lo, exec_lo, s1
	s_delay_alu instid0(SALU_CYCLE_1)
	s_and_b32 s3, s3, exec_lo
.LBB51_76:
	s_and_not1_saveexec_b32 s1, s2
	s_cbranch_execnz .LBB51_84
.LBB51_77:
	s_or_b32 exec_lo, exec_lo, s1
	s_delay_alu instid0(SALU_CYCLE_1)
	s_and_b32 s2, s3, exec_lo
.LBB51_78:
	s_and_not1_saveexec_b32 s0, s0
	s_cbranch_execnz .LBB51_82
; %bb.79:
	s_or_b32 exec_lo, exec_lo, s0
	s_delay_alu instid0(SALU_CYCLE_1)
	s_and_b32 exec_lo, exec_lo, s2
.LBB51_80:
	; divergent unreachable
.LBB51_81:
	s_nop 0
	s_sendmsg sendmsg(MSG_DEALLOC_VGPRS)
	s_endpgm
.LBB51_82:
	s_cbranch_execnz .LBB51_86
; %bb.83:
	s_or_b32 s2, s2, exec_lo
	s_or_b32 exec_lo, exec_lo, s0
	s_delay_alu instid0(SALU_CYCLE_1)
	s_and_b32 exec_lo, exec_lo, s2
	s_cbranch_execnz .LBB51_80
	s_branch .LBB51_81
.LBB51_84:
	s_cbranch_execnz .LBB51_90
; %bb.85:
	s_or_b32 s3, s3, exec_lo
	s_branch .LBB51_77
.LBB51_86:
	s_trap 2
	s_sendmsg_rtn_b32 s0, sendmsg(MSG_RTN_GET_DOORBELL)
	s_mov_b32 ttmp2, m0
	s_waitcnt lgkmcnt(0)
	s_and_b32 s0, s0, 0x3ff
	s_delay_alu instid0(SALU_CYCLE_1) | instskip(NEXT) | instid1(SALU_CYCLE_1)
	s_bitset1_b32 s0, 10
	s_mov_b32 m0, s0
	s_sendmsg sendmsg(MSG_INTERRUPT)
	s_mov_b32 m0, ttmp2
.LBB51_87:                              ; =>This Inner Loop Header: Depth=1
	s_sethalt 5
	s_branch .LBB51_87
.LBB51_88:
	s_cbranch_execnz .LBB51_94
; %bb.89:
	s_or_b32 s3, s3, exec_lo
	s_branch .LBB51_75
.LBB51_90:
	s_trap 2
	s_sendmsg_rtn_b32 s0, sendmsg(MSG_RTN_GET_DOORBELL)
	s_mov_b32 ttmp2, m0
	s_waitcnt lgkmcnt(0)
	s_and_b32 s0, s0, 0x3ff
	s_delay_alu instid0(SALU_CYCLE_1) | instskip(NEXT) | instid1(SALU_CYCLE_1)
	s_bitset1_b32 s0, 10
	s_mov_b32 m0, s0
	s_sendmsg sendmsg(MSG_INTERRUPT)
	s_mov_b32 m0, ttmp2
.LBB51_91:                              ; =>This Inner Loop Header: Depth=1
	s_sethalt 5
	s_branch .LBB51_91
.LBB51_92:
	s_cbranch_execnz .LBB51_96
; %bb.93:
	s_mov_b32 s3, exec_lo
	s_branch .LBB51_73
.LBB51_94:
	s_trap 2
	s_sendmsg_rtn_b32 s0, sendmsg(MSG_RTN_GET_DOORBELL)
	s_mov_b32 ttmp2, m0
	s_waitcnt lgkmcnt(0)
	s_and_b32 s0, s0, 0x3ff
	s_delay_alu instid0(SALU_CYCLE_1) | instskip(NEXT) | instid1(SALU_CYCLE_1)
	s_bitset1_b32 s0, 10
	s_mov_b32 m0, s0
	s_sendmsg sendmsg(MSG_INTERRUPT)
	s_mov_b32 m0, ttmp2
.LBB51_95:                              ; =>This Inner Loop Header: Depth=1
	s_sethalt 5
	s_branch .LBB51_95
.LBB51_96:
	s_trap 2
	s_sendmsg_rtn_b32 s0, sendmsg(MSG_RTN_GET_DOORBELL)
	s_mov_b32 ttmp2, m0
	s_waitcnt lgkmcnt(0)
	s_and_b32 s0, s0, 0x3ff
	s_delay_alu instid0(SALU_CYCLE_1) | instskip(NEXT) | instid1(SALU_CYCLE_1)
	s_bitset1_b32 s0, 10
	s_mov_b32 m0, s0
	s_sendmsg sendmsg(MSG_INTERRUPT)
	s_mov_b32 m0, ttmp2
.LBB51_97:                              ; =>This Inner Loop Header: Depth=1
	s_sethalt 5
	s_branch .LBB51_97
	.section	.rodata,"a",@progbits
	.p2align	6, 0x0
	.amdhsa_kernel _ZN2at4cuda12_GLOBAL__N_121kernelPointwiseApply2IZNS_6native9templates4cuda28bernoulli_tensor_cuda_kernelIlfEEvRKNS_10TensorBaseES9_NS_15PhiloxCudaStateEEUliRlSB_SB_SB_RKfSD_SD_SD_E_lSC_jLin1ELi2ELi4ELi512ELi2EEEvNS0_6detail10TensorInfoIT0_T2_EENSG_IT1_SI_EESI_T_
		.amdhsa_group_segment_fixed_size 0
		.amdhsa_private_segment_fixed_size 0
		.amdhsa_kernarg_size 728
		.amdhsa_user_sgpr_count 15
		.amdhsa_user_sgpr_dispatch_ptr 0
		.amdhsa_user_sgpr_queue_ptr 0
		.amdhsa_user_sgpr_kernarg_segment_ptr 1
		.amdhsa_user_sgpr_dispatch_id 0
		.amdhsa_user_sgpr_private_segment_size 0
		.amdhsa_wavefront_size32 1
		.amdhsa_uses_dynamic_stack 0
		.amdhsa_enable_private_segment 0
		.amdhsa_system_sgpr_workgroup_id_x 1
		.amdhsa_system_sgpr_workgroup_id_y 0
		.amdhsa_system_sgpr_workgroup_id_z 0
		.amdhsa_system_sgpr_workgroup_info 0
		.amdhsa_system_vgpr_workitem_id 0
		.amdhsa_next_free_vgpr 42
		.amdhsa_next_free_sgpr 41
		.amdhsa_reserve_vcc 1
		.amdhsa_float_round_mode_32 0
		.amdhsa_float_round_mode_16_64 0
		.amdhsa_float_denorm_mode_32 3
		.amdhsa_float_denorm_mode_16_64 3
		.amdhsa_dx10_clamp 1
		.amdhsa_ieee_mode 1
		.amdhsa_fp16_overflow 0
		.amdhsa_workgroup_processor_mode 1
		.amdhsa_memory_ordered 1
		.amdhsa_forward_progress 0
		.amdhsa_shared_vgpr_count 0
		.amdhsa_exception_fp_ieee_invalid_op 0
		.amdhsa_exception_fp_denorm_src 0
		.amdhsa_exception_fp_ieee_div_zero 0
		.amdhsa_exception_fp_ieee_overflow 0
		.amdhsa_exception_fp_ieee_underflow 0
		.amdhsa_exception_fp_ieee_inexact 0
		.amdhsa_exception_int_div_zero 0
	.end_amdhsa_kernel
	.section	.text._ZN2at4cuda12_GLOBAL__N_121kernelPointwiseApply2IZNS_6native9templates4cuda28bernoulli_tensor_cuda_kernelIlfEEvRKNS_10TensorBaseES9_NS_15PhiloxCudaStateEEUliRlSB_SB_SB_RKfSD_SD_SD_E_lSC_jLin1ELi2ELi4ELi512ELi2EEEvNS0_6detail10TensorInfoIT0_T2_EENSG_IT1_SI_EESI_T_,"axG",@progbits,_ZN2at4cuda12_GLOBAL__N_121kernelPointwiseApply2IZNS_6native9templates4cuda28bernoulli_tensor_cuda_kernelIlfEEvRKNS_10TensorBaseES9_NS_15PhiloxCudaStateEEUliRlSB_SB_SB_RKfSD_SD_SD_E_lSC_jLin1ELi2ELi4ELi512ELi2EEEvNS0_6detail10TensorInfoIT0_T2_EENSG_IT1_SI_EESI_T_,comdat
.Lfunc_end51:
	.size	_ZN2at4cuda12_GLOBAL__N_121kernelPointwiseApply2IZNS_6native9templates4cuda28bernoulli_tensor_cuda_kernelIlfEEvRKNS_10TensorBaseES9_NS_15PhiloxCudaStateEEUliRlSB_SB_SB_RKfSD_SD_SD_E_lSC_jLin1ELi2ELi4ELi512ELi2EEEvNS0_6detail10TensorInfoIT0_T2_EENSG_IT1_SI_EESI_T_, .Lfunc_end51-_ZN2at4cuda12_GLOBAL__N_121kernelPointwiseApply2IZNS_6native9templates4cuda28bernoulli_tensor_cuda_kernelIlfEEvRKNS_10TensorBaseES9_NS_15PhiloxCudaStateEEUliRlSB_SB_SB_RKfSD_SD_SD_E_lSC_jLin1ELi2ELi4ELi512ELi2EEEvNS0_6detail10TensorInfoIT0_T2_EENSG_IT1_SI_EESI_T_
                                        ; -- End function
	.section	.AMDGPU.csdata,"",@progbits
; Kernel info:
; codeLenInByte = 4840
; NumSgprs: 43
; NumVgprs: 42
; ScratchSize: 0
; MemoryBound: 0
; FloatMode: 240
; IeeeMode: 1
; LDSByteSize: 0 bytes/workgroup (compile time only)
; SGPRBlocks: 5
; VGPRBlocks: 5
; NumSGPRsForWavesPerEU: 43
; NumVGPRsForWavesPerEU: 42
; Occupancy: 16
; WaveLimiterHint : 1
; COMPUTE_PGM_RSRC2:SCRATCH_EN: 0
; COMPUTE_PGM_RSRC2:USER_SGPR: 15
; COMPUTE_PGM_RSRC2:TRAP_HANDLER: 0
; COMPUTE_PGM_RSRC2:TGID_X_EN: 1
; COMPUTE_PGM_RSRC2:TGID_Y_EN: 0
; COMPUTE_PGM_RSRC2:TGID_Z_EN: 0
; COMPUTE_PGM_RSRC2:TIDIG_COMP_CNT: 0
	.section	.text._ZN2at4cuda12_GLOBAL__N_121kernelPointwiseApply2IZNS_6native9templates4cuda28bernoulli_tensor_cuda_kernelIlfEEvRKNS_10TensorBaseES9_NS_15PhiloxCudaStateEEUliRlSB_SB_SB_RKfSD_SD_SD_E_lSC_jLin1ELin1ELi4ELi512ELi2EEEvNS0_6detail10TensorInfoIT0_T2_EENSG_IT1_SI_EESI_T_,"axG",@progbits,_ZN2at4cuda12_GLOBAL__N_121kernelPointwiseApply2IZNS_6native9templates4cuda28bernoulli_tensor_cuda_kernelIlfEEvRKNS_10TensorBaseES9_NS_15PhiloxCudaStateEEUliRlSB_SB_SB_RKfSD_SD_SD_E_lSC_jLin1ELin1ELi4ELi512ELi2EEEvNS0_6detail10TensorInfoIT0_T2_EENSG_IT1_SI_EESI_T_,comdat
	.globl	_ZN2at4cuda12_GLOBAL__N_121kernelPointwiseApply2IZNS_6native9templates4cuda28bernoulli_tensor_cuda_kernelIlfEEvRKNS_10TensorBaseES9_NS_15PhiloxCudaStateEEUliRlSB_SB_SB_RKfSD_SD_SD_E_lSC_jLin1ELin1ELi4ELi512ELi2EEEvNS0_6detail10TensorInfoIT0_T2_EENSG_IT1_SI_EESI_T_ ; -- Begin function _ZN2at4cuda12_GLOBAL__N_121kernelPointwiseApply2IZNS_6native9templates4cuda28bernoulli_tensor_cuda_kernelIlfEEvRKNS_10TensorBaseES9_NS_15PhiloxCudaStateEEUliRlSB_SB_SB_RKfSD_SD_SD_E_lSC_jLin1ELin1ELi4ELi512ELi2EEEvNS0_6detail10TensorInfoIT0_T2_EENSG_IT1_SI_EESI_T_
	.p2align	8
	.type	_ZN2at4cuda12_GLOBAL__N_121kernelPointwiseApply2IZNS_6native9templates4cuda28bernoulli_tensor_cuda_kernelIlfEEvRKNS_10TensorBaseES9_NS_15PhiloxCudaStateEEUliRlSB_SB_SB_RKfSD_SD_SD_E_lSC_jLin1ELin1ELi4ELi512ELi2EEEvNS0_6detail10TensorInfoIT0_T2_EENSG_IT1_SI_EESI_T_,@function
_ZN2at4cuda12_GLOBAL__N_121kernelPointwiseApply2IZNS_6native9templates4cuda28bernoulli_tensor_cuda_kernelIlfEEvRKNS_10TensorBaseES9_NS_15PhiloxCudaStateEEUliRlSB_SB_SB_RKfSD_SD_SD_E_lSC_jLin1ELin1ELi4ELi512ELi2EEEvNS0_6detail10TensorInfoIT0_T2_EENSG_IT1_SI_EESI_T_: ; @_ZN2at4cuda12_GLOBAL__N_121kernelPointwiseApply2IZNS_6native9templates4cuda28bernoulli_tensor_cuda_kernelIlfEEvRKNS_10TensorBaseES9_NS_15PhiloxCudaStateEEUliRlSB_SB_SB_RKfSD_SD_SD_E_lSC_jLin1ELin1ELi4ELi512ELi2EEEvNS0_6detail10TensorInfoIT0_T2_EENSG_IT1_SI_EESI_T_
; %bb.0:
	s_clause 0x1
	s_load_b32 s4, s[0:1], 0x1e4
	s_load_b32 s20, s[0:1], 0x1b0
	s_add_u32 s2, s0, 0x1d8
	s_addc_u32 s3, s1, 0
	s_waitcnt lgkmcnt(0)
	s_and_b32 s12, s4, 0xffff
	s_mov_b32 s4, exec_lo
	v_mad_u64_u32 v[1:2], null, s15, s12, v[0:1]
	s_delay_alu instid0(VALU_DEP_1) | instskip(NEXT) | instid1(VALU_DEP_1)
	v_lshlrev_b32_e32 v27, 2, v1
	v_cmpx_gt_u32_e64 s20, v27
	s_cbranch_execz .LBB52_93
; %bb.1:
	s_clause 0x1
	s_load_b32 s16, s[0:1], 0xd0
	s_load_b32 s17, s[0:1], 0x1a8
	;; [unrolled: 1-line block ×3, first 2 shown]
	s_clause 0x2
	s_load_b32 s15, s[0:1], 0x1d0
	s_load_b64 s[2:3], s[0:1], 0x1c8
	s_load_b128 s[4:7], s[0:1], 0x1b8
	s_add_u32 s18, s0, 0xd8
	s_addc_u32 s19, s1, 0
	s_clause 0x3
	s_load_b64 s[8:9], s[0:1], 0xd8
	s_load_b32 s22, s[0:1], 0x6c
	s_load_b64 s[10:11], s[0:1], 0x0
	s_load_b32 s21, s[0:1], 0x144
	s_mov_b32 s13, 0
	v_mad_u64_u32 v[2:3], null, 0xcd9e8d57, v1, 0
	v_mov_b32_e32 v4, 0
	s_mov_b32 s29, 0
                                        ; implicit-def: $sgpr30
                                        ; implicit-def: $sgpr33
                                        ; implicit-def: $sgpr31
                                        ; implicit-def: $sgpr34
                                        ; implicit-def: $sgpr36
                                        ; implicit-def: $sgpr35
                                        ; implicit-def: $sgpr37
	s_delay_alu instid0(VALU_DEP_2)
	v_mov_b32_e32 v28, v3
	s_waitcnt lgkmcnt(0)
	s_cmp_gt_i32 s16, 1
	s_cselect_b32 s23, -1, 0
	s_cmp_gt_i32 s17, 1
	s_mul_i32 s14, s14, s12
	s_cselect_b32 s24, -1, 0
	s_bitcmp1_b32 s15, 0
	s_cselect_b32 s25, -1, 0
	s_add_i32 s12, s16, -1
	s_lshl_b32 s26, s14, 2
	s_lshl_b64 s[14:15], s[12:13], 2
	s_add_i32 s27, s16, 1
	s_add_u32 s0, s14, s0
	s_addc_u32 s1, s15, s1
	s_add_u32 s14, s0, 8
	s_addc_u32 s15, s1, 0
	s_add_i32 s12, s17, -1
	s_add_i32 s28, s17, 1
	s_lshl_b64 s[0:1], s[12:13], 2
                                        ; implicit-def: $sgpr12
	s_delay_alu instid0(SALU_CYCLE_1)
	s_add_u32 s0, s0, s18
	s_addc_u32 s1, s1, s19
	s_add_u32 s16, s0, 8
	s_addc_u32 s17, s1, 0
	s_branch .LBB52_3
.LBB52_2:                               ;   in Loop: Header=BB52_3 Depth=1
	s_or_b32 exec_lo, exec_lo, s1
	s_delay_alu instid0(SALU_CYCLE_1) | instskip(NEXT) | instid1(SALU_CYCLE_1)
	s_and_b32 s0, exec_lo, s0
	s_or_b32 s29, s0, s29
	s_and_not1_b32 s0, s12, exec_lo
	s_and_b32 s1, s37, exec_lo
	s_and_not1_b32 s18, s31, exec_lo
	s_and_b32 s19, s35, exec_lo
	s_or_b32 s12, s0, s1
	s_or_b32 s31, s18, s19
	s_and_not1_b32 s0, s33, exec_lo
	s_and_b32 s1, s36, exec_lo
	s_and_not1_b32 s18, s30, exec_lo
	s_and_b32 s19, s34, exec_lo
	s_or_b32 s33, s0, s1
	s_or_b32 s30, s18, s19
	s_and_not1_b32 exec_lo, exec_lo, s29
	s_cbranch_execz .LBB52_81
.LBB52_3:                               ; =>This Loop Header: Depth=1
                                        ;     Child Loop BB52_6 Depth 2
                                        ;     Child Loop BB52_11 Depth 2
	;; [unrolled: 1-line block ×8, first 2 shown]
	v_sub_nc_u32_e32 v29, s20, v27
	v_mov_b32_e32 v5, 0
	s_delay_alu instid0(VALU_DEP_2) | instskip(NEXT) | instid1(VALU_DEP_1)
	v_cmp_lt_i32_e64 s0, 0, v29
	s_and_saveexec_b32 s1, s0
	s_cbranch_execz .LBB52_8
; %bb.4:                                ;   in Loop: Header=BB52_3 Depth=1
	v_dual_mov_b32 v0, 0 :: v_dual_mov_b32 v3, v27
	s_and_not1_b32 vcc_lo, exec_lo, s23
	s_cbranch_vccnz .LBB52_7
; %bb.5:                                ;   in Loop: Header=BB52_3 Depth=1
	v_dual_mov_b32 v0, 0 :: v_dual_mov_b32 v3, v27
	s_mov_b64 s[18:19], s[14:15]
	s_mov_b32 s38, s27
	s_set_inst_prefetch_distance 0x1
	.p2align	6
.LBB52_6:                               ;   Parent Loop BB52_3 Depth=1
                                        ; =>  This Inner Loop Header: Depth=2
	s_clause 0x1
	s_load_b32 s39, s[18:19], 0x0
	s_load_b32 s40, s[18:19], 0x64
	v_mov_b32_e32 v7, v3
	s_add_i32 s38, s38, -1
	s_waitcnt lgkmcnt(0)
	v_cvt_f32_u32_e32 v5, s39
	s_sub_i32 s41, 0, s39
	s_add_u32 s18, s18, -4
	s_addc_u32 s19, s19, -1
	s_cmp_gt_u32 s38, 2
	v_rcp_iflag_f32_e32 v5, v5
	s_waitcnt_depctr 0xfff
	v_mul_f32_e32 v5, 0x4f7ffffe, v5
	s_delay_alu instid0(VALU_DEP_1) | instskip(NEXT) | instid1(VALU_DEP_1)
	v_cvt_u32_f32_e32 v5, v5
	v_mul_lo_u32 v6, s41, v5
	s_delay_alu instid0(VALU_DEP_1) | instskip(NEXT) | instid1(VALU_DEP_1)
	v_mul_hi_u32 v6, v5, v6
	v_add_nc_u32_e32 v3, v5, v6
	s_delay_alu instid0(VALU_DEP_1) | instskip(NEXT) | instid1(VALU_DEP_1)
	v_mul_hi_u32 v3, v7, v3
	v_add_nc_u32_e32 v6, 1, v3
	v_mul_lo_u32 v5, v3, s39
	s_delay_alu instid0(VALU_DEP_1) | instskip(NEXT) | instid1(VALU_DEP_1)
	v_sub_nc_u32_e32 v5, v7, v5
	v_subrev_nc_u32_e32 v8, s39, v5
	v_cmp_le_u32_e32 vcc_lo, s39, v5
	v_cndmask_b32_e32 v3, v3, v6, vcc_lo
	s_delay_alu instid0(VALU_DEP_1) | instskip(NEXT) | instid1(VALU_DEP_1)
	v_dual_cndmask_b32 v5, v5, v8 :: v_dual_add_nc_u32 v6, 1, v3
	v_cmp_le_u32_e32 vcc_lo, s39, v5
	s_delay_alu instid0(VALU_DEP_2) | instskip(NEXT) | instid1(VALU_DEP_1)
	v_cndmask_b32_e32 v3, v3, v6, vcc_lo
	v_mul_lo_u32 v5, v3, s39
	s_delay_alu instid0(VALU_DEP_1) | instskip(NEXT) | instid1(VALU_DEP_1)
	v_sub_nc_u32_e32 v7, v7, v5
	v_mad_u64_u32 v[5:6], null, s40, v7, v[0:1]
	s_delay_alu instid0(VALU_DEP_1)
	v_mov_b32_e32 v0, v5
	s_cbranch_scc1 .LBB52_6
.LBB52_7:                               ;   in Loop: Header=BB52_3 Depth=1
	s_set_inst_prefetch_distance 0x2
	s_delay_alu instid0(VALU_DEP_1)
	v_mad_u64_u32 v[5:6], null, s22, v3, v[0:1]
.LBB52_8:                               ;   in Loop: Header=BB52_3 Depth=1
	s_or_b32 exec_lo, exec_lo, s1
	v_mov_b32_e32 v3, 0
	s_and_saveexec_b32 s18, s0
	s_cbranch_execz .LBB52_13
; %bb.9:                                ;   in Loop: Header=BB52_3 Depth=1
	v_dual_mov_b32 v0, 0 :: v_dual_mov_b32 v3, v27
	s_and_not1_b32 vcc_lo, exec_lo, s24
	s_cbranch_vccnz .LBB52_12
; %bb.10:                               ;   in Loop: Header=BB52_3 Depth=1
	v_dual_mov_b32 v0, 0 :: v_dual_mov_b32 v3, v27
	s_mov_b64 s[0:1], s[16:17]
	s_mov_b32 s19, s28
	s_set_inst_prefetch_distance 0x1
	.p2align	6
.LBB52_11:                              ;   Parent Loop BB52_3 Depth=1
                                        ; =>  This Inner Loop Header: Depth=2
	s_clause 0x1
	s_load_b32 s38, s[0:1], 0x0
	s_load_b32 s39, s[0:1], 0x64
	s_add_i32 s19, s19, -1
	s_waitcnt lgkmcnt(0)
	v_cvt_f32_u32_e32 v6, s38
	s_sub_i32 s40, 0, s38
	s_add_u32 s0, s0, -4
	s_addc_u32 s1, s1, -1
	s_cmp_gt_u32 s19, 2
	v_rcp_iflag_f32_e32 v6, v6
	s_waitcnt_depctr 0xfff
	v_mul_f32_e32 v6, 0x4f7ffffe, v6
	s_delay_alu instid0(VALU_DEP_1) | instskip(NEXT) | instid1(VALU_DEP_1)
	v_cvt_u32_f32_e32 v6, v6
	v_mul_lo_u32 v7, s40, v6
	s_delay_alu instid0(VALU_DEP_1) | instskip(NEXT) | instid1(VALU_DEP_1)
	v_mul_hi_u32 v7, v6, v7
	v_dual_mov_b32 v8, v3 :: v_dual_add_nc_u32 v3, v6, v7
	s_delay_alu instid0(VALU_DEP_1) | instskip(NEXT) | instid1(VALU_DEP_1)
	v_mul_hi_u32 v3, v8, v3
	v_mul_lo_u32 v6, v3, s38
	v_add_nc_u32_e32 v7, 1, v3
	s_delay_alu instid0(VALU_DEP_2) | instskip(NEXT) | instid1(VALU_DEP_1)
	v_sub_nc_u32_e32 v6, v8, v6
	v_subrev_nc_u32_e32 v9, s38, v6
	v_cmp_le_u32_e32 vcc_lo, s38, v6
	s_delay_alu instid0(VALU_DEP_2) | instskip(NEXT) | instid1(VALU_DEP_1)
	v_dual_cndmask_b32 v3, v3, v7 :: v_dual_cndmask_b32 v6, v6, v9
	v_add_nc_u32_e32 v7, 1, v3
	s_delay_alu instid0(VALU_DEP_2) | instskip(NEXT) | instid1(VALU_DEP_2)
	v_cmp_le_u32_e32 vcc_lo, s38, v6
	v_cndmask_b32_e32 v3, v3, v7, vcc_lo
	s_delay_alu instid0(VALU_DEP_1) | instskip(NEXT) | instid1(VALU_DEP_1)
	v_mul_lo_u32 v6, v3, s38
	v_sub_nc_u32_e32 v8, v8, v6
	s_delay_alu instid0(VALU_DEP_1) | instskip(NEXT) | instid1(VALU_DEP_1)
	v_mad_u64_u32 v[6:7], null, s39, v8, v[0:1]
	v_mov_b32_e32 v0, v6
	s_cbranch_scc1 .LBB52_11
.LBB52_12:                              ;   in Loop: Header=BB52_3 Depth=1
	s_set_inst_prefetch_distance 0x2
	s_delay_alu instid0(VALU_DEP_1) | instskip(NEXT) | instid1(VALU_DEP_1)
	v_mad_u64_u32 v[6:7], null, s21, v3, v[0:1]
	v_mov_b32_e32 v3, v6
.LBB52_13:                              ;   in Loop: Header=BB52_3 Depth=1
	s_or_b32 exec_lo, exec_lo, s18
	v_or_b32_e32 v8, 1, v27
	v_cmp_lt_i32_e64 s0, 1, v29
	v_mov_b32_e32 v6, 0
	s_delay_alu instid0(VALU_DEP_2)
	s_and_saveexec_b32 s1, s0
	s_cbranch_execz .LBB52_18
; %bb.14:                               ;   in Loop: Header=BB52_3 Depth=1
	v_dual_mov_b32 v0, 0 :: v_dual_mov_b32 v9, v8
	s_and_not1_b32 vcc_lo, exec_lo, s23
	s_cbranch_vccnz .LBB52_17
; %bb.15:                               ;   in Loop: Header=BB52_3 Depth=1
	v_dual_mov_b32 v0, 0 :: v_dual_mov_b32 v9, v8
	s_mov_b64 s[18:19], s[14:15]
	s_mov_b32 s38, s27
	s_set_inst_prefetch_distance 0x1
	.p2align	6
.LBB52_16:                              ;   Parent Loop BB52_3 Depth=1
                                        ; =>  This Inner Loop Header: Depth=2
	s_clause 0x1
	s_load_b32 s39, s[18:19], 0x0
	s_load_b32 s40, s[18:19], 0x64
	v_mov_b32_e32 v10, v9
	s_add_i32 s38, s38, -1
	s_waitcnt lgkmcnt(0)
	v_cvt_f32_u32_e32 v6, s39
	s_sub_i32 s41, 0, s39
	s_add_u32 s18, s18, -4
	s_addc_u32 s19, s19, -1
	s_cmp_gt_u32 s38, 2
	v_rcp_iflag_f32_e32 v6, v6
	s_waitcnt_depctr 0xfff
	v_mul_f32_e32 v6, 0x4f7ffffe, v6
	s_delay_alu instid0(VALU_DEP_1) | instskip(NEXT) | instid1(VALU_DEP_1)
	v_cvt_u32_f32_e32 v6, v6
	v_mul_lo_u32 v7, s41, v6
	s_delay_alu instid0(VALU_DEP_1) | instskip(NEXT) | instid1(VALU_DEP_1)
	v_mul_hi_u32 v7, v6, v7
	v_add_nc_u32_e32 v6, v6, v7
	s_delay_alu instid0(VALU_DEP_1) | instskip(NEXT) | instid1(VALU_DEP_1)
	v_mul_hi_u32 v6, v10, v6
	v_mul_lo_u32 v7, v6, s39
	v_add_nc_u32_e32 v9, 1, v6
	s_delay_alu instid0(VALU_DEP_2) | instskip(NEXT) | instid1(VALU_DEP_1)
	v_sub_nc_u32_e32 v7, v10, v7
	v_subrev_nc_u32_e32 v11, s39, v7
	v_cmp_le_u32_e32 vcc_lo, s39, v7
	s_delay_alu instid0(VALU_DEP_2) | instskip(NEXT) | instid1(VALU_DEP_1)
	v_dual_cndmask_b32 v7, v7, v11 :: v_dual_cndmask_b32 v6, v6, v9
	v_cmp_le_u32_e32 vcc_lo, s39, v7
	s_delay_alu instid0(VALU_DEP_2) | instskip(NEXT) | instid1(VALU_DEP_1)
	v_add_nc_u32_e32 v9, 1, v6
	v_cndmask_b32_e32 v9, v6, v9, vcc_lo
	s_delay_alu instid0(VALU_DEP_1) | instskip(NEXT) | instid1(VALU_DEP_1)
	v_mul_lo_u32 v6, v9, s39
	v_sub_nc_u32_e32 v10, v10, v6
	s_delay_alu instid0(VALU_DEP_1) | instskip(NEXT) | instid1(VALU_DEP_1)
	v_mad_u64_u32 v[6:7], null, s40, v10, v[0:1]
	v_mov_b32_e32 v0, v6
	s_cbranch_scc1 .LBB52_16
.LBB52_17:                              ;   in Loop: Header=BB52_3 Depth=1
	s_set_inst_prefetch_distance 0x2
	s_delay_alu instid0(VALU_DEP_1)
	v_mad_u64_u32 v[6:7], null, s22, v9, v[0:1]
.LBB52_18:                              ;   in Loop: Header=BB52_3 Depth=1
	s_or_b32 exec_lo, exec_lo, s1
	v_mov_b32_e32 v10, 0
	s_and_saveexec_b32 s18, s0
	s_cbranch_execz .LBB52_23
; %bb.19:                               ;   in Loop: Header=BB52_3 Depth=1
	v_mov_b32_e32 v0, 0
	s_and_not1_b32 vcc_lo, exec_lo, s24
	s_cbranch_vccnz .LBB52_22
; %bb.20:                               ;   in Loop: Header=BB52_3 Depth=1
	v_mov_b32_e32 v0, 0
	s_mov_b64 s[0:1], s[16:17]
	s_mov_b32 s19, s28
	s_set_inst_prefetch_distance 0x1
	.p2align	6
.LBB52_21:                              ;   Parent Loop BB52_3 Depth=1
                                        ; =>  This Inner Loop Header: Depth=2
	s_clause 0x1
	s_load_b32 s38, s[0:1], 0x0
	s_load_b32 s39, s[0:1], 0x64
	s_add_i32 s19, s19, -1
	v_mov_b32_e32 v10, v8
	s_waitcnt lgkmcnt(0)
	v_cvt_f32_u32_e32 v7, s38
	s_sub_i32 s40, 0, s38
	s_add_u32 s0, s0, -4
	s_addc_u32 s1, s1, -1
	s_cmp_gt_u32 s19, 2
	v_rcp_iflag_f32_e32 v7, v7
	s_waitcnt_depctr 0xfff
	v_mul_f32_e32 v7, 0x4f7ffffe, v7
	s_delay_alu instid0(VALU_DEP_1) | instskip(NEXT) | instid1(VALU_DEP_1)
	v_cvt_u32_f32_e32 v7, v7
	v_mul_lo_u32 v9, s40, v7
	s_delay_alu instid0(VALU_DEP_1) | instskip(NEXT) | instid1(VALU_DEP_1)
	v_mul_hi_u32 v9, v7, v9
	v_add_nc_u32_e32 v7, v7, v9
	s_delay_alu instid0(VALU_DEP_1) | instskip(NEXT) | instid1(VALU_DEP_1)
	v_mul_hi_u32 v7, v10, v7
	v_mul_lo_u32 v8, v7, s38
	v_add_nc_u32_e32 v9, 1, v7
	s_delay_alu instid0(VALU_DEP_2) | instskip(NEXT) | instid1(VALU_DEP_1)
	v_sub_nc_u32_e32 v8, v10, v8
	v_subrev_nc_u32_e32 v11, s38, v8
	v_cmp_le_u32_e32 vcc_lo, s38, v8
	s_delay_alu instid0(VALU_DEP_2) | instskip(NEXT) | instid1(VALU_DEP_1)
	v_dual_cndmask_b32 v8, v8, v11 :: v_dual_cndmask_b32 v7, v7, v9
	v_cmp_le_u32_e32 vcc_lo, s38, v8
	s_delay_alu instid0(VALU_DEP_2) | instskip(NEXT) | instid1(VALU_DEP_1)
	v_add_nc_u32_e32 v9, 1, v7
	v_cndmask_b32_e32 v8, v7, v9, vcc_lo
	s_delay_alu instid0(VALU_DEP_1) | instskip(NEXT) | instid1(VALU_DEP_1)
	v_mul_lo_u32 v7, v8, s38
	v_sub_nc_u32_e32 v7, v10, v7
	s_delay_alu instid0(VALU_DEP_1) | instskip(NEXT) | instid1(VALU_DEP_1)
	v_mad_u64_u32 v[9:10], null, s39, v7, v[0:1]
	v_mov_b32_e32 v0, v9
	s_cbranch_scc1 .LBB52_21
.LBB52_22:                              ;   in Loop: Header=BB52_3 Depth=1
	s_set_inst_prefetch_distance 0x2
	s_delay_alu instid0(VALU_DEP_1)
	v_mad_u64_u32 v[10:11], null, s21, v8, v[0:1]
.LBB52_23:                              ;   in Loop: Header=BB52_3 Depth=1
	s_or_b32 exec_lo, exec_lo, s18
	v_or_b32_e32 v9, 2, v27
	v_cmp_lt_i32_e64 s0, 2, v29
	v_mov_b32_e32 v7, 0
	s_delay_alu instid0(VALU_DEP_2)
	s_and_saveexec_b32 s1, s0
	s_cbranch_execz .LBB52_28
; %bb.24:                               ;   in Loop: Header=BB52_3 Depth=1
	v_dual_mov_b32 v0, 0 :: v_dual_mov_b32 v11, v9
	s_and_not1_b32 vcc_lo, exec_lo, s23
	s_cbranch_vccnz .LBB52_27
; %bb.25:                               ;   in Loop: Header=BB52_3 Depth=1
	v_dual_mov_b32 v0, 0 :: v_dual_mov_b32 v11, v9
	s_mov_b64 s[18:19], s[14:15]
	s_mov_b32 s38, s27
	s_set_inst_prefetch_distance 0x1
	.p2align	6
.LBB52_26:                              ;   Parent Loop BB52_3 Depth=1
                                        ; =>  This Inner Loop Header: Depth=2
	s_clause 0x1
	s_load_b32 s39, s[18:19], 0x0
	s_load_b32 s40, s[18:19], 0x64
	s_add_i32 s38, s38, -1
	v_mov_b32_e32 v12, v11
	s_waitcnt lgkmcnt(0)
	v_cvt_f32_u32_e32 v7, s39
	s_sub_i32 s41, 0, s39
	s_add_u32 s18, s18, -4
	s_addc_u32 s19, s19, -1
	s_cmp_gt_u32 s38, 2
	v_rcp_iflag_f32_e32 v7, v7
	s_waitcnt_depctr 0xfff
	v_mul_f32_e32 v7, 0x4f7ffffe, v7
	s_delay_alu instid0(VALU_DEP_1) | instskip(NEXT) | instid1(VALU_DEP_1)
	v_cvt_u32_f32_e32 v7, v7
	v_mul_lo_u32 v8, s41, v7
	s_delay_alu instid0(VALU_DEP_1) | instskip(NEXT) | instid1(VALU_DEP_1)
	v_mul_hi_u32 v8, v7, v8
	v_add_nc_u32_e32 v7, v7, v8
	s_delay_alu instid0(VALU_DEP_1) | instskip(NEXT) | instid1(VALU_DEP_1)
	v_mul_hi_u32 v7, v12, v7
	v_mul_lo_u32 v8, v7, s39
	v_add_nc_u32_e32 v11, 1, v7
	s_delay_alu instid0(VALU_DEP_2) | instskip(NEXT) | instid1(VALU_DEP_1)
	v_sub_nc_u32_e32 v8, v12, v8
	v_subrev_nc_u32_e32 v13, s39, v8
	v_cmp_le_u32_e32 vcc_lo, s39, v8
	s_delay_alu instid0(VALU_DEP_2) | instskip(NEXT) | instid1(VALU_DEP_1)
	v_dual_cndmask_b32 v7, v7, v11 :: v_dual_cndmask_b32 v8, v8, v13
	v_add_nc_u32_e32 v11, 1, v7
	s_delay_alu instid0(VALU_DEP_2) | instskip(NEXT) | instid1(VALU_DEP_2)
	v_cmp_le_u32_e32 vcc_lo, s39, v8
	v_cndmask_b32_e32 v11, v7, v11, vcc_lo
	s_delay_alu instid0(VALU_DEP_1) | instskip(NEXT) | instid1(VALU_DEP_1)
	v_mul_lo_u32 v7, v11, s39
	v_sub_nc_u32_e32 v12, v12, v7
	s_delay_alu instid0(VALU_DEP_1) | instskip(NEXT) | instid1(VALU_DEP_1)
	v_mad_u64_u32 v[7:8], null, s40, v12, v[0:1]
	v_mov_b32_e32 v0, v7
	s_cbranch_scc1 .LBB52_26
.LBB52_27:                              ;   in Loop: Header=BB52_3 Depth=1
	s_set_inst_prefetch_distance 0x2
	s_delay_alu instid0(VALU_DEP_1)
	v_mad_u64_u32 v[7:8], null, s22, v11, v[0:1]
.LBB52_28:                              ;   in Loop: Header=BB52_3 Depth=1
	s_or_b32 exec_lo, exec_lo, s1
	v_mov_b32_e32 v12, 0
	v_mov_b32_e32 v13, 0
	s_and_saveexec_b32 s18, s0
	s_cbranch_execz .LBB52_33
; %bb.29:                               ;   in Loop: Header=BB52_3 Depth=1
	v_mov_b32_e32 v0, 0
	s_and_not1_b32 vcc_lo, exec_lo, s24
	s_cbranch_vccnz .LBB52_32
; %bb.30:                               ;   in Loop: Header=BB52_3 Depth=1
	v_mov_b32_e32 v0, 0
	s_mov_b64 s[0:1], s[16:17]
	s_mov_b32 s19, s28
	s_set_inst_prefetch_distance 0x1
	.p2align	6
.LBB52_31:                              ;   Parent Loop BB52_3 Depth=1
                                        ; =>  This Inner Loop Header: Depth=2
	s_clause 0x1
	s_load_b32 s38, s[0:1], 0x0
	s_load_b32 s39, s[0:1], 0x64
	v_mov_b32_e32 v12, v9
	s_add_i32 s19, s19, -1
	s_waitcnt lgkmcnt(0)
	v_cvt_f32_u32_e32 v8, s38
	s_sub_i32 s40, 0, s38
	s_add_u32 s0, s0, -4
	s_addc_u32 s1, s1, -1
	s_cmp_gt_u32 s19, 2
	v_rcp_iflag_f32_e32 v8, v8
	s_waitcnt_depctr 0xfff
	v_mul_f32_e32 v8, 0x4f7ffffe, v8
	s_delay_alu instid0(VALU_DEP_1) | instskip(NEXT) | instid1(VALU_DEP_1)
	v_cvt_u32_f32_e32 v8, v8
	v_mul_lo_u32 v11, s40, v8
	s_delay_alu instid0(VALU_DEP_1) | instskip(NEXT) | instid1(VALU_DEP_1)
	v_mul_hi_u32 v11, v8, v11
	v_add_nc_u32_e32 v8, v8, v11
	s_delay_alu instid0(VALU_DEP_1) | instskip(NEXT) | instid1(VALU_DEP_1)
	v_mul_hi_u32 v8, v12, v8
	v_mul_lo_u32 v9, v8, s38
	v_add_nc_u32_e32 v11, 1, v8
	s_delay_alu instid0(VALU_DEP_2) | instskip(NEXT) | instid1(VALU_DEP_1)
	v_sub_nc_u32_e32 v9, v12, v9
	v_subrev_nc_u32_e32 v13, s38, v9
	v_cmp_le_u32_e32 vcc_lo, s38, v9
	s_delay_alu instid0(VALU_DEP_2) | instskip(NEXT) | instid1(VALU_DEP_1)
	v_dual_cndmask_b32 v9, v9, v13 :: v_dual_cndmask_b32 v8, v8, v11
	v_cmp_le_u32_e32 vcc_lo, s38, v9
	s_delay_alu instid0(VALU_DEP_2) | instskip(NEXT) | instid1(VALU_DEP_1)
	v_add_nc_u32_e32 v11, 1, v8
	v_cndmask_b32_e32 v9, v8, v11, vcc_lo
	s_delay_alu instid0(VALU_DEP_1) | instskip(NEXT) | instid1(VALU_DEP_1)
	v_mul_lo_u32 v8, v9, s38
	v_sub_nc_u32_e32 v8, v12, v8
	s_delay_alu instid0(VALU_DEP_1) | instskip(NEXT) | instid1(VALU_DEP_1)
	v_mad_u64_u32 v[11:12], null, s39, v8, v[0:1]
	v_mov_b32_e32 v0, v11
	s_cbranch_scc1 .LBB52_31
.LBB52_32:                              ;   in Loop: Header=BB52_3 Depth=1
	s_set_inst_prefetch_distance 0x2
	s_delay_alu instid0(VALU_DEP_1)
	v_mad_u64_u32 v[12:13], null, s21, v9, v[0:1]
	v_mov_b32_e32 v13, v4
.LBB52_33:                              ;   in Loop: Header=BB52_3 Depth=1
	s_or_b32 exec_lo, exec_lo, s18
	v_mov_b32_e32 v8, 0
	v_or_b32_e32 v11, 3, v27
	v_mov_b32_e32 v9, 0
	v_cmp_lt_i32_e64 s0, 3, v29
	s_delay_alu instid0(VALU_DEP_1)
	s_and_saveexec_b32 s1, s0
	s_cbranch_execz .LBB52_38
; %bb.34:                               ;   in Loop: Header=BB52_3 Depth=1
	v_mov_b32_e32 v0, 0
	v_mov_b32_e32 v14, v11
	s_and_not1_b32 vcc_lo, exec_lo, s23
	s_cbranch_vccnz .LBB52_37
; %bb.35:                               ;   in Loop: Header=BB52_3 Depth=1
	v_mov_b32_e32 v0, 0
	v_mov_b32_e32 v14, v11
	s_mov_b64 s[18:19], s[14:15]
	s_mov_b32 s38, s27
	s_set_inst_prefetch_distance 0x1
	.p2align	6
.LBB52_36:                              ;   Parent Loop BB52_3 Depth=1
                                        ; =>  This Inner Loop Header: Depth=2
	s_clause 0x1
	s_load_b32 s39, s[18:19], 0x0
	s_load_b32 s40, s[18:19], 0x64
	s_add_i32 s38, s38, -1
	v_mov_b32_e32 v15, v14
	s_waitcnt lgkmcnt(0)
	v_cvt_f32_u32_e32 v8, s39
	s_sub_i32 s41, 0, s39
	s_add_u32 s18, s18, -4
	s_addc_u32 s19, s19, -1
	s_cmp_gt_u32 s38, 2
	v_rcp_iflag_f32_e32 v8, v8
	s_waitcnt_depctr 0xfff
	v_mul_f32_e32 v8, 0x4f7ffffe, v8
	s_delay_alu instid0(VALU_DEP_1) | instskip(NEXT) | instid1(VALU_DEP_1)
	v_cvt_u32_f32_e32 v8, v8
	v_mul_lo_u32 v9, s41, v8
	s_delay_alu instid0(VALU_DEP_1) | instskip(NEXT) | instid1(VALU_DEP_1)
	v_mul_hi_u32 v9, v8, v9
	v_add_nc_u32_e32 v8, v8, v9
	s_delay_alu instid0(VALU_DEP_1) | instskip(NEXT) | instid1(VALU_DEP_1)
	v_mul_hi_u32 v8, v15, v8
	v_mul_lo_u32 v9, v8, s39
	v_add_nc_u32_e32 v14, 1, v8
	s_delay_alu instid0(VALU_DEP_2) | instskip(NEXT) | instid1(VALU_DEP_1)
	v_sub_nc_u32_e32 v9, v15, v9
	v_subrev_nc_u32_e32 v16, s39, v9
	v_cmp_le_u32_e32 vcc_lo, s39, v9
	s_delay_alu instid0(VALU_DEP_2) | instskip(NEXT) | instid1(VALU_DEP_1)
	v_dual_cndmask_b32 v9, v9, v16 :: v_dual_cndmask_b32 v8, v8, v14
	v_cmp_le_u32_e32 vcc_lo, s39, v9
	s_delay_alu instid0(VALU_DEP_2) | instskip(NEXT) | instid1(VALU_DEP_1)
	v_add_nc_u32_e32 v14, 1, v8
	v_cndmask_b32_e32 v14, v8, v14, vcc_lo
	s_delay_alu instid0(VALU_DEP_1) | instskip(NEXT) | instid1(VALU_DEP_1)
	v_mul_lo_u32 v8, v14, s39
	v_sub_nc_u32_e32 v15, v15, v8
	s_delay_alu instid0(VALU_DEP_1) | instskip(NEXT) | instid1(VALU_DEP_1)
	v_mad_u64_u32 v[8:9], null, s40, v15, v[0:1]
	v_mov_b32_e32 v0, v8
	s_cbranch_scc1 .LBB52_36
.LBB52_37:                              ;   in Loop: Header=BB52_3 Depth=1
	s_set_inst_prefetch_distance 0x2
	s_delay_alu instid0(VALU_DEP_1)
	v_mad_u64_u32 v[8:9], null, s22, v14, v[0:1]
	v_mov_b32_e32 v9, v4
.LBB52_38:                              ;   in Loop: Header=BB52_3 Depth=1
	s_or_b32 exec_lo, exec_lo, s1
	v_mov_b32_e32 v14, 0
	v_mov_b32_e32 v15, 0
	s_and_saveexec_b32 s18, s0
	s_cbranch_execz .LBB52_43
; %bb.39:                               ;   in Loop: Header=BB52_3 Depth=1
	v_mov_b32_e32 v0, 0
	s_and_not1_b32 vcc_lo, exec_lo, s24
	s_cbranch_vccnz .LBB52_42
; %bb.40:                               ;   in Loop: Header=BB52_3 Depth=1
	v_mov_b32_e32 v0, 0
	s_mov_b64 s[0:1], s[16:17]
	s_mov_b32 s19, s28
	s_set_inst_prefetch_distance 0x1
	.p2align	6
.LBB52_41:                              ;   Parent Loop BB52_3 Depth=1
                                        ; =>  This Inner Loop Header: Depth=2
	s_clause 0x1
	s_load_b32 s38, s[0:1], 0x0
	s_load_b32 s39, s[0:1], 0x64
	s_add_i32 s19, s19, -1
	s_waitcnt lgkmcnt(0)
	v_cvt_f32_u32_e32 v14, s38
	s_sub_i32 s40, 0, s38
	s_add_u32 s0, s0, -4
	s_addc_u32 s1, s1, -1
	s_cmp_gt_u32 s19, 2
	v_rcp_iflag_f32_e32 v14, v14
	s_waitcnt_depctr 0xfff
	v_mul_f32_e32 v14, 0x4f7ffffe, v14
	s_delay_alu instid0(VALU_DEP_1) | instskip(NEXT) | instid1(VALU_DEP_1)
	v_cvt_u32_f32_e32 v14, v14
	v_mul_lo_u32 v15, s40, v14
	s_delay_alu instid0(VALU_DEP_1) | instskip(NEXT) | instid1(VALU_DEP_1)
	v_mul_hi_u32 v15, v14, v15
	v_dual_mov_b32 v16, v11 :: v_dual_add_nc_u32 v11, v14, v15
	s_delay_alu instid0(VALU_DEP_1) | instskip(NEXT) | instid1(VALU_DEP_1)
	v_mul_hi_u32 v11, v16, v11
	v_mul_lo_u32 v14, v11, s38
	v_add_nc_u32_e32 v15, 1, v11
	s_delay_alu instid0(VALU_DEP_2) | instskip(NEXT) | instid1(VALU_DEP_1)
	v_sub_nc_u32_e32 v14, v16, v14
	v_subrev_nc_u32_e32 v17, s38, v14
	v_cmp_le_u32_e32 vcc_lo, s38, v14
	s_delay_alu instid0(VALU_DEP_2) | instskip(NEXT) | instid1(VALU_DEP_1)
	v_dual_cndmask_b32 v11, v11, v15 :: v_dual_cndmask_b32 v14, v14, v17
	v_add_nc_u32_e32 v15, 1, v11
	s_delay_alu instid0(VALU_DEP_2) | instskip(NEXT) | instid1(VALU_DEP_2)
	v_cmp_le_u32_e32 vcc_lo, s38, v14
	v_cndmask_b32_e32 v11, v11, v15, vcc_lo
	s_delay_alu instid0(VALU_DEP_1) | instskip(NEXT) | instid1(VALU_DEP_1)
	v_mul_lo_u32 v14, v11, s38
	v_sub_nc_u32_e32 v16, v16, v14
	s_delay_alu instid0(VALU_DEP_1) | instskip(NEXT) | instid1(VALU_DEP_1)
	v_mad_u64_u32 v[14:15], null, s39, v16, v[0:1]
	v_mov_b32_e32 v0, v14
	s_cbranch_scc1 .LBB52_41
.LBB52_42:                              ;   in Loop: Header=BB52_3 Depth=1
	s_set_inst_prefetch_distance 0x2
	s_delay_alu instid0(VALU_DEP_1)
	v_mad_u64_u32 v[14:15], null, s21, v11, v[0:1]
	v_mov_b32_e32 v15, v4
.LBB52_43:                              ;   in Loop: Header=BB52_3 Depth=1
	s_or_b32 exec_lo, exec_lo, s18
	v_mov_b32_e32 v11, v4
	v_lshlrev_b64 v[16:17], 2, v[3:4]
	v_lshlrev_b64 v[12:13], 2, v[12:13]
	;; [unrolled: 1-line block ×3, first 2 shown]
	s_delay_alu instid0(VALU_DEP_4) | instskip(NEXT) | instid1(VALU_DEP_4)
	v_lshlrev_b64 v[10:11], 2, v[10:11]
	v_add_co_u32 v16, vcc_lo, s8, v16
	v_add_co_ci_u32_e32 v17, vcc_lo, s9, v17, vcc_lo
	s_delay_alu instid0(VALU_DEP_3) | instskip(NEXT) | instid1(VALU_DEP_4)
	v_add_co_u32 v10, vcc_lo, s8, v10
	v_add_co_ci_u32_e32 v11, vcc_lo, s9, v11, vcc_lo
	v_add_co_u32 v12, vcc_lo, s8, v12
	v_add_co_ci_u32_e32 v13, vcc_lo, s9, v13, vcc_lo
	;; [unrolled: 2-line block ×3, first 2 shown]
	s_clause 0x3
	global_load_b32 v0, v[16:17], off
	global_load_b32 v3, v[10:11], off
	;; [unrolled: 1-line block ×4, first 2 shown]
	v_mov_b32_e32 v15, s7
	v_dual_mov_b32 v17, s5 :: v_dual_mov_b32 v16, s4
	v_mov_b32_e32 v14, s6
	s_and_not1_b32 vcc_lo, exec_lo, s25
	s_cbranch_vccnz .LBB52_45
; %bb.44:                               ;   in Loop: Header=BB52_3 Depth=1
	v_dual_mov_b32 v11, s7 :: v_dual_mov_b32 v10, s6
	v_dual_mov_b32 v13, s5 :: v_dual_mov_b32 v12, s4
	flat_load_b64 v[10:11], v[10:11]
	flat_load_b64 v[16:17], v[12:13]
	s_waitcnt vmcnt(1) lgkmcnt(1)
	v_add_co_u32 v14, vcc_lo, v10, s2
	v_add_co_ci_u32_e32 v15, vcc_lo, s3, v11, vcc_lo
.LBB52_45:                              ;   in Loop: Header=BB52_3 Depth=1
	s_delay_alu instid0(VALU_DEP_1)
	v_alignbit_b32 v13, v15, v14, 2
	v_lshrrev_b32_e32 v12, 2, v15
	s_waitcnt vmcnt(0) lgkmcnt(0)
	v_add_nc_u32_e32 v32, 0x9e3779b9, v16
	v_add_nc_u32_e32 v34, 0x76cf5d0a, v17
	;; [unrolled: 1-line block ×3, first 2 shown]
	v_add_co_u32 v15, vcc_lo, v13, 1
	s_delay_alu instid0(VALU_DEP_1) | instskip(SKIP_4) | instid1(VALU_DEP_4)
	v_cndmask_b32_e64 v10, 0, 1, vcc_lo
	v_add_co_ci_u32_e32 v24, vcc_lo, 0, v12, vcc_lo
	v_xor3_b32 v20, v28, v16, v12
	v_add_nc_u32_e32 v36, 0x32370b8f, v17
	v_add_nc_u32_e32 v37, 0xed9eba14, v17
	v_cmp_eq_u32_e32 vcc_lo, 0, v24
	v_add_nc_u32_e32 v38, 0x1715609d, v16
	v_add_nc_u32_e32 v39, 0xa9066899, v17
	s_mov_b32 s0, exec_lo
	v_dual_cndmask_b32 v18, 0, v10 :: v_dual_add_nc_u32 v33, 0xbb67ae85, v17
	v_mad_u64_u32 v[10:11], null, 0xd2511f53, v15, 0
	s_delay_alu instid0(VALU_DEP_2) | instskip(NEXT) | instid1(VALU_DEP_2)
	v_add_nc_u32_e32 v15, v18, v1
	v_xor_b32_e32 v19, v11, v17
	s_delay_alu instid0(VALU_DEP_2) | instskip(SKIP_2) | instid1(VALU_DEP_1)
	v_cmp_eq_u32_e32 vcc_lo, 0, v15
	v_mad_u64_u32 v[11:12], null, 0xd2511f53, v13, 0
	v_cndmask_b32_e32 v18, 0, v18, vcc_lo
	v_xor_b32_e32 v13, v18, v19
	v_mad_u64_u32 v[18:19], null, 0xd2511f53, v20, 0
	v_mad_u64_u32 v[20:21], null, 0xcd9e8d57, v15, 0
	s_delay_alu instid0(VALU_DEP_3) | instskip(SKIP_3) | instid1(VALU_DEP_3)
	v_mad_u64_u32 v[22:23], null, 0xcd9e8d57, v13, 0
	v_xor_b32_e32 v13, v12, v17
	v_add_nc_u32_e32 v15, 0x3c6ef372, v16
	v_xor3_b32 v25, v33, v19, v11
	v_mad_u64_u32 v[11:12], null, 0xcd9e8d57, v13, 0
	v_xor3_b32 v13, v21, v16, v24
	v_xor3_b32 v21, v32, v23, v20
	s_delay_alu instid0(VALU_DEP_4) | instskip(NEXT) | instid1(VALU_DEP_3)
	v_mad_u64_u32 v[19:20], null, 0xcd9e8d57, v25, 0
	v_mad_u64_u32 v[23:24], null, 0xd2511f53, v13, 0
	s_delay_alu instid0(VALU_DEP_3) | instskip(SKIP_1) | instid1(VALU_DEP_4)
	v_mad_u64_u32 v[25:26], null, 0xd2511f53, v21, 0
	v_xor3_b32 v13, v2, v12, v32
	v_xor3_b32 v32, v15, v20, v11
	s_delay_alu instid0(VALU_DEP_4) | instskip(NEXT) | instid1(VALU_DEP_3)
	v_xor3_b32 v10, v33, v24, v10
	v_mad_u64_u32 v[11:12], null, 0xd2511f53, v13, 0
	v_xor3_b32 v13, v34, v26, v23
	s_delay_alu instid0(VALU_DEP_4) | instskip(NEXT) | instid1(VALU_DEP_4)
	v_mad_u64_u32 v[20:21], null, 0xd2511f53, v32, 0
	v_mad_u64_u32 v[23:24], null, 0xcd9e8d57, v10, 0
	s_delay_alu instid0(VALU_DEP_3) | instskip(SKIP_4) | instid1(VALU_DEP_4)
	v_mad_u64_u32 v[32:33], null, 0xcd9e8d57, v13, 0
	v_xor3_b32 v12, v34, v12, v18
	v_add_nc_u32_e32 v26, 0x78dde6e4, v16
	v_xor3_b32 v18, v36, v21, v11
	v_xor3_b32 v15, v15, v24, v22
	v_mad_u64_u32 v[10:11], null, 0xcd9e8d57, v12, 0
	v_xor3_b32 v33, v35, v33, v23
	s_delay_alu instid0(VALU_DEP_4) | instskip(NEXT) | instid1(VALU_DEP_4)
	v_mad_u64_u32 v[12:13], null, 0xcd9e8d57, v18, 0
	v_mad_u64_u32 v[21:22], null, 0xd2511f53, v15, 0
	s_delay_alu instid0(VALU_DEP_3) | instskip(SKIP_1) | instid1(VALU_DEP_4)
	v_mad_u64_u32 v[23:24], null, 0xd2511f53, v33, 0
	v_xor3_b32 v15, v35, v11, v19
	v_xor3_b32 v13, v26, v13, v10
	s_delay_alu instid0(VALU_DEP_2) | instskip(SKIP_2) | instid1(VALU_DEP_4)
	v_mad_u64_u32 v[10:11], null, 0xd2511f53, v15, 0
	v_xor3_b32 v15, v36, v22, v25
	v_xor3_b32 v21, v37, v24, v21
	v_mad_u64_u32 v[24:25], null, 0xd2511f53, v13, 0
	s_delay_alu instid0(VALU_DEP_3) | instskip(NEXT) | instid1(VALU_DEP_3)
	v_mad_u64_u32 v[18:19], null, 0xcd9e8d57, v15, 0
	v_mad_u64_u32 v[33:34], null, 0xcd9e8d57, v21, 0
	v_xor3_b32 v13, v37, v11, v20
	s_delay_alu instid0(VALU_DEP_4) | instskip(SKIP_2) | instid1(VALU_DEP_4)
	v_xor3_b32 v21, v39, v25, v10
	v_add_nc_u32_e32 v15, 0xb54cda56, v16
	v_add_nc_u32_e32 v20, 0x646e171e, v17
	v_mad_u64_u32 v[10:11], null, 0xcd9e8d57, v13, 0
	v_xor3_b32 v13, v26, v19, v32
	v_xor3_b32 v22, v38, v34, v18
	v_mad_u64_u32 v[34:35], null, 0xcd9e8d57, v21, 0
	v_add_nc_u32_e32 v26, 0x5384540f, v16
	s_delay_alu instid0(VALU_DEP_4) | instskip(NEXT) | instid1(VALU_DEP_4)
	v_mad_u64_u32 v[18:19], null, 0xd2511f53, v13, 0
	v_mad_u64_u32 v[36:37], null, 0xd2511f53, v22, 0
	v_xor3_b32 v12, v38, v11, v12
	v_xor3_b32 v13, v15, v35, v10
	v_add_nc_u32_e32 v38, 0x1fd5c5a3, v17
	v_add_co_u32 v32, null, 0xf1bbcdc8, v16
	v_xor3_b32 v21, v39, v19, v23
	v_xor3_b32 v23, v20, v37, v18
	v_mad_u64_u32 v[10:11], null, 0xd2511f53, v12, 0
	v_mad_u64_u32 v[18:19], null, 0xd2511f53, v13, 0
	s_delay_alu instid0(VALU_DEP_4) | instskip(NEXT) | instid1(VALU_DEP_4)
	v_mad_u64_u32 v[12:13], null, 0xcd9e8d57, v21, 0
	v_mad_u64_u32 v[21:22], null, 0xcd9e8d57, v23, 0
	s_delay_alu instid0(VALU_DEP_4) | instskip(NEXT) | instid1(VALU_DEP_4)
	v_xor3_b32 v20, v20, v11, v24
	v_xor3_b32 v23, v38, v19, v10
	s_delay_alu instid0(VALU_DEP_4) | instskip(NEXT) | instid1(VALU_DEP_3)
	v_xor3_b32 v15, v15, v13, v33
	v_mad_u64_u32 v[10:11], null, 0xcd9e8d57, v20, 0
	v_xor3_b32 v22, v26, v22, v12
	s_delay_alu instid0(VALU_DEP_4) | instskip(NEXT) | instid1(VALU_DEP_4)
	v_mad_u64_u32 v[19:20], null, 0xcd9e8d57, v23, 0
	v_mad_u64_u32 v[12:13], null, 0xd2511f53, v15, 0
	s_delay_alu instid0(VALU_DEP_3)
	v_mad_u64_u32 v[24:25], null, 0xd2511f53, v22, 0
	v_add_nc_u32_e32 v33, 0xdb3d7428, v17
	v_xor3_b32 v11, v26, v11, v34
	v_xor3_b32 v15, v32, v20, v10
	v_add_nc_u32_e32 v34, 0x96a522ad, v17
	v_xor3_b32 v13, v38, v13, v36
	v_and_b32_e32 v17, 3, v14
	v_xor3_b32 v20, v33, v25, v12
	v_mad_u64_u32 v[22:23], null, 0xd2511f53, v11, 0
	v_mad_u64_u32 v[10:11], null, 0xd2511f53, v15, 0
	;; [unrolled: 1-line block ×3, first 2 shown]
	s_delay_alu instid0(VALU_DEP_4) | instskip(SKIP_1) | instid1(VALU_DEP_4)
	v_mad_u64_u32 v[12:13], null, 0xcd9e8d57, v20, 0
	v_add_nc_u32_e32 v20, 0x8ff34781, v16
                                        ; implicit-def: $vgpr15
	v_xor3_b32 v16, v11, v22, v34
	s_delay_alu instid0(VALU_DEP_2)
	v_xor3_b32 v11, v13, v25, v20
	v_cmpx_lt_i32_e32 1, v17
	s_xor_b32 s0, exec_lo, s0
	s_cbranch_execz .LBB52_51
; %bb.46:                               ;   in Loop: Header=BB52_3 Depth=1
	s_mov_b32 s1, exec_lo
                                        ; implicit-def: $vgpr15
	v_cmpx_lt_i32_e32 2, v17
	s_xor_b32 s1, exec_lo, s1
; %bb.47:                               ;   in Loop: Header=BB52_3 Depth=1
	v_xor3_b32 v13, v32, v26, v21
                                        ; implicit-def: $vgpr16
	s_delay_alu instid0(VALU_DEP_1) | instskip(NEXT) | instid1(VALU_DEP_1)
	v_mul_hi_u32 v13, 0xd2511f53, v13
	v_xor3_b32 v15, v13, v24, v34
; %bb.48:                               ;   in Loop: Header=BB52_3 Depth=1
	s_and_not1_saveexec_b32 s1, s1
; %bb.49:                               ;   in Loop: Header=BB52_3 Depth=1
	v_dual_mov_b32 v15, v12 :: v_dual_mov_b32 v12, v11
	v_dual_mov_b32 v11, v10 :: v_dual_mov_b32 v10, v16
; %bb.50:                               ;   in Loop: Header=BB52_3 Depth=1
	s_or_b32 exec_lo, exec_lo, s1
                                        ; implicit-def: $vgpr18_vgpr19
                                        ; implicit-def: $vgpr17
                                        ; implicit-def: $vgpr16
                                        ; implicit-def: $vgpr33
                                        ; implicit-def: $vgpr22_vgpr23
                                        ; implicit-def: $vgpr19_vgpr20
                                        ; implicit-def: $vgpr20
.LBB52_51:                              ;   in Loop: Header=BB52_3 Depth=1
	s_and_not1_saveexec_b32 s0, s0
	s_cbranch_execz .LBB52_55
; %bb.52:                               ;   in Loop: Header=BB52_3 Depth=1
	v_xor3_b32 v12, v33, v23, v18
	v_cmp_eq_u32_e32 vcc_lo, 1, v17
	v_mov_b32_e32 v15, v10
	s_delay_alu instid0(VALU_DEP_3) | instskip(SKIP_1) | instid1(VALU_DEP_2)
	v_mad_u64_u32 v[13:14], null, 0xcd9e8d57, v12, 0
	v_mov_b32_e32 v12, v16
	v_xor3_b32 v17, v14, v19, v20
	s_delay_alu instid0(VALU_DEP_3)
	v_mov_b32_e32 v14, v13
	s_and_saveexec_b32 s1, vcc_lo
; %bb.53:                               ;   in Loop: Header=BB52_3 Depth=1
	v_dual_mov_b32 v15, v11 :: v_dual_mov_b32 v12, v10
	v_dual_mov_b32 v14, v16 :: v_dual_mov_b32 v17, v13
; %bb.54:                               ;   in Loop: Header=BB52_3 Depth=1
	s_or_b32 exec_lo, exec_lo, s1
	s_delay_alu instid0(VALU_DEP_1)
	v_dual_mov_b32 v10, v17 :: v_dual_mov_b32 v11, v14
.LBB52_55:                              ;   in Loop: Header=BB52_3 Depth=1
	s_or_b32 exec_lo, exec_lo, s0
	v_min_i32_e32 v13, 4, v29
	s_mov_b32 s1, 0
	s_mov_b32 s41, 0
	;; [unrolled: 1-line block ×3, first 2 shown]
                                        ; implicit-def: $sgpr19
                                        ; implicit-def: $sgpr38
                                        ; implicit-def: $sgpr39
	s_mov_b32 s0, exec_lo
	v_cmpx_lt_i32_e32 2, v13
	s_xor_b32 s40, exec_lo, s0
	s_cbranch_execz .LBB52_67
; %bb.56:                               ;   in Loop: Header=BB52_3 Depth=1
	s_mov_b32 s0, -1
	s_mov_b32 s42, 0
	s_mov_b32 s38, exec_lo
                                        ; implicit-def: $sgpr18
                                        ; implicit-def: $sgpr19
	v_cmpx_lt_i32_e32 3, v13
	s_cbranch_execz .LBB52_62
; %bb.57:                               ;   in Loop: Header=BB52_3 Depth=1
	s_mov_b32 s0, 0
	s_mov_b32 s42, -1
	s_mov_b32 s39, exec_lo
                                        ; implicit-def: $sgpr18
                                        ; implicit-def: $sgpr19
	v_cmpx_eq_u32_e32 4, v13
	s_cbranch_execz .LBB52_61
; %bb.58:                               ;   in Loop: Header=BB52_3 Depth=1
	v_cmp_le_f32_e32 vcc_lo, 0, v31
	v_cmp_ge_f32_e64 s0, 1.0, v31
	s_mov_b32 s18, 0
	s_delay_alu instid0(VALU_DEP_1)
	s_and_b32 s42, vcc_lo, s0
	s_mov_b32 s0, 0
	s_and_saveexec_b32 s19, s42
	s_cbranch_execz .LBB52_60
; %bb.59:                               ;   in Loop: Header=BB52_3 Depth=1
	v_cvt_f32_u32_e32 v14, v15
	v_lshlrev_b64 v[8:9], 3, v[8:9]
	s_mov_b32 s0, exec_lo
	s_delay_alu instid0(VALU_DEP_2) | instskip(NEXT) | instid1(VALU_DEP_2)
	v_dual_mov_b32 v15, s13 :: v_dual_fmaak_f32 v14, 0x2f800000, v14, 0x2f800000
	v_add_co_u32 v8, vcc_lo, s10, v8
	s_delay_alu instid0(VALU_DEP_3) | instskip(NEXT) | instid1(VALU_DEP_3)
	v_add_co_ci_u32_e32 v9, vcc_lo, s11, v9, vcc_lo
	v_cmp_le_f32_e32 vcc_lo, v14, v31
	v_cndmask_b32_e64 v14, 0, 1, vcc_lo
	global_store_b64 v[8:9], v[14:15], off
.LBB52_60:                              ;   in Loop: Header=BB52_3 Depth=1
	s_or_b32 exec_lo, exec_lo, s19
	s_mov_b32 s19, -1
	s_xor_b32 s42, exec_lo, -1
	s_and_b32 s0, s0, exec_lo
.LBB52_61:                              ;   in Loop: Header=BB52_3 Depth=1
	s_or_b32 exec_lo, exec_lo, s39
	s_delay_alu instid0(SALU_CYCLE_1)
	s_and_b32 s42, s42, exec_lo
	s_or_not1_b32 s0, s0, exec_lo
.LBB52_62:                              ;   in Loop: Header=BB52_3 Depth=1
	s_or_b32 exec_lo, exec_lo, s38
	s_mov_b32 s39, s18
	s_and_saveexec_b32 s38, s0
	s_cbranch_execz .LBB52_66
; %bb.63:                               ;   in Loop: Header=BB52_3 Depth=1
	v_cmp_le_f32_e32 vcc_lo, 0, v30
	v_cmp_ge_f32_e64 s0, 1.0, v30
	s_delay_alu instid0(VALU_DEP_1) | instskip(SKIP_2) | instid1(SALU_CYCLE_1)
	s_and_b32 s39, vcc_lo, s0
	s_mov_b32 s0, 0
	s_and_saveexec_b32 s41, s39
	s_xor_b32 s39, exec_lo, s41
	s_cbranch_execz .LBB52_65
; %bb.64:                               ;   in Loop: Header=BB52_3 Depth=1
	v_cvt_f32_u32_e32 v9, v12
	v_dual_mov_b32 v8, v4 :: v_dual_mov_b32 v15, s13
	s_mov_b32 s0, exec_lo
	s_delay_alu instid0(VALU_DEP_2) | instskip(NEXT) | instid1(VALU_DEP_2)
	v_fmaak_f32 v9, 0x2f800000, v9, 0x2f800000
	v_lshlrev_b64 v[7:8], 3, v[7:8]
	s_delay_alu instid0(VALU_DEP_2) | instskip(SKIP_1) | instid1(VALU_DEP_3)
	v_cmp_le_f32_e32 vcc_lo, v9, v30
	v_cndmask_b32_e64 v14, 0, 1, vcc_lo
	v_add_co_u32 v7, vcc_lo, s10, v7
	s_delay_alu instid0(VALU_DEP_4)
	v_add_co_ci_u32_e32 v8, vcc_lo, s11, v8, vcc_lo
	global_store_b64 v[7:8], v[14:15], off
.LBB52_65:                              ;   in Loop: Header=BB52_3 Depth=1
	s_or_b32 exec_lo, exec_lo, s39
	s_delay_alu instid0(SALU_CYCLE_1)
	s_and_not1_b32 s39, s18, exec_lo
	s_or_b32 s18, s18, exec_lo
	s_and_not1_b32 s19, s19, exec_lo
	s_and_b32 s41, s0, exec_lo
.LBB52_66:                              ;   in Loop: Header=BB52_3 Depth=1
	s_or_b32 exec_lo, exec_lo, s38
	s_delay_alu instid0(SALU_CYCLE_1)
	s_and_b32 s39, s39, exec_lo
	s_and_b32 s38, s18, exec_lo
	;; [unrolled: 1-line block ×5, first 2 shown]
.LBB52_67:                              ;   in Loop: Header=BB52_3 Depth=1
	s_and_not1_saveexec_b32 s0, s40
; %bb.68:                               ;   in Loop: Header=BB52_3 Depth=1
	v_cmp_lt_i32_e32 vcc_lo, 1, v13
	s_and_not1_b32 s40, s41, exec_lo
	s_mov_b32 s1, exec_lo
	s_and_not1_b32 s39, s39, exec_lo
	s_and_not1_b32 s38, s38, exec_lo
	s_and_b32 s41, vcc_lo, exec_lo
	s_and_not1_b32 s19, s19, exec_lo
	s_or_b32 s41, s40, s41
; %bb.69:                               ;   in Loop: Header=BB52_3 Depth=1
	s_or_b32 exec_lo, exec_lo, s0
	s_mov_b32 s0, 0
	s_mov_b32 s40, s39
	s_and_saveexec_b32 s42, s41
	s_cbranch_execnz .LBB52_72
; %bb.70:                               ;   in Loop: Header=BB52_3 Depth=1
	s_or_b32 exec_lo, exec_lo, s42
	s_and_saveexec_b32 s41, s1
	s_cbranch_execnz .LBB52_75
.LBB52_71:                              ;   in Loop: Header=BB52_3 Depth=1
	s_or_b32 exec_lo, exec_lo, s41
	s_and_saveexec_b32 s1, s0
	s_cbranch_execnz .LBB52_76
	s_branch .LBB52_79
.LBB52_72:                              ;   in Loop: Header=BB52_3 Depth=1
	v_cmp_le_f32_e32 vcc_lo, 0, v3
	v_cmp_ge_f32_e64 s0, 1.0, v3
	s_delay_alu instid0(VALU_DEP_1) | instskip(SKIP_2) | instid1(SALU_CYCLE_1)
	s_and_b32 s40, vcc_lo, s0
	s_mov_b32 s0, 0
	s_and_saveexec_b32 s41, s40
	s_xor_b32 s40, exec_lo, s41
	s_cbranch_execz .LBB52_74
; %bb.73:                               ;   in Loop: Header=BB52_3 Depth=1
	v_cvt_f32_u32_e32 v8, v11
	v_mov_b32_e32 v7, v4
	v_mov_b32_e32 v9, s13
	s_mov_b32 s0, exec_lo
	s_delay_alu instid0(VALU_DEP_3) | instskip(NEXT) | instid1(VALU_DEP_3)
	v_fmaak_f32 v8, 0x2f800000, v8, 0x2f800000
	v_lshlrev_b64 v[6:7], 3, v[6:7]
	s_delay_alu instid0(VALU_DEP_2) | instskip(SKIP_1) | instid1(VALU_DEP_3)
	v_cmp_le_f32_e32 vcc_lo, v8, v3
	v_cndmask_b32_e64 v8, 0, 1, vcc_lo
	v_add_co_u32 v6, vcc_lo, s10, v6
	s_delay_alu instid0(VALU_DEP_4)
	v_add_co_ci_u32_e32 v7, vcc_lo, s11, v7, vcc_lo
	global_store_b64 v[6:7], v[8:9], off
.LBB52_74:                              ;   in Loop: Header=BB52_3 Depth=1
	s_or_b32 exec_lo, exec_lo, s40
	s_delay_alu instid0(SALU_CYCLE_1)
	s_and_not1_b32 s40, s39, exec_lo
	s_or_b32 s39, s39, exec_lo
	s_and_not1_b32 s38, s38, exec_lo
	s_and_not1_b32 s19, s19, exec_lo
	s_and_b32 s0, s0, exec_lo
	s_and_not1_b32 s1, s1, exec_lo
	s_or_b32 exec_lo, exec_lo, s42
	s_and_saveexec_b32 s41, s1
	s_cbranch_execz .LBB52_71
.LBB52_75:                              ;   in Loop: Header=BB52_3 Depth=1
	v_cmp_eq_u32_e32 vcc_lo, 1, v13
	s_and_not1_b32 s0, s0, exec_lo
	s_and_not1_b32 s40, s40, exec_lo
	s_and_not1_b32 s39, s39, exec_lo
	s_and_not1_b32 s38, s38, exec_lo
	s_and_b32 s1, vcc_lo, exec_lo
	s_and_not1_b32 s19, s19, exec_lo
	s_or_b32 s18, s18, exec_lo
	s_or_b32 s0, s0, s1
	s_or_b32 exec_lo, exec_lo, s41
	s_and_saveexec_b32 s1, s0
	s_cbranch_execz .LBB52_79
.LBB52_76:                              ;   in Loop: Header=BB52_3 Depth=1
	v_cmp_le_f32_e32 vcc_lo, 0, v0
	v_cmp_ge_f32_e64 s0, 1.0, v0
	s_delay_alu instid0(VALU_DEP_1)
	s_and_b32 s42, vcc_lo, s0
	s_mov_b32 s0, 0
	s_and_saveexec_b32 s41, s42
	s_cbranch_execz .LBB52_78
; %bb.77:                               ;   in Loop: Header=BB52_3 Depth=1
	v_cvt_f32_u32_e32 v3, v10
	v_mov_b32_e32 v6, v4
	v_mov_b32_e32 v8, s13
	s_mov_b32 s0, exec_lo
	s_delay_alu instid0(VALU_DEP_3) | instskip(NEXT) | instid1(VALU_DEP_3)
	v_fmaak_f32 v3, 0x2f800000, v3, 0x2f800000
	v_lshlrev_b64 v[5:6], 3, v[5:6]
	s_delay_alu instid0(VALU_DEP_2) | instskip(SKIP_1) | instid1(VALU_DEP_3)
	v_cmp_le_f32_e32 vcc_lo, v3, v0
	v_cndmask_b32_e64 v7, 0, 1, vcc_lo
	v_add_co_u32 v5, vcc_lo, s10, v5
	s_delay_alu instid0(VALU_DEP_4)
	v_add_co_ci_u32_e32 v6, vcc_lo, s11, v6, vcc_lo
	global_store_b64 v[5:6], v[7:8], off
.LBB52_78:                              ;   in Loop: Header=BB52_3 Depth=1
	s_or_b32 exec_lo, exec_lo, s41
	s_delay_alu instid0(SALU_CYCLE_1)
	s_and_not1_b32 s18, s18, exec_lo
	s_and_b32 s0, s0, exec_lo
	s_or_b32 s40, s40, exec_lo
	s_and_not1_b32 s39, s39, exec_lo
	s_and_not1_b32 s38, s38, exec_lo
	;; [unrolled: 1-line block ×3, first 2 shown]
	s_or_b32 s18, s18, s0
.LBB52_79:                              ;   in Loop: Header=BB52_3 Depth=1
	s_or_b32 exec_lo, exec_lo, s1
	s_delay_alu instid0(SALU_CYCLE_1)
	s_and_not1_b32 s1, s37, exec_lo
	s_and_b32 s37, s40, exec_lo
	s_and_not1_b32 s35, s35, exec_lo
	s_and_b32 s39, s39, exec_lo
	s_or_b32 s37, s1, s37
	s_and_not1_b32 s1, s36, exec_lo
	s_and_b32 s36, s38, exec_lo
	s_and_not1_b32 s34, s34, exec_lo
	s_and_b32 s19, s19, exec_lo
	s_mov_b32 s0, -1
	s_or_b32 s35, s35, s39
	s_or_b32 s36, s1, s36
	;; [unrolled: 1-line block ×3, first 2 shown]
	s_and_saveexec_b32 s1, s18
	s_cbranch_execz .LBB52_2
; %bb.80:                               ;   in Loop: Header=BB52_3 Depth=1
	v_add_nc_u32_e32 v27, s26, v27
	s_and_not1_b32 s37, s37, exec_lo
	s_and_not1_b32 s35, s35, exec_lo
	;; [unrolled: 1-line block ×4, first 2 shown]
	v_cmp_le_u32_e32 vcc_lo, s20, v27
	s_or_not1_b32 s0, vcc_lo, exec_lo
	s_branch .LBB52_2
.LBB52_81:
	s_or_b32 exec_lo, exec_lo, s29
	s_xor_b32 s3, s31, -1
	s_xor_b32 s4, s33, -1
	;; [unrolled: 1-line block ×3, first 2 shown]
	s_mov_b32 s1, 0
	s_and_saveexec_b32 s2, s0
	s_delay_alu instid0(SALU_CYCLE_1)
	s_xor_b32 s0, exec_lo, s2
	s_cbranch_execz .LBB52_90
; %bb.82:
	s_mov_b32 s2, 0
	s_and_saveexec_b32 s1, s4
	s_delay_alu instid0(SALU_CYCLE_1)
	s_xor_b32 s1, exec_lo, s1
	s_cbranch_execz .LBB52_88
; %bb.83:
	s_and_saveexec_b32 s4, s3
	s_delay_alu instid0(SALU_CYCLE_1)
	s_xor_b32 s3, exec_lo, s4
	s_cbranch_execz .LBB52_86
; %bb.84:
	s_and_saveexec_b32 s4, s12
	s_delay_alu instid0(SALU_CYCLE_1)
	s_xor_b32 s4, exec_lo, s4
	s_cbranch_execnz .LBB52_104
.LBB52_85:
	s_or_b32 exec_lo, exec_lo, s4
	s_delay_alu instid0(SALU_CYCLE_1)
	s_and_b32 s2, s2, exec_lo
.LBB52_86:
	s_and_not1_saveexec_b32 s3, s3
	s_cbranch_execnz .LBB52_100
.LBB52_87:
	s_or_b32 exec_lo, exec_lo, s3
	s_delay_alu instid0(SALU_CYCLE_1)
	s_and_b32 s2, s2, exec_lo
.LBB52_88:
	s_and_not1_saveexec_b32 s1, s1
	s_cbranch_execnz .LBB52_96
.LBB52_89:
	s_or_b32 exec_lo, exec_lo, s1
	s_delay_alu instid0(SALU_CYCLE_1)
	s_and_b32 s1, s2, exec_lo
.LBB52_90:
	s_and_not1_saveexec_b32 s0, s0
	s_cbranch_execnz .LBB52_94
; %bb.91:
	s_or_b32 exec_lo, exec_lo, s0
	s_delay_alu instid0(SALU_CYCLE_1)
	s_and_b32 exec_lo, exec_lo, s1
.LBB52_92:
	; divergent unreachable
.LBB52_93:
	s_nop 0
	s_sendmsg sendmsg(MSG_DEALLOC_VGPRS)
	s_endpgm
.LBB52_94:
	s_cbranch_execnz .LBB52_98
; %bb.95:
	s_or_b32 s1, s1, exec_lo
	s_or_b32 exec_lo, exec_lo, s0
	s_delay_alu instid0(SALU_CYCLE_1)
	s_and_b32 exec_lo, exec_lo, s1
	s_cbranch_execnz .LBB52_92
	s_branch .LBB52_93
.LBB52_96:
	s_cbranch_execnz .LBB52_102
; %bb.97:
	s_or_b32 s2, s2, exec_lo
	s_branch .LBB52_89
.LBB52_98:
	s_trap 2
	s_sendmsg_rtn_b32 s0, sendmsg(MSG_RTN_GET_DOORBELL)
	s_mov_b32 ttmp2, m0
	s_waitcnt lgkmcnt(0)
	s_and_b32 s0, s0, 0x3ff
	s_delay_alu instid0(SALU_CYCLE_1) | instskip(NEXT) | instid1(SALU_CYCLE_1)
	s_bitset1_b32 s0, 10
	s_mov_b32 m0, s0
	s_sendmsg sendmsg(MSG_INTERRUPT)
	s_mov_b32 m0, ttmp2
.LBB52_99:                              ; =>This Inner Loop Header: Depth=1
	s_sethalt 5
	s_branch .LBB52_99
.LBB52_100:
	s_cbranch_execnz .LBB52_106
; %bb.101:
	s_or_b32 s2, s2, exec_lo
	s_branch .LBB52_87
.LBB52_102:
	s_trap 2
	s_sendmsg_rtn_b32 s0, sendmsg(MSG_RTN_GET_DOORBELL)
	s_mov_b32 ttmp2, m0
	s_waitcnt lgkmcnt(0)
	s_and_b32 s0, s0, 0x3ff
	s_delay_alu instid0(SALU_CYCLE_1) | instskip(NEXT) | instid1(SALU_CYCLE_1)
	s_bitset1_b32 s0, 10
	s_mov_b32 m0, s0
	s_sendmsg sendmsg(MSG_INTERRUPT)
	s_mov_b32 m0, ttmp2
.LBB52_103:                             ; =>This Inner Loop Header: Depth=1
	s_sethalt 5
	s_branch .LBB52_103
.LBB52_104:
	s_cbranch_execnz .LBB52_108
; %bb.105:
	s_mov_b32 s2, exec_lo
	s_branch .LBB52_85
.LBB52_106:
	s_trap 2
	s_sendmsg_rtn_b32 s0, sendmsg(MSG_RTN_GET_DOORBELL)
	s_mov_b32 ttmp2, m0
	s_waitcnt lgkmcnt(0)
	s_and_b32 s0, s0, 0x3ff
	s_delay_alu instid0(SALU_CYCLE_1) | instskip(NEXT) | instid1(SALU_CYCLE_1)
	s_bitset1_b32 s0, 10
	s_mov_b32 m0, s0
	s_sendmsg sendmsg(MSG_INTERRUPT)
	s_mov_b32 m0, ttmp2
.LBB52_107:                             ; =>This Inner Loop Header: Depth=1
	s_sethalt 5
	s_branch .LBB52_107
.LBB52_108:
	s_trap 2
	s_sendmsg_rtn_b32 s0, sendmsg(MSG_RTN_GET_DOORBELL)
	s_mov_b32 ttmp2, m0
	s_waitcnt lgkmcnt(0)
	s_and_b32 s0, s0, 0x3ff
	s_delay_alu instid0(SALU_CYCLE_1) | instskip(NEXT) | instid1(SALU_CYCLE_1)
	s_bitset1_b32 s0, 10
	s_mov_b32 m0, s0
	s_sendmsg sendmsg(MSG_INTERRUPT)
	s_mov_b32 m0, ttmp2
.LBB52_109:                             ; =>This Inner Loop Header: Depth=1
	s_sethalt 5
	s_branch .LBB52_109
	.section	.rodata,"a",@progbits
	.p2align	6, 0x0
	.amdhsa_kernel _ZN2at4cuda12_GLOBAL__N_121kernelPointwiseApply2IZNS_6native9templates4cuda28bernoulli_tensor_cuda_kernelIlfEEvRKNS_10TensorBaseES9_NS_15PhiloxCudaStateEEUliRlSB_SB_SB_RKfSD_SD_SD_E_lSC_jLin1ELin1ELi4ELi512ELi2EEEvNS0_6detail10TensorInfoIT0_T2_EENSG_IT1_SI_EESI_T_
		.amdhsa_group_segment_fixed_size 0
		.amdhsa_private_segment_fixed_size 0
		.amdhsa_kernarg_size 728
		.amdhsa_user_sgpr_count 15
		.amdhsa_user_sgpr_dispatch_ptr 0
		.amdhsa_user_sgpr_queue_ptr 0
		.amdhsa_user_sgpr_kernarg_segment_ptr 1
		.amdhsa_user_sgpr_dispatch_id 0
		.amdhsa_user_sgpr_private_segment_size 0
		.amdhsa_wavefront_size32 1
		.amdhsa_uses_dynamic_stack 0
		.amdhsa_enable_private_segment 0
		.amdhsa_system_sgpr_workgroup_id_x 1
		.amdhsa_system_sgpr_workgroup_id_y 0
		.amdhsa_system_sgpr_workgroup_id_z 0
		.amdhsa_system_sgpr_workgroup_info 0
		.amdhsa_system_vgpr_workitem_id 0
		.amdhsa_next_free_vgpr 40
		.amdhsa_next_free_sgpr 43
		.amdhsa_reserve_vcc 1
		.amdhsa_float_round_mode_32 0
		.amdhsa_float_round_mode_16_64 0
		.amdhsa_float_denorm_mode_32 3
		.amdhsa_float_denorm_mode_16_64 3
		.amdhsa_dx10_clamp 1
		.amdhsa_ieee_mode 1
		.amdhsa_fp16_overflow 0
		.amdhsa_workgroup_processor_mode 1
		.amdhsa_memory_ordered 1
		.amdhsa_forward_progress 0
		.amdhsa_shared_vgpr_count 0
		.amdhsa_exception_fp_ieee_invalid_op 0
		.amdhsa_exception_fp_denorm_src 0
		.amdhsa_exception_fp_ieee_div_zero 0
		.amdhsa_exception_fp_ieee_overflow 0
		.amdhsa_exception_fp_ieee_underflow 0
		.amdhsa_exception_fp_ieee_inexact 0
		.amdhsa_exception_int_div_zero 0
	.end_amdhsa_kernel
	.section	.text._ZN2at4cuda12_GLOBAL__N_121kernelPointwiseApply2IZNS_6native9templates4cuda28bernoulli_tensor_cuda_kernelIlfEEvRKNS_10TensorBaseES9_NS_15PhiloxCudaStateEEUliRlSB_SB_SB_RKfSD_SD_SD_E_lSC_jLin1ELin1ELi4ELi512ELi2EEEvNS0_6detail10TensorInfoIT0_T2_EENSG_IT1_SI_EESI_T_,"axG",@progbits,_ZN2at4cuda12_GLOBAL__N_121kernelPointwiseApply2IZNS_6native9templates4cuda28bernoulli_tensor_cuda_kernelIlfEEvRKNS_10TensorBaseES9_NS_15PhiloxCudaStateEEUliRlSB_SB_SB_RKfSD_SD_SD_E_lSC_jLin1ELin1ELi4ELi512ELi2EEEvNS0_6detail10TensorInfoIT0_T2_EENSG_IT1_SI_EESI_T_,comdat
.Lfunc_end52:
	.size	_ZN2at4cuda12_GLOBAL__N_121kernelPointwiseApply2IZNS_6native9templates4cuda28bernoulli_tensor_cuda_kernelIlfEEvRKNS_10TensorBaseES9_NS_15PhiloxCudaStateEEUliRlSB_SB_SB_RKfSD_SD_SD_E_lSC_jLin1ELin1ELi4ELi512ELi2EEEvNS0_6detail10TensorInfoIT0_T2_EENSG_IT1_SI_EESI_T_, .Lfunc_end52-_ZN2at4cuda12_GLOBAL__N_121kernelPointwiseApply2IZNS_6native9templates4cuda28bernoulli_tensor_cuda_kernelIlfEEvRKNS_10TensorBaseES9_NS_15PhiloxCudaStateEEUliRlSB_SB_SB_RKfSD_SD_SD_E_lSC_jLin1ELin1ELi4ELi512ELi2EEEvNS0_6detail10TensorInfoIT0_T2_EENSG_IT1_SI_EESI_T_
                                        ; -- End function
	.section	.AMDGPU.csdata,"",@progbits
; Kernel info:
; codeLenInByte = 5404
; NumSgprs: 45
; NumVgprs: 40
; ScratchSize: 0
; MemoryBound: 0
; FloatMode: 240
; IeeeMode: 1
; LDSByteSize: 0 bytes/workgroup (compile time only)
; SGPRBlocks: 5
; VGPRBlocks: 4
; NumSGPRsForWavesPerEU: 45
; NumVGPRsForWavesPerEU: 40
; Occupancy: 16
; WaveLimiterHint : 1
; COMPUTE_PGM_RSRC2:SCRATCH_EN: 0
; COMPUTE_PGM_RSRC2:USER_SGPR: 15
; COMPUTE_PGM_RSRC2:TRAP_HANDLER: 0
; COMPUTE_PGM_RSRC2:TGID_X_EN: 1
; COMPUTE_PGM_RSRC2:TGID_Y_EN: 0
; COMPUTE_PGM_RSRC2:TGID_Z_EN: 0
; COMPUTE_PGM_RSRC2:TIDIG_COMP_CNT: 0
	.section	.text._ZN2at4cuda12_GLOBAL__N_121kernelPointwiseApply2IZNS_6native9templates4cuda28bernoulli_tensor_cuda_kernelIlfEEvRKNS_10TensorBaseES9_NS_15PhiloxCudaStateEEUliRlSB_SB_SB_RKfSD_SD_SD_E_lSC_mLi1ELi1ELi4ELi512ELi2EEEvNS0_6detail10TensorInfoIT0_T2_EENSG_IT1_SI_EESI_T_,"axG",@progbits,_ZN2at4cuda12_GLOBAL__N_121kernelPointwiseApply2IZNS_6native9templates4cuda28bernoulli_tensor_cuda_kernelIlfEEvRKNS_10TensorBaseES9_NS_15PhiloxCudaStateEEUliRlSB_SB_SB_RKfSD_SD_SD_E_lSC_mLi1ELi1ELi4ELi512ELi2EEEvNS0_6detail10TensorInfoIT0_T2_EENSG_IT1_SI_EESI_T_,comdat
	.globl	_ZN2at4cuda12_GLOBAL__N_121kernelPointwiseApply2IZNS_6native9templates4cuda28bernoulli_tensor_cuda_kernelIlfEEvRKNS_10TensorBaseES9_NS_15PhiloxCudaStateEEUliRlSB_SB_SB_RKfSD_SD_SD_E_lSC_mLi1ELi1ELi4ELi512ELi2EEEvNS0_6detail10TensorInfoIT0_T2_EENSG_IT1_SI_EESI_T_ ; -- Begin function _ZN2at4cuda12_GLOBAL__N_121kernelPointwiseApply2IZNS_6native9templates4cuda28bernoulli_tensor_cuda_kernelIlfEEvRKNS_10TensorBaseES9_NS_15PhiloxCudaStateEEUliRlSB_SB_SB_RKfSD_SD_SD_E_lSC_mLi1ELi1ELi4ELi512ELi2EEEvNS0_6detail10TensorInfoIT0_T2_EENSG_IT1_SI_EESI_T_
	.p2align	8
	.type	_ZN2at4cuda12_GLOBAL__N_121kernelPointwiseApply2IZNS_6native9templates4cuda28bernoulli_tensor_cuda_kernelIlfEEvRKNS_10TensorBaseES9_NS_15PhiloxCudaStateEEUliRlSB_SB_SB_RKfSD_SD_SD_E_lSC_mLi1ELi1ELi4ELi512ELi2EEEvNS0_6detail10TensorInfoIT0_T2_EENSG_IT1_SI_EESI_T_,@function
_ZN2at4cuda12_GLOBAL__N_121kernelPointwiseApply2IZNS_6native9templates4cuda28bernoulli_tensor_cuda_kernelIlfEEvRKNS_10TensorBaseES9_NS_15PhiloxCudaStateEEUliRlSB_SB_SB_RKfSD_SD_SD_E_lSC_mLi1ELi1ELi4ELi512ELi2EEEvNS0_6detail10TensorInfoIT0_T2_EENSG_IT1_SI_EESI_T_: ; @_ZN2at4cuda12_GLOBAL__N_121kernelPointwiseApply2IZNS_6native9templates4cuda28bernoulli_tensor_cuda_kernelIlfEEvRKNS_10TensorBaseES9_NS_15PhiloxCudaStateEEUliRlSB_SB_SB_RKfSD_SD_SD_E_lSC_mLi1ELi1ELi4ELi512ELi2EEEvNS0_6detail10TensorInfoIT0_T2_EENSG_IT1_SI_EESI_T_
; %bb.0:
	s_clause 0x1
	s_load_b32 s4, s[0:1], 0x374
	s_load_b256 s[16:23], s[0:1], 0x340
	s_add_u32 s2, s0, 0x368
	s_addc_u32 s3, s1, 0
	s_mov_b32 s5, exec_lo
	v_mov_b32_e32 v3, 0
	s_waitcnt lgkmcnt(0)
	s_and_b32 s4, s4, 0xffff
	s_delay_alu instid0(SALU_CYCLE_1) | instskip(NEXT) | instid1(VALU_DEP_1)
	v_mad_u64_u32 v[1:2], null, s15, s4, v[0:1]
	v_lshlrev_b32_e32 v2, 2, v1
	s_delay_alu instid0(VALU_DEP_1)
	v_cmpx_gt_u64_e64 s[16:17], v[2:3]
	s_cbranch_execz .LBB53_51
; %bb.1:
	s_load_b64 s[10:11], s[0:1], 0xd0
	s_load_b32 s2, s[2:3], 0x0
	s_clause 0x3
	s_load_b32 s3, s[0:1], 0x360
	s_load_b64 s[6:7], s[0:1], 0x0
	s_load_b64 s[8:9], s[0:1], 0x1a0
	;; [unrolled: 1-line block ×3, first 2 shown]
	v_mad_u64_u32 v[4:5], null, 0xcd9e8d57, v1, 0
	v_add_co_u32 v15, s12, v2, 2
	s_delay_alu instid0(VALU_DEP_1) | instskip(SKIP_1) | instid1(VALU_DEP_4)
	v_add_co_ci_u32_e64 v16, null, 0, 0, s12
	v_add_co_u32 v17, s12, v2, 3
	v_mov_b32_e32 v34, v5
	v_add_co_ci_u32_e64 v18, null, 0, 0, s12
	v_sub_nc_u32_e32 v0, s16, v2
	s_mov_b32 s5, 0
	s_mov_b32 s29, 0
	s_waitcnt lgkmcnt(0)
	v_mad_u64_u32 v[5:6], null, s10, v2, 0
	v_mad_u64_u32 v[7:8], null, s10, v15, 0
	;; [unrolled: 1-line block ×4, first 2 shown]
	v_mul_lo_u32 v19, s11, v15
	v_mul_lo_u32 v20, s10, v16
	v_mad_u64_u32 v[13:14], null, s11, v2, v[6:7]
	v_mul_lo_u32 v21, s11, v17
	v_mul_lo_u32 v22, s10, v18
	;; [unrolled: 1-line block ×3, first 2 shown]
	s_mul_i32 s2, s2, s4
	s_bitcmp1_b32 s3, 0
	v_add3_u32 v8, v8, v20, v19
	v_mov_b32_e32 v6, v13
	v_mad_u64_u32 v[13:14], null, s1, v2, v[10:11]
	v_add3_u32 v12, v12, v22, v21
	v_mul_lo_u32 v19, s1, v15
	v_mul_lo_u32 v20, s0, v16
	;; [unrolled: 1-line block ×3, first 2 shown]
	v_add_co_u32 v10, vcc_lo, v5, s10
	v_mov_b32_e32 v36, v13
	v_mad_u64_u32 v[13:14], null, s0, v15, 0
	v_mad_u64_u32 v[15:16], null, s0, v17, 0
	s_cselect_b32 s14, -1, 0
	s_lshl_b32 s15, s2, 2
	v_add_co_ci_u32_e32 v35, vcc_lo, s11, v6, vcc_lo
	v_add_co_u32 v37, vcc_lo, v9, s0
	s_mul_i32 s2, s11, s15
	s_mul_hi_u32 s3, s10, s15
	v_add_co_ci_u32_e32 v38, vcc_lo, s1, v36, vcc_lo
	v_add3_u32 v14, v14, v20, v19
	v_add3_u32 v16, v16, v18, v21
	s_add_i32 s24, s3, s2
	s_mul_i32 s2, s1, s15
	s_mul_hi_u32 s3, s0, s15
	s_mul_i32 s25, s10, s15
	s_add_i32 s27, s3, s2
	s_mul_i32 s28, s0, s15
	s_mov_b64 s[10:11], 0
	s_mov_b64 s[12:13], 0
                                        ; implicit-def: $sgpr30
                                        ; implicit-def: $sgpr33
                                        ; implicit-def: $sgpr31
                                        ; implicit-def: $sgpr26
                                        ; implicit-def: $sgpr34
                                        ; implicit-def: $sgpr36
                                        ; implicit-def: $sgpr35
                                        ; implicit-def: $sgpr37
	s_branch .LBB53_3
.LBB53_2:                               ;   in Loop: Header=BB53_3 Depth=1
	s_or_b32 exec_lo, exec_lo, s1
	s_delay_alu instid0(SALU_CYCLE_1) | instskip(NEXT) | instid1(SALU_CYCLE_1)
	s_and_b32 s0, exec_lo, s0
	s_or_b32 s29, s0, s29
	s_and_not1_b32 s0, s26, exec_lo
	s_and_b32 s1, s37, exec_lo
	s_and_not1_b32 s2, s31, exec_lo
	s_and_b32 s3, s35, exec_lo
	s_or_b32 s26, s0, s1
	s_or_b32 s31, s2, s3
	s_and_not1_b32 s0, s33, exec_lo
	s_and_b32 s1, s36, exec_lo
	s_and_not1_b32 s2, s30, exec_lo
	s_and_b32 s3, s34, exec_lo
	s_or_b32 s33, s0, s1
	s_or_b32 s30, s2, s3
	s_and_not1_b32 exec_lo, exec_lo, s29
	s_cbranch_execz .LBB53_39
.LBB53_3:                               ; =>This Inner Loop Header: Depth=1
	v_add_co_u32 v17, vcc_lo, v9, s10
	v_add_co_ci_u32_e32 v18, vcc_lo, s11, v36, vcc_lo
	v_cmp_lt_i32_e64 s0, 0, v0
	v_add_co_u32 v19, vcc_lo, v37, s10
	v_add_co_ci_u32_e32 v20, vcc_lo, s11, v38, vcc_lo
	v_cmp_lt_i32_e64 s1, 1, v0
	v_add_co_u32 v21, vcc_lo, v13, s10
	v_cndmask_b32_e64 v18, 0, v18, s0
	v_cndmask_b32_e64 v17, 0, v17, s0
	v_add_co_ci_u32_e32 v22, vcc_lo, s11, v14, vcc_lo
	v_cmp_lt_i32_e64 s2, 2, v0
	v_add_co_u32 v23, vcc_lo, v15, s10
	v_cndmask_b32_e64 v20, 0, v20, s1
	v_cndmask_b32_e64 v19, 0, v19, s1
	v_add_co_ci_u32_e32 v24, vcc_lo, s11, v16, vcc_lo
	v_cmp_lt_i32_e64 s3, 3, v0
	v_lshlrev_b64 v[17:18], 2, v[17:18]
	v_cndmask_b32_e64 v22, 0, v22, s2
	v_cndmask_b32_e64 v21, 0, v21, s2
	v_lshlrev_b64 v[19:20], 2, v[19:20]
	v_cndmask_b32_e64 v24, 0, v24, s3
	v_cndmask_b32_e64 v23, 0, v23, s3
	v_add_co_u32 v17, vcc_lo, s8, v17
	v_lshlrev_b64 v[21:22], 2, v[21:22]
	v_add_co_ci_u32_e32 v18, vcc_lo, s9, v18, vcc_lo
	v_add_co_u32 v19, vcc_lo, s8, v19
	v_lshlrev_b64 v[23:24], 2, v[23:24]
	v_add_co_ci_u32_e32 v20, vcc_lo, s9, v20, vcc_lo
	v_add_co_u32 v21, vcc_lo, s8, v21
	v_add_co_ci_u32_e32 v22, vcc_lo, s9, v22, vcc_lo
	s_delay_alu instid0(VALU_DEP_4)
	v_add_co_u32 v23, vcc_lo, s8, v23
	v_add_co_ci_u32_e32 v24, vcc_lo, s9, v24, vcc_lo
	s_clause 0x3
	global_load_b32 v39, v[17:18], off
	global_load_b32 v40, v[19:20], off
	global_load_b32 v41, v[21:22], off
	global_load_b32 v42, v[23:24], off
	v_dual_mov_b32 v22, s21 :: v_dual_mov_b32 v21, s20
	v_dual_mov_b32 v24, s19 :: v_dual_mov_b32 v23, s18
	s_and_not1_b32 vcc_lo, exec_lo, s14
	s_cbranch_vccnz .LBB53_5
; %bb.4:                                ;   in Loop: Header=BB53_3 Depth=1
	v_dual_mov_b32 v17, s20 :: v_dual_mov_b32 v18, s21
	v_dual_mov_b32 v20, s19 :: v_dual_mov_b32 v19, s18
	flat_load_b64 v[17:18], v[17:18]
	flat_load_b64 v[23:24], v[19:20]
	s_waitcnt vmcnt(1) lgkmcnt(1)
	v_add_co_u32 v21, vcc_lo, v17, s22
	v_add_co_ci_u32_e32 v22, vcc_lo, s23, v18, vcc_lo
.LBB53_5:                               ;   in Loop: Header=BB53_3 Depth=1
	s_delay_alu instid0(VALU_DEP_1)
	v_alignbit_b32 v20, v22, v21, 2
	v_lshrrev_b32_e32 v19, 2, v22
	s_waitcnt vmcnt(0) lgkmcnt(0)
	v_add_nc_u32_e32 v43, 0x9e3779b9, v23
	v_add_nc_u32_e32 v45, 0x76cf5d0a, v24
	;; [unrolled: 1-line block ×3, first 2 shown]
	v_add_co_u32 v22, vcc_lo, v20, 1
	s_delay_alu instid0(VALU_DEP_1) | instskip(SKIP_4) | instid1(VALU_DEP_4)
	v_cndmask_b32_e64 v17, 0, 1, vcc_lo
	v_add_co_ci_u32_e32 v31, vcc_lo, 0, v19, vcc_lo
	v_xor3_b32 v27, v34, v23, v19
	v_add_nc_u32_e32 v47, 0x32370b8f, v24
	v_add_nc_u32_e32 v48, 0xed9eba14, v24
	v_cmp_eq_u32_e32 vcc_lo, 0, v31
	v_add_nc_u32_e32 v49, 0x1715609d, v23
	v_add_nc_u32_e32 v50, 0xa9066899, v24
	s_mov_b32 s4, exec_lo
	v_dual_cndmask_b32 v25, 0, v17 :: v_dual_add_nc_u32 v44, 0xbb67ae85, v24
	v_mad_u64_u32 v[17:18], null, 0xd2511f53, v22, 0
	s_delay_alu instid0(VALU_DEP_2) | instskip(NEXT) | instid1(VALU_DEP_2)
	v_add_nc_u32_e32 v22, v25, v1
	v_xor_b32_e32 v26, v18, v24
	s_delay_alu instid0(VALU_DEP_2) | instskip(SKIP_2) | instid1(VALU_DEP_1)
	v_cmp_eq_u32_e32 vcc_lo, 0, v22
	v_mad_u64_u32 v[18:19], null, 0xd2511f53, v20, 0
	v_cndmask_b32_e32 v25, 0, v25, vcc_lo
	v_xor_b32_e32 v20, v25, v26
	v_mad_u64_u32 v[25:26], null, 0xd2511f53, v27, 0
	v_mad_u64_u32 v[27:28], null, 0xcd9e8d57, v22, 0
	v_add_nc_u32_e32 v22, 0x3c6ef372, v23
	s_delay_alu instid0(VALU_DEP_4) | instskip(SKIP_2) | instid1(VALU_DEP_2)
	v_mad_u64_u32 v[29:30], null, 0xcd9e8d57, v20, 0
	v_xor_b32_e32 v20, v19, v24
	v_xor3_b32 v32, v44, v26, v18
	v_mad_u64_u32 v[18:19], null, 0xcd9e8d57, v20, 0
	v_xor3_b32 v20, v28, v23, v31
	v_xor3_b32 v28, v43, v30, v27
	s_delay_alu instid0(VALU_DEP_4) | instskip(NEXT) | instid1(VALU_DEP_3)
	v_mad_u64_u32 v[26:27], null, 0xcd9e8d57, v32, 0
	v_mad_u64_u32 v[30:31], null, 0xd2511f53, v20, 0
	s_delay_alu instid0(VALU_DEP_3) | instskip(SKIP_1) | instid1(VALU_DEP_4)
	v_mad_u64_u32 v[32:33], null, 0xd2511f53, v28, 0
	v_xor3_b32 v20, v4, v19, v43
	v_xor3_b32 v43, v22, v27, v18
	s_delay_alu instid0(VALU_DEP_4) | instskip(NEXT) | instid1(VALU_DEP_3)
	v_xor3_b32 v17, v44, v31, v17
	v_mad_u64_u32 v[18:19], null, 0xd2511f53, v20, 0
	v_xor3_b32 v20, v45, v33, v30
	s_delay_alu instid0(VALU_DEP_4) | instskip(NEXT) | instid1(VALU_DEP_4)
	v_mad_u64_u32 v[27:28], null, 0xd2511f53, v43, 0
	v_mad_u64_u32 v[30:31], null, 0xcd9e8d57, v17, 0
	s_delay_alu instid0(VALU_DEP_3) | instskip(SKIP_4) | instid1(VALU_DEP_4)
	v_mad_u64_u32 v[43:44], null, 0xcd9e8d57, v20, 0
	v_xor3_b32 v19, v45, v19, v25
	v_add_nc_u32_e32 v33, 0x78dde6e4, v23
	v_xor3_b32 v25, v47, v28, v18
	v_xor3_b32 v22, v22, v31, v29
	v_mad_u64_u32 v[17:18], null, 0xcd9e8d57, v19, 0
	v_xor3_b32 v44, v46, v44, v30
	s_delay_alu instid0(VALU_DEP_4) | instskip(NEXT) | instid1(VALU_DEP_4)
	v_mad_u64_u32 v[19:20], null, 0xcd9e8d57, v25, 0
	v_mad_u64_u32 v[28:29], null, 0xd2511f53, v22, 0
	s_delay_alu instid0(VALU_DEP_3) | instskip(SKIP_1) | instid1(VALU_DEP_4)
	v_mad_u64_u32 v[30:31], null, 0xd2511f53, v44, 0
	v_xor3_b32 v22, v46, v18, v26
	v_xor3_b32 v20, v33, v20, v17
	s_delay_alu instid0(VALU_DEP_2) | instskip(SKIP_2) | instid1(VALU_DEP_4)
	v_mad_u64_u32 v[17:18], null, 0xd2511f53, v22, 0
	v_xor3_b32 v22, v47, v29, v32
	v_xor3_b32 v28, v48, v31, v28
	v_mad_u64_u32 v[31:32], null, 0xd2511f53, v20, 0
	s_delay_alu instid0(VALU_DEP_3) | instskip(NEXT) | instid1(VALU_DEP_3)
	v_mad_u64_u32 v[25:26], null, 0xcd9e8d57, v22, 0
	v_mad_u64_u32 v[44:45], null, 0xcd9e8d57, v28, 0
	v_xor3_b32 v20, v48, v18, v27
	s_delay_alu instid0(VALU_DEP_4) | instskip(SKIP_2) | instid1(VALU_DEP_4)
	v_xor3_b32 v28, v50, v32, v17
	v_add_nc_u32_e32 v22, 0xb54cda56, v23
	v_add_nc_u32_e32 v27, 0x646e171e, v24
	v_mad_u64_u32 v[17:18], null, 0xcd9e8d57, v20, 0
	v_xor3_b32 v20, v33, v26, v43
	v_xor3_b32 v29, v49, v45, v25
	v_mad_u64_u32 v[45:46], null, 0xcd9e8d57, v28, 0
	v_add_nc_u32_e32 v33, 0x5384540f, v23
	s_delay_alu instid0(VALU_DEP_4) | instskip(NEXT) | instid1(VALU_DEP_4)
	v_mad_u64_u32 v[25:26], null, 0xd2511f53, v20, 0
	v_mad_u64_u32 v[47:48], null, 0xd2511f53, v29, 0
	v_xor3_b32 v19, v49, v18, v19
	v_xor3_b32 v20, v22, v46, v17
	v_add_nc_u32_e32 v49, 0x1fd5c5a3, v24
	v_add_co_u32 v43, null, 0xf1bbcdc8, v23
	v_xor3_b32 v28, v50, v26, v30
	v_xor3_b32 v30, v27, v48, v25
	v_mad_u64_u32 v[17:18], null, 0xd2511f53, v19, 0
	v_mad_u64_u32 v[25:26], null, 0xd2511f53, v20, 0
	s_delay_alu instid0(VALU_DEP_4) | instskip(NEXT) | instid1(VALU_DEP_4)
	v_mad_u64_u32 v[19:20], null, 0xcd9e8d57, v28, 0
	v_mad_u64_u32 v[28:29], null, 0xcd9e8d57, v30, 0
	s_delay_alu instid0(VALU_DEP_4) | instskip(NEXT) | instid1(VALU_DEP_4)
	v_xor3_b32 v27, v27, v18, v31
	v_xor3_b32 v30, v49, v26, v17
	s_delay_alu instid0(VALU_DEP_4) | instskip(NEXT) | instid1(VALU_DEP_3)
	v_xor3_b32 v22, v22, v20, v44
	v_mad_u64_u32 v[17:18], null, 0xcd9e8d57, v27, 0
	v_xor3_b32 v29, v33, v29, v19
	s_delay_alu instid0(VALU_DEP_4) | instskip(NEXT) | instid1(VALU_DEP_4)
	v_mad_u64_u32 v[26:27], null, 0xcd9e8d57, v30, 0
	v_mad_u64_u32 v[19:20], null, 0xd2511f53, v22, 0
	s_delay_alu instid0(VALU_DEP_3)
	v_mad_u64_u32 v[31:32], null, 0xd2511f53, v29, 0
	v_add_nc_u32_e32 v44, 0xdb3d7428, v24
	v_xor3_b32 v18, v33, v18, v45
	v_xor3_b32 v22, v43, v27, v17
	v_add_nc_u32_e32 v45, 0x96a522ad, v24
	v_xor3_b32 v20, v49, v20, v47
	v_and_b32_e32 v24, 3, v21
	v_xor3_b32 v27, v44, v32, v19
	v_mad_u64_u32 v[29:30], null, 0xd2511f53, v18, 0
	v_mad_u64_u32 v[17:18], null, 0xd2511f53, v22, 0
	;; [unrolled: 1-line block ×3, first 2 shown]
	s_delay_alu instid0(VALU_DEP_4) | instskip(SKIP_1) | instid1(VALU_DEP_4)
	v_mad_u64_u32 v[19:20], null, 0xcd9e8d57, v27, 0
	v_add_nc_u32_e32 v27, 0x8ff34781, v23
                                        ; implicit-def: $vgpr22
	v_xor3_b32 v23, v18, v29, v45
	s_delay_alu instid0(VALU_DEP_2)
	v_xor3_b32 v18, v20, v32, v27
	v_cmpx_lt_i32_e32 1, v24
	s_xor_b32 s4, exec_lo, s4
	s_cbranch_execz .LBB53_11
; %bb.6:                                ;   in Loop: Header=BB53_3 Depth=1
	s_mov_b32 s38, exec_lo
                                        ; implicit-def: $vgpr22
	v_cmpx_lt_i32_e32 2, v24
	s_xor_b32 s38, exec_lo, s38
; %bb.7:                                ;   in Loop: Header=BB53_3 Depth=1
	v_xor3_b32 v20, v43, v33, v28
                                        ; implicit-def: $vgpr23
	s_delay_alu instid0(VALU_DEP_1) | instskip(NEXT) | instid1(VALU_DEP_1)
	v_mul_hi_u32 v20, 0xd2511f53, v20
	v_xor3_b32 v22, v20, v31, v45
; %bb.8:                                ;   in Loop: Header=BB53_3 Depth=1
	s_and_not1_saveexec_b32 s38, s38
; %bb.9:                                ;   in Loop: Header=BB53_3 Depth=1
	v_dual_mov_b32 v22, v19 :: v_dual_mov_b32 v19, v18
	v_dual_mov_b32 v18, v17 :: v_dual_mov_b32 v17, v23
; %bb.10:                               ;   in Loop: Header=BB53_3 Depth=1
	s_or_b32 exec_lo, exec_lo, s38
                                        ; implicit-def: $vgpr25_vgpr26
                                        ; implicit-def: $vgpr24
                                        ; implicit-def: $vgpr23
                                        ; implicit-def: $vgpr44
                                        ; implicit-def: $vgpr29_vgpr30
                                        ; implicit-def: $vgpr26_vgpr27
                                        ; implicit-def: $vgpr27
.LBB53_11:                              ;   in Loop: Header=BB53_3 Depth=1
	s_and_not1_saveexec_b32 s4, s4
	s_cbranch_execz .LBB53_15
; %bb.12:                               ;   in Loop: Header=BB53_3 Depth=1
	v_xor3_b32 v19, v44, v30, v25
	v_cmp_eq_u32_e32 vcc_lo, 1, v24
	v_mov_b32_e32 v22, v17
	s_delay_alu instid0(VALU_DEP_3) | instskip(SKIP_1) | instid1(VALU_DEP_2)
	v_mad_u64_u32 v[20:21], null, 0xcd9e8d57, v19, 0
	v_mov_b32_e32 v19, v23
	v_xor3_b32 v24, v21, v26, v27
	s_delay_alu instid0(VALU_DEP_3)
	v_mov_b32_e32 v21, v20
	s_and_saveexec_b32 s38, vcc_lo
; %bb.13:                               ;   in Loop: Header=BB53_3 Depth=1
	v_dual_mov_b32 v22, v18 :: v_dual_mov_b32 v19, v17
	v_dual_mov_b32 v21, v23 :: v_dual_mov_b32 v24, v20
; %bb.14:                               ;   in Loop: Header=BB53_3 Depth=1
	s_or_b32 exec_lo, exec_lo, s38
	s_delay_alu instid0(VALU_DEP_1)
	v_dual_mov_b32 v17, v24 :: v_dual_mov_b32 v18, v21
.LBB53_15:                              ;   in Loop: Header=BB53_3 Depth=1
	s_or_b32 exec_lo, exec_lo, s4
	v_min_i32_e32 v20, 4, v0
	s_mov_b32 s38, 0
	s_mov_b32 s43, 0
	s_mov_b32 s41, exec_lo
                                        ; implicit-def: $sgpr4
                                        ; implicit-def: $sgpr39
                                        ; implicit-def: $sgpr40
	s_delay_alu instid0(VALU_DEP_1)
	v_cmpx_lt_i32_e32 2, v20
	s_xor_b32 s41, exec_lo, s41
	s_cbranch_execz .LBB53_25
; %bb.16:                               ;   in Loop: Header=BB53_3 Depth=1
	s_mov_b32 s42, -1
	s_mov_b32 s40, exec_lo
                                        ; implicit-def: $sgpr39
                                        ; implicit-def: $sgpr4
	v_cmpx_lt_i32_e32 3, v20
	s_cbranch_execz .LBB53_20
; %bb.17:                               ;   in Loop: Header=BB53_3 Depth=1
	v_cmp_le_f32_e32 vcc_lo, 0, v42
	v_cmp_ge_f32_e64 s4, 1.0, v42
	s_mov_b32 s39, 0
	s_mov_b32 s42, 0
	s_delay_alu instid0(VALU_DEP_1) | instskip(NEXT) | instid1(SALU_CYCLE_1)
	s_and_b32 s43, vcc_lo, s4
	s_and_saveexec_b32 s4, s43
	s_cbranch_execz .LBB53_19
; %bb.18:                               ;   in Loop: Header=BB53_3 Depth=1
	v_add_co_u32 v21, vcc_lo, v11, s12
	v_add_co_ci_u32_e32 v23, vcc_lo, s13, v12, vcc_lo
	v_cvt_f32_u32_e32 v24, v22
	s_delay_alu instid0(VALU_DEP_3) | instskip(SKIP_1) | instid1(VALU_DEP_3)
	v_cndmask_b32_e64 v21, 0, v21, s3
	s_mov_b32 s42, exec_lo
	v_cndmask_b32_e64 v22, 0, v23, s3
	s_delay_alu instid0(VALU_DEP_3) | instskip(NEXT) | instid1(VALU_DEP_2)
	v_dual_fmaak_f32 v23, 0x2f800000, v24, 0x2f800000 :: v_dual_mov_b32 v24, s5
	v_lshlrev_b64 v[21:22], 3, v[21:22]
	s_delay_alu instid0(VALU_DEP_2) | instskip(SKIP_1) | instid1(VALU_DEP_3)
	v_cmp_le_f32_e32 vcc_lo, v23, v42
	v_cndmask_b32_e64 v23, 0, 1, vcc_lo
	v_add_co_u32 v21, vcc_lo, s6, v21
	s_delay_alu instid0(VALU_DEP_4)
	v_add_co_ci_u32_e32 v22, vcc_lo, s7, v22, vcc_lo
	global_store_b64 v[21:22], v[23:24], off
.LBB53_19:                              ;   in Loop: Header=BB53_3 Depth=1
	s_or_b32 exec_lo, exec_lo, s4
	s_mov_b32 s4, -1
	s_or_not1_b32 s42, s42, exec_lo
.LBB53_20:                              ;   in Loop: Header=BB53_3 Depth=1
	s_or_b32 exec_lo, exec_lo, s40
	s_mov_b32 s3, 0
	s_mov_b32 s43, s39
	s_and_saveexec_b32 s40, s42
	s_cbranch_execz .LBB53_24
; %bb.21:                               ;   in Loop: Header=BB53_3 Depth=1
	v_cmp_le_f32_e32 vcc_lo, 0, v41
	v_cmp_ge_f32_e64 s3, 1.0, v41
	s_delay_alu instid0(VALU_DEP_1) | instskip(SKIP_2) | instid1(SALU_CYCLE_1)
	s_and_b32 s42, vcc_lo, s3
	s_mov_b32 s3, 0
	s_and_saveexec_b32 s43, s42
	s_xor_b32 s42, exec_lo, s43
	s_cbranch_execz .LBB53_23
; %bb.22:                               ;   in Loop: Header=BB53_3 Depth=1
	v_add_co_u32 v21, vcc_lo, v7, s12
	v_add_co_ci_u32_e32 v22, vcc_lo, s13, v8, vcc_lo
	v_cvt_f32_u32_e32 v19, v19
	s_delay_alu instid0(VALU_DEP_3) | instskip(SKIP_1) | instid1(VALU_DEP_4)
	v_cndmask_b32_e64 v21, 0, v21, s2
	v_mov_b32_e32 v24, s5
	v_cndmask_b32_e64 v22, 0, v22, s2
	s_mov_b32 s3, exec_lo
	v_fmaak_f32 v19, 0x2f800000, v19, 0x2f800000
	s_delay_alu instid0(VALU_DEP_2) | instskip(NEXT) | instid1(VALU_DEP_2)
	v_lshlrev_b64 v[21:22], 3, v[21:22]
	v_cmp_le_f32_e32 vcc_lo, v19, v41
	v_cndmask_b32_e64 v23, 0, 1, vcc_lo
	s_delay_alu instid0(VALU_DEP_3) | instskip(NEXT) | instid1(VALU_DEP_4)
	v_add_co_u32 v21, vcc_lo, s6, v21
	v_add_co_ci_u32_e32 v22, vcc_lo, s7, v22, vcc_lo
	global_store_b64 v[21:22], v[23:24], off
.LBB53_23:                              ;   in Loop: Header=BB53_3 Depth=1
	s_or_b32 exec_lo, exec_lo, s42
	s_delay_alu instid0(SALU_CYCLE_1)
	s_and_not1_b32 s43, s39, exec_lo
	s_or_b32 s39, s39, exec_lo
	s_and_not1_b32 s4, s4, exec_lo
	s_and_b32 s3, s3, exec_lo
.LBB53_24:                              ;   in Loop: Header=BB53_3 Depth=1
	s_or_b32 exec_lo, exec_lo, s40
	s_delay_alu instid0(SALU_CYCLE_1)
	s_and_b32 s40, s43, exec_lo
	s_and_b32 s39, s39, exec_lo
	;; [unrolled: 1-line block ×4, first 2 shown]
.LBB53_25:                              ;   in Loop: Header=BB53_3 Depth=1
	s_and_not1_saveexec_b32 s2, s41
; %bb.26:                               ;   in Loop: Header=BB53_3 Depth=1
	v_cmp_lt_i32_e32 vcc_lo, 1, v20
	s_and_not1_b32 s3, s43, exec_lo
	s_mov_b32 s38, exec_lo
	s_and_not1_b32 s40, s40, exec_lo
	s_and_not1_b32 s39, s39, exec_lo
	s_and_b32 s41, vcc_lo, exec_lo
	s_and_not1_b32 s4, s4, exec_lo
	s_or_b32 s43, s3, s41
; %bb.27:                               ;   in Loop: Header=BB53_3 Depth=1
	s_or_b32 exec_lo, exec_lo, s2
	s_mov_b32 s3, 0
	s_mov_b32 s41, 0
	;; [unrolled: 1-line block ×3, first 2 shown]
	s_and_saveexec_b32 s42, s43
	s_cbranch_execnz .LBB53_30
; %bb.28:                               ;   in Loop: Header=BB53_3 Depth=1
	s_or_b32 exec_lo, exec_lo, s42
	s_and_saveexec_b32 s1, s38
	s_cbranch_execnz .LBB53_33
.LBB53_29:                              ;   in Loop: Header=BB53_3 Depth=1
	s_or_b32 exec_lo, exec_lo, s1
	s_and_saveexec_b32 s38, s41
	s_cbranch_execnz .LBB53_34
	s_branch .LBB53_37
.LBB53_30:                              ;   in Loop: Header=BB53_3 Depth=1
	v_cmp_le_f32_e32 vcc_lo, 0, v40
	v_cmp_ge_f32_e64 s2, 1.0, v40
	s_delay_alu instid0(VALU_DEP_1) | instskip(NEXT) | instid1(SALU_CYCLE_1)
	s_and_b32 s2, vcc_lo, s2
	s_and_saveexec_b32 s43, s2
	s_delay_alu instid0(SALU_CYCLE_1)
	s_xor_b32 s2, exec_lo, s43
	s_cbranch_execz .LBB53_32
; %bb.31:                               ;   in Loop: Header=BB53_3 Depth=1
	v_add_co_u32 v21, vcc_lo, v10, s12
	v_add_co_ci_u32_e32 v19, vcc_lo, s13, v35, vcc_lo
	v_cvt_f32_u32_e32 v22, v18
	s_delay_alu instid0(VALU_DEP_3) | instskip(SKIP_1) | instid1(VALU_DEP_3)
	v_cndmask_b32_e64 v18, 0, v21, s1
	s_mov_b32 s41, exec_lo
	v_cndmask_b32_e64 v19, 0, v19, s1
	s_delay_alu instid0(VALU_DEP_3) | instskip(NEXT) | instid1(VALU_DEP_2)
	v_dual_fmaak_f32 v21, 0x2f800000, v22, 0x2f800000 :: v_dual_mov_b32 v22, s5
	v_lshlrev_b64 v[18:19], 3, v[18:19]
	s_delay_alu instid0(VALU_DEP_2) | instskip(SKIP_1) | instid1(VALU_DEP_3)
	v_cmp_le_f32_e32 vcc_lo, v21, v40
	v_cndmask_b32_e64 v21, 0, 1, vcc_lo
	v_add_co_u32 v18, vcc_lo, s6, v18
	s_delay_alu instid0(VALU_DEP_4)
	v_add_co_ci_u32_e32 v19, vcc_lo, s7, v19, vcc_lo
	global_store_b64 v[18:19], v[21:22], off
.LBB53_32:                              ;   in Loop: Header=BB53_3 Depth=1
	s_or_b32 exec_lo, exec_lo, s2
	s_delay_alu instid0(SALU_CYCLE_1)
	s_and_not1_b32 s2, s40, exec_lo
	s_or_b32 s40, s40, exec_lo
	s_and_not1_b32 s39, s39, exec_lo
	s_and_not1_b32 s4, s4, exec_lo
	s_and_b32 s41, s41, exec_lo
	s_and_not1_b32 s38, s38, exec_lo
	s_or_b32 exec_lo, exec_lo, s42
	s_and_saveexec_b32 s1, s38
	s_cbranch_execz .LBB53_29
.LBB53_33:                              ;   in Loop: Header=BB53_3 Depth=1
	v_cmp_eq_u32_e32 vcc_lo, 1, v20
	s_and_not1_b32 s38, s41, exec_lo
	s_mov_b32 s3, exec_lo
	s_and_not1_b32 s2, s2, exec_lo
	s_and_not1_b32 s40, s40, exec_lo
	s_and_b32 s41, vcc_lo, exec_lo
	s_and_not1_b32 s39, s39, exec_lo
	s_and_not1_b32 s4, s4, exec_lo
	s_or_b32 s41, s38, s41
	s_or_b32 exec_lo, exec_lo, s1
	s_and_saveexec_b32 s38, s41
	s_cbranch_execz .LBB53_37
.LBB53_34:                              ;   in Loop: Header=BB53_3 Depth=1
	v_cmp_le_f32_e32 vcc_lo, 0, v39
	v_cmp_ge_f32_e64 s1, 1.0, v39
	s_delay_alu instid0(VALU_DEP_1)
	s_and_b32 s42, vcc_lo, s1
	s_mov_b32 s1, 0
	s_and_saveexec_b32 s41, s42
	s_cbranch_execz .LBB53_36
; %bb.35:                               ;   in Loop: Header=BB53_3 Depth=1
	v_add_co_u32 v19, vcc_lo, v5, s12
	v_add_co_ci_u32_e32 v18, vcc_lo, s13, v6, vcc_lo
	v_cvt_f32_u32_e32 v20, v17
	s_delay_alu instid0(VALU_DEP_3) | instskip(SKIP_1) | instid1(VALU_DEP_3)
	v_cndmask_b32_e64 v17, 0, v19, s0
	s_mov_b32 s1, exec_lo
	v_cndmask_b32_e64 v18, 0, v18, s0
	s_delay_alu instid0(VALU_DEP_3) | instskip(NEXT) | instid1(VALU_DEP_2)
	v_dual_fmaak_f32 v19, 0x2f800000, v20, 0x2f800000 :: v_dual_mov_b32 v20, s5
	v_lshlrev_b64 v[17:18], 3, v[17:18]
	s_delay_alu instid0(VALU_DEP_2) | instskip(SKIP_1) | instid1(VALU_DEP_3)
	v_cmp_le_f32_e32 vcc_lo, v19, v39
	v_cndmask_b32_e64 v19, 0, 1, vcc_lo
	v_add_co_u32 v17, vcc_lo, s6, v17
	s_delay_alu instid0(VALU_DEP_4)
	v_add_co_ci_u32_e32 v18, vcc_lo, s7, v18, vcc_lo
	global_store_b64 v[17:18], v[19:20], off
.LBB53_36:                              ;   in Loop: Header=BB53_3 Depth=1
	s_or_b32 exec_lo, exec_lo, s41
	s_delay_alu instid0(SALU_CYCLE_1)
	s_and_not1_b32 s0, s3, exec_lo
	s_and_b32 s1, s1, exec_lo
	s_or_b32 s2, s2, exec_lo
	s_and_not1_b32 s40, s40, exec_lo
	s_and_not1_b32 s39, s39, exec_lo
	;; [unrolled: 1-line block ×3, first 2 shown]
	s_or_b32 s3, s0, s1
.LBB53_37:                              ;   in Loop: Header=BB53_3 Depth=1
	s_or_b32 exec_lo, exec_lo, s38
	s_delay_alu instid0(SALU_CYCLE_1)
	s_and_not1_b32 s1, s37, exec_lo
	s_and_b32 s2, s2, exec_lo
	s_and_not1_b32 s35, s35, exec_lo
	s_and_b32 s38, s40, exec_lo
	s_or_b32 s37, s1, s2
	s_and_not1_b32 s1, s36, exec_lo
	s_and_b32 s2, s39, exec_lo
	s_and_not1_b32 s34, s34, exec_lo
	s_and_b32 s4, s4, exec_lo
	s_mov_b32 s0, -1
	s_or_b32 s35, s35, s38
	s_or_b32 s36, s1, s2
	;; [unrolled: 1-line block ×3, first 2 shown]
	s_and_saveexec_b32 s1, s3
	s_cbranch_execz .LBB53_2
; %bb.38:                               ;   in Loop: Header=BB53_3 Depth=1
	v_add_co_u32 v2, vcc_lo, v2, s15
	v_add_co_ci_u32_e32 v3, vcc_lo, 0, v3, vcc_lo
	v_subrev_nc_u32_e32 v0, s15, v0
	s_add_u32 s12, s12, s25
	s_addc_u32 s13, s13, s24
	s_delay_alu instid0(VALU_DEP_2)
	v_cmp_le_u64_e32 vcc_lo, s[16:17], v[2:3]
	s_add_u32 s10, s10, s28
	s_addc_u32 s11, s11, s27
	s_and_not1_b32 s37, s37, exec_lo
	s_and_not1_b32 s35, s35, exec_lo
	;; [unrolled: 1-line block ×4, first 2 shown]
	s_or_not1_b32 s0, vcc_lo, exec_lo
	s_branch .LBB53_2
.LBB53_39:
	s_or_b32 exec_lo, exec_lo, s29
	s_xor_b32 s3, s31, -1
	s_xor_b32 s4, s33, -1
	;; [unrolled: 1-line block ×3, first 2 shown]
	s_mov_b32 s1, 0
	s_and_saveexec_b32 s2, s0
	s_delay_alu instid0(SALU_CYCLE_1)
	s_xor_b32 s0, exec_lo, s2
	s_cbranch_execz .LBB53_48
; %bb.40:
	s_mov_b32 s2, 0
	s_and_saveexec_b32 s1, s4
	s_delay_alu instid0(SALU_CYCLE_1)
	s_xor_b32 s1, exec_lo, s1
	s_cbranch_execz .LBB53_46
; %bb.41:
	s_and_saveexec_b32 s4, s3
	s_delay_alu instid0(SALU_CYCLE_1)
	s_xor_b32 s3, exec_lo, s4
	s_cbranch_execz .LBB53_44
; %bb.42:
	s_and_saveexec_b32 s4, s26
	s_delay_alu instid0(SALU_CYCLE_1)
	s_xor_b32 s4, exec_lo, s4
	s_cbranch_execnz .LBB53_62
.LBB53_43:
	s_or_b32 exec_lo, exec_lo, s4
	s_delay_alu instid0(SALU_CYCLE_1)
	s_and_b32 s2, s2, exec_lo
.LBB53_44:
	s_and_not1_saveexec_b32 s3, s3
	s_cbranch_execnz .LBB53_58
.LBB53_45:
	s_or_b32 exec_lo, exec_lo, s3
	s_delay_alu instid0(SALU_CYCLE_1)
	s_and_b32 s2, s2, exec_lo
.LBB53_46:
	s_and_not1_saveexec_b32 s1, s1
	s_cbranch_execnz .LBB53_54
.LBB53_47:
	s_or_b32 exec_lo, exec_lo, s1
	s_delay_alu instid0(SALU_CYCLE_1)
	s_and_b32 s1, s2, exec_lo
.LBB53_48:
	s_and_not1_saveexec_b32 s0, s0
	s_cbranch_execnz .LBB53_52
; %bb.49:
	s_or_b32 exec_lo, exec_lo, s0
	s_delay_alu instid0(SALU_CYCLE_1)
	s_and_b32 exec_lo, exec_lo, s1
.LBB53_50:
	; divergent unreachable
.LBB53_51:
	s_nop 0
	s_sendmsg sendmsg(MSG_DEALLOC_VGPRS)
	s_endpgm
.LBB53_52:
	s_cbranch_execnz .LBB53_56
; %bb.53:
	s_or_b32 s1, s1, exec_lo
	s_or_b32 exec_lo, exec_lo, s0
	s_delay_alu instid0(SALU_CYCLE_1)
	s_and_b32 exec_lo, exec_lo, s1
	s_cbranch_execnz .LBB53_50
	s_branch .LBB53_51
.LBB53_54:
	s_cbranch_execnz .LBB53_60
; %bb.55:
	s_or_b32 s2, s2, exec_lo
	s_branch .LBB53_47
.LBB53_56:
	s_trap 2
	s_sendmsg_rtn_b32 s0, sendmsg(MSG_RTN_GET_DOORBELL)
	s_mov_b32 ttmp2, m0
	s_waitcnt lgkmcnt(0)
	s_and_b32 s0, s0, 0x3ff
	s_delay_alu instid0(SALU_CYCLE_1) | instskip(NEXT) | instid1(SALU_CYCLE_1)
	s_bitset1_b32 s0, 10
	s_mov_b32 m0, s0
	s_sendmsg sendmsg(MSG_INTERRUPT)
	s_mov_b32 m0, ttmp2
.LBB53_57:                              ; =>This Inner Loop Header: Depth=1
	s_sethalt 5
	s_branch .LBB53_57
.LBB53_58:
	s_cbranch_execnz .LBB53_64
; %bb.59:
	s_or_b32 s2, s2, exec_lo
	s_branch .LBB53_45
.LBB53_60:
	s_trap 2
	s_sendmsg_rtn_b32 s0, sendmsg(MSG_RTN_GET_DOORBELL)
	s_mov_b32 ttmp2, m0
	s_waitcnt lgkmcnt(0)
	s_and_b32 s0, s0, 0x3ff
	s_delay_alu instid0(SALU_CYCLE_1) | instskip(NEXT) | instid1(SALU_CYCLE_1)
	s_bitset1_b32 s0, 10
	s_mov_b32 m0, s0
	s_sendmsg sendmsg(MSG_INTERRUPT)
	s_mov_b32 m0, ttmp2
.LBB53_61:                              ; =>This Inner Loop Header: Depth=1
	s_sethalt 5
	s_branch .LBB53_61
.LBB53_62:
	s_cbranch_execnz .LBB53_66
; %bb.63:
	s_mov_b32 s2, exec_lo
	s_branch .LBB53_43
.LBB53_64:
	s_trap 2
	s_sendmsg_rtn_b32 s0, sendmsg(MSG_RTN_GET_DOORBELL)
	s_mov_b32 ttmp2, m0
	s_waitcnt lgkmcnt(0)
	s_and_b32 s0, s0, 0x3ff
	s_delay_alu instid0(SALU_CYCLE_1) | instskip(NEXT) | instid1(SALU_CYCLE_1)
	s_bitset1_b32 s0, 10
	s_mov_b32 m0, s0
	s_sendmsg sendmsg(MSG_INTERRUPT)
	s_mov_b32 m0, ttmp2
.LBB53_65:                              ; =>This Inner Loop Header: Depth=1
	s_sethalt 5
	s_branch .LBB53_65
.LBB53_66:
	s_trap 2
	s_sendmsg_rtn_b32 s0, sendmsg(MSG_RTN_GET_DOORBELL)
	s_mov_b32 ttmp2, m0
	s_waitcnt lgkmcnt(0)
	s_and_b32 s0, s0, 0x3ff
	s_delay_alu instid0(SALU_CYCLE_1) | instskip(NEXT) | instid1(SALU_CYCLE_1)
	s_bitset1_b32 s0, 10
	s_mov_b32 m0, s0
	s_sendmsg sendmsg(MSG_INTERRUPT)
	s_mov_b32 m0, ttmp2
.LBB53_67:                              ; =>This Inner Loop Header: Depth=1
	s_sethalt 5
	s_branch .LBB53_67
	.section	.rodata,"a",@progbits
	.p2align	6, 0x0
	.amdhsa_kernel _ZN2at4cuda12_GLOBAL__N_121kernelPointwiseApply2IZNS_6native9templates4cuda28bernoulli_tensor_cuda_kernelIlfEEvRKNS_10TensorBaseES9_NS_15PhiloxCudaStateEEUliRlSB_SB_SB_RKfSD_SD_SD_E_lSC_mLi1ELi1ELi4ELi512ELi2EEEvNS0_6detail10TensorInfoIT0_T2_EENSG_IT1_SI_EESI_T_
		.amdhsa_group_segment_fixed_size 0
		.amdhsa_private_segment_fixed_size 0
		.amdhsa_kernarg_size 1128
		.amdhsa_user_sgpr_count 15
		.amdhsa_user_sgpr_dispatch_ptr 0
		.amdhsa_user_sgpr_queue_ptr 0
		.amdhsa_user_sgpr_kernarg_segment_ptr 1
		.amdhsa_user_sgpr_dispatch_id 0
		.amdhsa_user_sgpr_private_segment_size 0
		.amdhsa_wavefront_size32 1
		.amdhsa_uses_dynamic_stack 0
		.amdhsa_enable_private_segment 0
		.amdhsa_system_sgpr_workgroup_id_x 1
		.amdhsa_system_sgpr_workgroup_id_y 0
		.amdhsa_system_sgpr_workgroup_id_z 0
		.amdhsa_system_sgpr_workgroup_info 0
		.amdhsa_system_vgpr_workitem_id 0
		.amdhsa_next_free_vgpr 51
		.amdhsa_next_free_sgpr 44
		.amdhsa_reserve_vcc 1
		.amdhsa_float_round_mode_32 0
		.amdhsa_float_round_mode_16_64 0
		.amdhsa_float_denorm_mode_32 3
		.amdhsa_float_denorm_mode_16_64 3
		.amdhsa_dx10_clamp 1
		.amdhsa_ieee_mode 1
		.amdhsa_fp16_overflow 0
		.amdhsa_workgroup_processor_mode 1
		.amdhsa_memory_ordered 1
		.amdhsa_forward_progress 0
		.amdhsa_shared_vgpr_count 0
		.amdhsa_exception_fp_ieee_invalid_op 0
		.amdhsa_exception_fp_denorm_src 0
		.amdhsa_exception_fp_ieee_div_zero 0
		.amdhsa_exception_fp_ieee_overflow 0
		.amdhsa_exception_fp_ieee_underflow 0
		.amdhsa_exception_fp_ieee_inexact 0
		.amdhsa_exception_int_div_zero 0
	.end_amdhsa_kernel
	.section	.text._ZN2at4cuda12_GLOBAL__N_121kernelPointwiseApply2IZNS_6native9templates4cuda28bernoulli_tensor_cuda_kernelIlfEEvRKNS_10TensorBaseES9_NS_15PhiloxCudaStateEEUliRlSB_SB_SB_RKfSD_SD_SD_E_lSC_mLi1ELi1ELi4ELi512ELi2EEEvNS0_6detail10TensorInfoIT0_T2_EENSG_IT1_SI_EESI_T_,"axG",@progbits,_ZN2at4cuda12_GLOBAL__N_121kernelPointwiseApply2IZNS_6native9templates4cuda28bernoulli_tensor_cuda_kernelIlfEEvRKNS_10TensorBaseES9_NS_15PhiloxCudaStateEEUliRlSB_SB_SB_RKfSD_SD_SD_E_lSC_mLi1ELi1ELi4ELi512ELi2EEEvNS0_6detail10TensorInfoIT0_T2_EENSG_IT1_SI_EESI_T_,comdat
.Lfunc_end53:
	.size	_ZN2at4cuda12_GLOBAL__N_121kernelPointwiseApply2IZNS_6native9templates4cuda28bernoulli_tensor_cuda_kernelIlfEEvRKNS_10TensorBaseES9_NS_15PhiloxCudaStateEEUliRlSB_SB_SB_RKfSD_SD_SD_E_lSC_mLi1ELi1ELi4ELi512ELi2EEEvNS0_6detail10TensorInfoIT0_T2_EENSG_IT1_SI_EESI_T_, .Lfunc_end53-_ZN2at4cuda12_GLOBAL__N_121kernelPointwiseApply2IZNS_6native9templates4cuda28bernoulli_tensor_cuda_kernelIlfEEvRKNS_10TensorBaseES9_NS_15PhiloxCudaStateEEUliRlSB_SB_SB_RKfSD_SD_SD_E_lSC_mLi1ELi1ELi4ELi512ELi2EEEvNS0_6detail10TensorInfoIT0_T2_EENSG_IT1_SI_EESI_T_
                                        ; -- End function
	.section	.AMDGPU.csdata,"",@progbits
; Kernel info:
; codeLenInByte = 3548
; NumSgprs: 46
; NumVgprs: 51
; ScratchSize: 0
; MemoryBound: 0
; FloatMode: 240
; IeeeMode: 1
; LDSByteSize: 0 bytes/workgroup (compile time only)
; SGPRBlocks: 5
; VGPRBlocks: 6
; NumSGPRsForWavesPerEU: 46
; NumVGPRsForWavesPerEU: 51
; Occupancy: 16
; WaveLimiterHint : 1
; COMPUTE_PGM_RSRC2:SCRATCH_EN: 0
; COMPUTE_PGM_RSRC2:USER_SGPR: 15
; COMPUTE_PGM_RSRC2:TRAP_HANDLER: 0
; COMPUTE_PGM_RSRC2:TGID_X_EN: 1
; COMPUTE_PGM_RSRC2:TGID_Y_EN: 0
; COMPUTE_PGM_RSRC2:TGID_Z_EN: 0
; COMPUTE_PGM_RSRC2:TIDIG_COMP_CNT: 0
	.section	.text._ZN2at4cuda12_GLOBAL__N_121kernelPointwiseApply2IZNS_6native9templates4cuda28bernoulli_tensor_cuda_kernelIlfEEvRKNS_10TensorBaseES9_NS_15PhiloxCudaStateEEUliRlSB_SB_SB_RKfSD_SD_SD_E_lSC_mLin1ELin1ELi4ELi512ELi2EEEvNS0_6detail10TensorInfoIT0_T2_EENSG_IT1_SI_EESI_T_,"axG",@progbits,_ZN2at4cuda12_GLOBAL__N_121kernelPointwiseApply2IZNS_6native9templates4cuda28bernoulli_tensor_cuda_kernelIlfEEvRKNS_10TensorBaseES9_NS_15PhiloxCudaStateEEUliRlSB_SB_SB_RKfSD_SD_SD_E_lSC_mLin1ELin1ELi4ELi512ELi2EEEvNS0_6detail10TensorInfoIT0_T2_EENSG_IT1_SI_EESI_T_,comdat
	.globl	_ZN2at4cuda12_GLOBAL__N_121kernelPointwiseApply2IZNS_6native9templates4cuda28bernoulli_tensor_cuda_kernelIlfEEvRKNS_10TensorBaseES9_NS_15PhiloxCudaStateEEUliRlSB_SB_SB_RKfSD_SD_SD_E_lSC_mLin1ELin1ELi4ELi512ELi2EEEvNS0_6detail10TensorInfoIT0_T2_EENSG_IT1_SI_EESI_T_ ; -- Begin function _ZN2at4cuda12_GLOBAL__N_121kernelPointwiseApply2IZNS_6native9templates4cuda28bernoulli_tensor_cuda_kernelIlfEEvRKNS_10TensorBaseES9_NS_15PhiloxCudaStateEEUliRlSB_SB_SB_RKfSD_SD_SD_E_lSC_mLin1ELin1ELi4ELi512ELi2EEEvNS0_6detail10TensorInfoIT0_T2_EENSG_IT1_SI_EESI_T_
	.p2align	8
	.type	_ZN2at4cuda12_GLOBAL__N_121kernelPointwiseApply2IZNS_6native9templates4cuda28bernoulli_tensor_cuda_kernelIlfEEvRKNS_10TensorBaseES9_NS_15PhiloxCudaStateEEUliRlSB_SB_SB_RKfSD_SD_SD_E_lSC_mLin1ELin1ELi4ELi512ELi2EEEvNS0_6detail10TensorInfoIT0_T2_EENSG_IT1_SI_EESI_T_,@function
_ZN2at4cuda12_GLOBAL__N_121kernelPointwiseApply2IZNS_6native9templates4cuda28bernoulli_tensor_cuda_kernelIlfEEvRKNS_10TensorBaseES9_NS_15PhiloxCudaStateEEUliRlSB_SB_SB_RKfSD_SD_SD_E_lSC_mLin1ELin1ELi4ELi512ELi2EEEvNS0_6detail10TensorInfoIT0_T2_EENSG_IT1_SI_EESI_T_: ; @_ZN2at4cuda12_GLOBAL__N_121kernelPointwiseApply2IZNS_6native9templates4cuda28bernoulli_tensor_cuda_kernelIlfEEvRKNS_10TensorBaseES9_NS_15PhiloxCudaStateEEUliRlSB_SB_SB_RKfSD_SD_SD_E_lSC_mLin1ELin1ELi4ELi512ELi2EEEvNS0_6detail10TensorInfoIT0_T2_EENSG_IT1_SI_EESI_T_
; %bb.0:
	s_clause 0x1
	s_load_b32 s12, s[0:1], 0x374
	s_load_b256 s[4:11], s[0:1], 0x340
	s_add_u32 s2, s0, 0x368
	s_addc_u32 s3, s1, 0
	s_waitcnt lgkmcnt(0)
	s_and_b32 s18, s12, 0xffff
	s_mov_b32 s12, exec_lo
	v_mad_u64_u32 v[1:2], null, s15, s18, v[0:1]
	v_mov_b32_e32 v2, 0
	s_delay_alu instid0(VALU_DEP_1) | instskip(NEXT) | instid1(VALU_DEP_1)
	v_dual_mov_b32 v5, v2 :: v_dual_lshlrev_b32 v4, 2, v1
	v_cmpx_gt_u64_e64 s[4:5], v[4:5]
	s_cbranch_execz .LBB54_122
; %bb.1:
	s_clause 0x2
	s_load_b32 s22, s[0:1], 0x198
	s_load_b32 s23, s[0:1], 0x338
	;; [unrolled: 1-line block ×4, first 2 shown]
	s_add_u32 s24, s0, 0x1a0
	s_addc_u32 s25, s1, 0
	s_clause 0x3
	s_load_b64 s[2:3], s[0:1], 0x270
	s_load_b64 s[12:13], s[0:1], 0x1a0
	;; [unrolled: 1-line block ×4, first 2 shown]
	s_mov_b32 s19, 0
	v_mad_u64_u32 v[6:7], null, 0xcd9e8d57, v1, 0
	s_mov_b32 s35, 0
                                        ; implicit-def: $sgpr36
                                        ; implicit-def: $sgpr38
                                        ; implicit-def: $sgpr37
                                        ; implicit-def: $sgpr39
                                        ; implicit-def: $sgpr41
                                        ; implicit-def: $sgpr40
                                        ; implicit-def: $sgpr42
	s_delay_alu instid0(VALU_DEP_1)
	v_mov_b32_e32 v0, v7
	s_waitcnt lgkmcnt(0)
	s_cmp_gt_i32 s22, 1
	s_cselect_b32 s28, -1, 0
	s_cmp_gt_i32 s23, 1
	s_mul_i32 s21, s21, s18
	s_cselect_b32 s29, -1, 0
	s_bitcmp1_b32 s20, 0
	s_cselect_b32 s30, -1, 0
	s_add_i32 s18, s22, -1
	s_lshl_b32 s31, s21, 2
	s_lshl_b64 s[20:21], s[18:19], 3
	s_add_i32 s33, s22, 1
	s_add_u32 s0, s20, s0
	s_addc_u32 s1, s21, s1
	s_add_u32 s20, s0, 8
	s_addc_u32 s21, s1, 0
	s_add_i32 s18, s23, -1
	s_add_i32 s34, s23, 1
	s_lshl_b64 s[0:1], s[18:19], 3
                                        ; implicit-def: $sgpr18
	s_delay_alu instid0(SALU_CYCLE_1)
	s_add_u32 s0, s0, s24
	s_addc_u32 s1, s1, s25
	s_add_u32 s22, s0, 8
	s_addc_u32 s23, s1, 0
	s_branch .LBB54_3
.LBB54_2:                               ;   in Loop: Header=BB54_3 Depth=1
	s_or_b32 exec_lo, exec_lo, s1
	s_delay_alu instid0(SALU_CYCLE_1) | instskip(NEXT) | instid1(SALU_CYCLE_1)
	s_and_b32 s0, exec_lo, s0
	s_or_b32 s35, s0, s35
	s_and_not1_b32 s0, s18, exec_lo
	s_and_b32 s1, s42, exec_lo
	s_and_not1_b32 s24, s37, exec_lo
	s_and_b32 s25, s40, exec_lo
	s_or_b32 s18, s0, s1
	s_or_b32 s37, s24, s25
	s_and_not1_b32 s0, s38, exec_lo
	s_and_b32 s1, s41, exec_lo
	s_and_not1_b32 s24, s36, exec_lo
	s_and_b32 s25, s39, exec_lo
	s_or_b32 s38, s0, s1
	s_or_b32 s36, s24, s25
	s_and_not1_b32 exec_lo, exec_lo, s35
	s_cbranch_execz .LBB54_110
.LBB54_3:                               ; =>This Loop Header: Depth=1
                                        ;     Child Loop BB54_5 Depth 2
                                        ;     Child Loop BB54_14 Depth 2
	;; [unrolled: 1-line block ×8, first 2 shown]
	v_sub_nc_u32_e32 v32, s4, v4
	v_mov_b32_e32 v7, 0
	v_mov_b32_e32 v8, 0
	s_delay_alu instid0(VALU_DEP_3) | instskip(NEXT) | instid1(VALU_DEP_1)
	v_cmp_lt_i32_e64 s0, 0, v32
	s_and_saveexec_b32 s43, s0
	s_cbranch_execz .LBB54_12
; %bb.4:                                ;   in Loop: Header=BB54_3 Depth=1
	v_dual_mov_b32 v9, 0 :: v_dual_mov_b32 v8, v5
	v_dual_mov_b32 v10, 0 :: v_dual_mov_b32 v7, v4
	v_dual_mov_b32 v12, v5 :: v_dual_mov_b32 v11, v4
	s_and_not1_b32 vcc_lo, exec_lo, s28
	s_mov_b64 s[24:25], s[20:21]
	s_mov_b32 s44, s33
	s_cbranch_vccnz .LBB54_11
.LBB54_5:                               ;   Parent Loop BB54_3 Depth=1
                                        ; =>  This Inner Loop Header: Depth=2
	s_load_b64 s[26:27], s[24:25], 0x0
                                        ; implicit-def: $vgpr11_vgpr12
	s_mov_b32 s1, exec_lo
	s_waitcnt lgkmcnt(0)
	v_or_b32_e32 v3, s27, v8
	s_delay_alu instid0(VALU_DEP_1)
	v_cmpx_ne_u64_e32 0, v[2:3]
	s_xor_b32 s45, exec_lo, s1
	s_cbranch_execz .LBB54_7
; %bb.6:                                ;   in Loop: Header=BB54_5 Depth=2
	v_cvt_f32_u32_e32 v3, s26
	v_cvt_f32_u32_e32 v11, s27
	s_sub_u32 s1, 0, s26
	s_subb_u32 s46, 0, s27
	s_delay_alu instid0(VALU_DEP_1) | instskip(NEXT) | instid1(VALU_DEP_1)
	v_fmac_f32_e32 v3, 0x4f800000, v11
	v_rcp_f32_e32 v3, v3
	s_waitcnt_depctr 0xfff
	v_mul_f32_e32 v3, 0x5f7ffffc, v3
	s_delay_alu instid0(VALU_DEP_1) | instskip(NEXT) | instid1(VALU_DEP_1)
	v_mul_f32_e32 v11, 0x2f800000, v3
	v_trunc_f32_e32 v11, v11
	s_delay_alu instid0(VALU_DEP_1) | instskip(SKIP_1) | instid1(VALU_DEP_2)
	v_fmac_f32_e32 v3, 0xcf800000, v11
	v_cvt_u32_f32_e32 v11, v11
	v_cvt_u32_f32_e32 v3, v3
	s_delay_alu instid0(VALU_DEP_2) | instskip(NEXT) | instid1(VALU_DEP_2)
	v_mul_lo_u32 v12, s1, v11
	v_mul_hi_u32 v13, s1, v3
	v_mul_lo_u32 v14, s46, v3
	s_delay_alu instid0(VALU_DEP_2) | instskip(SKIP_1) | instid1(VALU_DEP_2)
	v_add_nc_u32_e32 v12, v13, v12
	v_mul_lo_u32 v13, s1, v3
	v_add_nc_u32_e32 v12, v12, v14
	s_delay_alu instid0(VALU_DEP_2) | instskip(NEXT) | instid1(VALU_DEP_2)
	v_mul_hi_u32 v14, v3, v13
	v_mul_lo_u32 v15, v3, v12
	v_mul_hi_u32 v16, v3, v12
	v_mul_hi_u32 v17, v11, v13
	v_mul_lo_u32 v13, v11, v13
	v_mul_hi_u32 v18, v11, v12
	v_mul_lo_u32 v12, v11, v12
	v_add_co_u32 v14, vcc_lo, v14, v15
	v_add_co_ci_u32_e32 v15, vcc_lo, 0, v16, vcc_lo
	s_delay_alu instid0(VALU_DEP_2) | instskip(NEXT) | instid1(VALU_DEP_2)
	v_add_co_u32 v13, vcc_lo, v14, v13
	v_add_co_ci_u32_e32 v13, vcc_lo, v15, v17, vcc_lo
	v_add_co_ci_u32_e32 v14, vcc_lo, 0, v18, vcc_lo
	s_delay_alu instid0(VALU_DEP_2) | instskip(NEXT) | instid1(VALU_DEP_2)
	v_add_co_u32 v12, vcc_lo, v13, v12
	v_add_co_ci_u32_e32 v13, vcc_lo, 0, v14, vcc_lo
	s_delay_alu instid0(VALU_DEP_2) | instskip(NEXT) | instid1(VALU_DEP_2)
	v_add_co_u32 v3, vcc_lo, v3, v12
	v_add_co_ci_u32_e32 v11, vcc_lo, v11, v13, vcc_lo
	s_delay_alu instid0(VALU_DEP_2) | instskip(SKIP_1) | instid1(VALU_DEP_3)
	v_mul_hi_u32 v12, s1, v3
	v_mul_lo_u32 v14, s46, v3
	v_mul_lo_u32 v13, s1, v11
	s_delay_alu instid0(VALU_DEP_1) | instskip(SKIP_1) | instid1(VALU_DEP_2)
	v_add_nc_u32_e32 v12, v12, v13
	v_mul_lo_u32 v13, s1, v3
	v_add_nc_u32_e32 v12, v12, v14
	s_delay_alu instid0(VALU_DEP_2) | instskip(NEXT) | instid1(VALU_DEP_2)
	v_mul_hi_u32 v14, v3, v13
	v_mul_lo_u32 v15, v3, v12
	v_mul_hi_u32 v16, v3, v12
	v_mul_hi_u32 v17, v11, v13
	v_mul_lo_u32 v13, v11, v13
	v_mul_hi_u32 v18, v11, v12
	v_mul_lo_u32 v12, v11, v12
	v_add_co_u32 v14, vcc_lo, v14, v15
	v_add_co_ci_u32_e32 v15, vcc_lo, 0, v16, vcc_lo
	s_delay_alu instid0(VALU_DEP_2) | instskip(NEXT) | instid1(VALU_DEP_2)
	v_add_co_u32 v13, vcc_lo, v14, v13
	v_add_co_ci_u32_e32 v13, vcc_lo, v15, v17, vcc_lo
	v_add_co_ci_u32_e32 v14, vcc_lo, 0, v18, vcc_lo
	s_delay_alu instid0(VALU_DEP_2) | instskip(NEXT) | instid1(VALU_DEP_2)
	v_add_co_u32 v12, vcc_lo, v13, v12
	v_add_co_ci_u32_e32 v13, vcc_lo, 0, v14, vcc_lo
	s_delay_alu instid0(VALU_DEP_2) | instskip(NEXT) | instid1(VALU_DEP_2)
	v_add_co_u32 v3, vcc_lo, v3, v12
	v_add_co_ci_u32_e32 v17, vcc_lo, v11, v13, vcc_lo
	s_delay_alu instid0(VALU_DEP_2) | instskip(SKIP_1) | instid1(VALU_DEP_3)
	v_mul_hi_u32 v18, v7, v3
	v_mad_u64_u32 v[13:14], null, v8, v3, 0
	v_mad_u64_u32 v[11:12], null, v7, v17, 0
	;; [unrolled: 1-line block ×3, first 2 shown]
	s_delay_alu instid0(VALU_DEP_2) | instskip(NEXT) | instid1(VALU_DEP_3)
	v_add_co_u32 v3, vcc_lo, v18, v11
	v_add_co_ci_u32_e32 v11, vcc_lo, 0, v12, vcc_lo
	s_delay_alu instid0(VALU_DEP_2) | instskip(NEXT) | instid1(VALU_DEP_2)
	v_add_co_u32 v3, vcc_lo, v3, v13
	v_add_co_ci_u32_e32 v3, vcc_lo, v11, v14, vcc_lo
	v_add_co_ci_u32_e32 v11, vcc_lo, 0, v16, vcc_lo
	s_delay_alu instid0(VALU_DEP_2) | instskip(NEXT) | instid1(VALU_DEP_2)
	v_add_co_u32 v3, vcc_lo, v3, v15
	v_add_co_ci_u32_e32 v13, vcc_lo, 0, v11, vcc_lo
	s_delay_alu instid0(VALU_DEP_2) | instskip(SKIP_1) | instid1(VALU_DEP_3)
	v_mul_lo_u32 v14, s27, v3
	v_mad_u64_u32 v[11:12], null, s26, v3, 0
	v_mul_lo_u32 v15, s26, v13
	s_delay_alu instid0(VALU_DEP_2) | instskip(NEXT) | instid1(VALU_DEP_2)
	v_sub_co_u32 v11, vcc_lo, v7, v11
	v_add3_u32 v12, v12, v15, v14
	s_delay_alu instid0(VALU_DEP_1) | instskip(NEXT) | instid1(VALU_DEP_1)
	v_sub_nc_u32_e32 v14, v8, v12
	v_subrev_co_ci_u32_e64 v14, s1, s27, v14, vcc_lo
	v_add_co_u32 v15, s1, v3, 2
	s_delay_alu instid0(VALU_DEP_1) | instskip(SKIP_3) | instid1(VALU_DEP_3)
	v_add_co_ci_u32_e64 v16, s1, 0, v13, s1
	v_sub_co_u32 v17, s1, v11, s26
	v_sub_co_ci_u32_e32 v12, vcc_lo, v8, v12, vcc_lo
	v_subrev_co_ci_u32_e64 v14, s1, 0, v14, s1
	v_cmp_le_u32_e32 vcc_lo, s26, v17
	s_delay_alu instid0(VALU_DEP_3) | instskip(SKIP_1) | instid1(VALU_DEP_4)
	v_cmp_eq_u32_e64 s1, s27, v12
	v_cndmask_b32_e64 v17, 0, -1, vcc_lo
	v_cmp_le_u32_e32 vcc_lo, s27, v14
	v_cndmask_b32_e64 v18, 0, -1, vcc_lo
	v_cmp_le_u32_e32 vcc_lo, s26, v11
	;; [unrolled: 2-line block ×3, first 2 shown]
	v_cndmask_b32_e64 v19, 0, -1, vcc_lo
	v_cmp_eq_u32_e32 vcc_lo, s27, v14
	s_delay_alu instid0(VALU_DEP_2) | instskip(SKIP_3) | instid1(VALU_DEP_3)
	v_cndmask_b32_e64 v11, v19, v11, s1
	v_cndmask_b32_e32 v14, v18, v17, vcc_lo
	v_add_co_u32 v17, vcc_lo, v3, 1
	v_add_co_ci_u32_e32 v18, vcc_lo, 0, v13, vcc_lo
	v_cmp_ne_u32_e32 vcc_lo, 0, v14
	s_delay_alu instid0(VALU_DEP_3) | instskip(NEXT) | instid1(VALU_DEP_3)
	v_cndmask_b32_e32 v14, v17, v15, vcc_lo
	v_cndmask_b32_e32 v12, v18, v16, vcc_lo
	v_cmp_ne_u32_e32 vcc_lo, 0, v11
	s_delay_alu instid0(VALU_DEP_2)
	v_dual_cndmask_b32 v11, v3, v14 :: v_dual_cndmask_b32 v12, v13, v12
.LBB54_7:                               ;   in Loop: Header=BB54_5 Depth=2
	s_and_not1_saveexec_b32 s1, s45
	s_cbranch_execz .LBB54_9
; %bb.8:                                ;   in Loop: Header=BB54_5 Depth=2
	v_cvt_f32_u32_e32 v3, s26
	s_sub_i32 s45, 0, s26
	s_delay_alu instid0(VALU_DEP_1) | instskip(SKIP_2) | instid1(VALU_DEP_1)
	v_rcp_iflag_f32_e32 v3, v3
	s_waitcnt_depctr 0xfff
	v_mul_f32_e32 v3, 0x4f7ffffe, v3
	v_cvt_u32_f32_e32 v3, v3
	s_delay_alu instid0(VALU_DEP_1) | instskip(NEXT) | instid1(VALU_DEP_1)
	v_mul_lo_u32 v11, s45, v3
	v_mul_hi_u32 v11, v3, v11
	s_delay_alu instid0(VALU_DEP_1) | instskip(NEXT) | instid1(VALU_DEP_1)
	v_add_nc_u32_e32 v3, v3, v11
	v_mul_hi_u32 v3, v7, v3
	s_delay_alu instid0(VALU_DEP_1) | instskip(NEXT) | instid1(VALU_DEP_1)
	v_mul_lo_u32 v11, v3, s26
	v_sub_nc_u32_e32 v11, v7, v11
	s_delay_alu instid0(VALU_DEP_1) | instskip(SKIP_1) | instid1(VALU_DEP_2)
	v_subrev_nc_u32_e32 v13, s26, v11
	v_cmp_le_u32_e32 vcc_lo, s26, v11
	v_dual_cndmask_b32 v11, v11, v13 :: v_dual_add_nc_u32 v12, 1, v3
	s_delay_alu instid0(VALU_DEP_1) | instskip(NEXT) | instid1(VALU_DEP_2)
	v_cndmask_b32_e32 v3, v3, v12, vcc_lo
	v_cmp_le_u32_e32 vcc_lo, s26, v11
	s_delay_alu instid0(VALU_DEP_2) | instskip(NEXT) | instid1(VALU_DEP_1)
	v_add_nc_u32_e32 v12, 1, v3
	v_dual_cndmask_b32 v11, v3, v12 :: v_dual_mov_b32 v12, v2
.LBB54_9:                               ;   in Loop: Header=BB54_5 Depth=2
	s_or_b32 exec_lo, exec_lo, s1
	s_load_b64 s[46:47], s[24:25], 0xc8
	s_delay_alu instid0(VALU_DEP_1) | instskip(NEXT) | instid1(VALU_DEP_2)
	v_mul_lo_u32 v3, v12, s26
	v_mul_lo_u32 v15, v11, s27
	v_mad_u64_u32 v[13:14], null, v11, s26, 0
	s_add_i32 s44, s44, -1
	s_add_u32 s24, s24, -8
	s_addc_u32 s25, s25, -1
	s_cmp_gt_u32 s44, 2
	s_delay_alu instid0(VALU_DEP_1) | instskip(NEXT) | instid1(VALU_DEP_2)
	v_add3_u32 v3, v14, v15, v3
	v_sub_co_u32 v13, vcc_lo, v7, v13
	s_delay_alu instid0(VALU_DEP_2) | instskip(SKIP_1) | instid1(VALU_DEP_2)
	v_sub_co_ci_u32_e32 v3, vcc_lo, v8, v3, vcc_lo
	s_waitcnt lgkmcnt(0)
	v_mul_lo_u32 v14, s47, v13
	s_delay_alu instid0(VALU_DEP_2) | instskip(SKIP_1) | instid1(VALU_DEP_1)
	v_mul_lo_u32 v3, s46, v3
	v_mad_u64_u32 v[7:8], null, s46, v13, v[9:10]
	v_add3_u32 v10, v14, v8, v3
	s_delay_alu instid0(VALU_DEP_2)
	v_mov_b32_e32 v9, v7
	s_cbranch_scc0 .LBB54_11
; %bb.10:                               ;   in Loop: Header=BB54_5 Depth=2
	v_dual_mov_b32 v7, v11 :: v_dual_mov_b32 v8, v12
	s_branch .LBB54_5
.LBB54_11:                              ;   in Loop: Header=BB54_3 Depth=1
	s_delay_alu instid0(VALU_DEP_1) | instskip(SKIP_2) | instid1(VALU_DEP_1)
	v_mad_u64_u32 v[7:8], null, s14, v11, v[9:10]
	v_mul_lo_u32 v3, s14, v12
	v_mul_lo_u32 v9, s15, v11
	v_add3_u32 v8, v9, v8, v3
.LBB54_12:                              ;   in Loop: Header=BB54_3 Depth=1
	s_or_b32 exec_lo, exec_lo, s43
	v_mov_b32_e32 v11, 0
	v_mov_b32_e32 v12, 0
	s_and_saveexec_b32 s1, s0
	s_cbranch_execz .LBB54_21
; %bb.13:                               ;   in Loop: Header=BB54_3 Depth=1
	v_dual_mov_b32 v9, 0 :: v_dual_mov_b32 v12, v5
	v_dual_mov_b32 v10, 0 :: v_dual_mov_b32 v11, v4
	;; [unrolled: 1-line block ×3, first 2 shown]
	s_and_not1_b32 vcc_lo, exec_lo, s29
	s_mov_b64 s[24:25], s[22:23]
	s_mov_b32 s43, s34
	s_cbranch_vccnz .LBB54_20
.LBB54_14:                              ;   Parent Loop BB54_3 Depth=1
                                        ; =>  This Inner Loop Header: Depth=2
	s_load_b64 s[26:27], s[24:25], 0x0
                                        ; implicit-def: $vgpr13_vgpr14
	s_mov_b32 s0, exec_lo
	s_waitcnt lgkmcnt(0)
	v_or_b32_e32 v3, s27, v12
	s_delay_alu instid0(VALU_DEP_1)
	v_cmpx_ne_u64_e32 0, v[2:3]
	s_xor_b32 s44, exec_lo, s0
	s_cbranch_execz .LBB54_16
; %bb.15:                               ;   in Loop: Header=BB54_14 Depth=2
	v_cvt_f32_u32_e32 v3, s26
	v_cvt_f32_u32_e32 v13, s27
	s_sub_u32 s0, 0, s26
	s_subb_u32 s45, 0, s27
	s_delay_alu instid0(VALU_DEP_1) | instskip(NEXT) | instid1(VALU_DEP_1)
	v_fmac_f32_e32 v3, 0x4f800000, v13
	v_rcp_f32_e32 v3, v3
	s_waitcnt_depctr 0xfff
	v_mul_f32_e32 v3, 0x5f7ffffc, v3
	s_delay_alu instid0(VALU_DEP_1) | instskip(NEXT) | instid1(VALU_DEP_1)
	v_mul_f32_e32 v13, 0x2f800000, v3
	v_trunc_f32_e32 v13, v13
	s_delay_alu instid0(VALU_DEP_1) | instskip(SKIP_1) | instid1(VALU_DEP_2)
	v_fmac_f32_e32 v3, 0xcf800000, v13
	v_cvt_u32_f32_e32 v13, v13
	v_cvt_u32_f32_e32 v3, v3
	s_delay_alu instid0(VALU_DEP_2) | instskip(NEXT) | instid1(VALU_DEP_2)
	v_mul_lo_u32 v14, s0, v13
	v_mul_hi_u32 v15, s0, v3
	v_mul_lo_u32 v16, s45, v3
	s_delay_alu instid0(VALU_DEP_2) | instskip(SKIP_1) | instid1(VALU_DEP_2)
	v_add_nc_u32_e32 v14, v15, v14
	v_mul_lo_u32 v15, s0, v3
	v_add_nc_u32_e32 v14, v14, v16
	s_delay_alu instid0(VALU_DEP_2) | instskip(NEXT) | instid1(VALU_DEP_2)
	v_mul_hi_u32 v16, v3, v15
	v_mul_lo_u32 v17, v3, v14
	v_mul_hi_u32 v18, v3, v14
	v_mul_hi_u32 v19, v13, v15
	v_mul_lo_u32 v15, v13, v15
	v_mul_hi_u32 v20, v13, v14
	v_mul_lo_u32 v14, v13, v14
	v_add_co_u32 v16, vcc_lo, v16, v17
	v_add_co_ci_u32_e32 v17, vcc_lo, 0, v18, vcc_lo
	s_delay_alu instid0(VALU_DEP_2) | instskip(NEXT) | instid1(VALU_DEP_2)
	v_add_co_u32 v15, vcc_lo, v16, v15
	v_add_co_ci_u32_e32 v15, vcc_lo, v17, v19, vcc_lo
	v_add_co_ci_u32_e32 v16, vcc_lo, 0, v20, vcc_lo
	s_delay_alu instid0(VALU_DEP_2) | instskip(NEXT) | instid1(VALU_DEP_2)
	v_add_co_u32 v14, vcc_lo, v15, v14
	v_add_co_ci_u32_e32 v15, vcc_lo, 0, v16, vcc_lo
	s_delay_alu instid0(VALU_DEP_2) | instskip(NEXT) | instid1(VALU_DEP_2)
	v_add_co_u32 v3, vcc_lo, v3, v14
	v_add_co_ci_u32_e32 v13, vcc_lo, v13, v15, vcc_lo
	s_delay_alu instid0(VALU_DEP_2) | instskip(SKIP_1) | instid1(VALU_DEP_3)
	v_mul_hi_u32 v14, s0, v3
	v_mul_lo_u32 v16, s45, v3
	v_mul_lo_u32 v15, s0, v13
	s_delay_alu instid0(VALU_DEP_1) | instskip(SKIP_1) | instid1(VALU_DEP_2)
	v_add_nc_u32_e32 v14, v14, v15
	v_mul_lo_u32 v15, s0, v3
	v_add_nc_u32_e32 v14, v14, v16
	s_delay_alu instid0(VALU_DEP_2) | instskip(NEXT) | instid1(VALU_DEP_2)
	v_mul_hi_u32 v16, v3, v15
	v_mul_lo_u32 v17, v3, v14
	v_mul_hi_u32 v18, v3, v14
	v_mul_hi_u32 v19, v13, v15
	v_mul_lo_u32 v15, v13, v15
	v_mul_hi_u32 v20, v13, v14
	v_mul_lo_u32 v14, v13, v14
	v_add_co_u32 v16, vcc_lo, v16, v17
	v_add_co_ci_u32_e32 v17, vcc_lo, 0, v18, vcc_lo
	s_delay_alu instid0(VALU_DEP_2) | instskip(NEXT) | instid1(VALU_DEP_2)
	v_add_co_u32 v15, vcc_lo, v16, v15
	v_add_co_ci_u32_e32 v15, vcc_lo, v17, v19, vcc_lo
	v_add_co_ci_u32_e32 v16, vcc_lo, 0, v20, vcc_lo
	s_delay_alu instid0(VALU_DEP_2) | instskip(NEXT) | instid1(VALU_DEP_2)
	v_add_co_u32 v14, vcc_lo, v15, v14
	v_add_co_ci_u32_e32 v15, vcc_lo, 0, v16, vcc_lo
	s_delay_alu instid0(VALU_DEP_2) | instskip(NEXT) | instid1(VALU_DEP_2)
	v_add_co_u32 v3, vcc_lo, v3, v14
	v_add_co_ci_u32_e32 v19, vcc_lo, v13, v15, vcc_lo
	s_delay_alu instid0(VALU_DEP_2) | instskip(SKIP_1) | instid1(VALU_DEP_3)
	v_mul_hi_u32 v20, v11, v3
	v_mad_u64_u32 v[15:16], null, v12, v3, 0
	v_mad_u64_u32 v[13:14], null, v11, v19, 0
	;; [unrolled: 1-line block ×3, first 2 shown]
	s_delay_alu instid0(VALU_DEP_2) | instskip(NEXT) | instid1(VALU_DEP_3)
	v_add_co_u32 v3, vcc_lo, v20, v13
	v_add_co_ci_u32_e32 v13, vcc_lo, 0, v14, vcc_lo
	s_delay_alu instid0(VALU_DEP_2) | instskip(NEXT) | instid1(VALU_DEP_2)
	v_add_co_u32 v3, vcc_lo, v3, v15
	v_add_co_ci_u32_e32 v3, vcc_lo, v13, v16, vcc_lo
	v_add_co_ci_u32_e32 v13, vcc_lo, 0, v18, vcc_lo
	s_delay_alu instid0(VALU_DEP_2) | instskip(NEXT) | instid1(VALU_DEP_2)
	v_add_co_u32 v3, vcc_lo, v3, v17
	v_add_co_ci_u32_e32 v15, vcc_lo, 0, v13, vcc_lo
	s_delay_alu instid0(VALU_DEP_2) | instskip(SKIP_1) | instid1(VALU_DEP_3)
	v_mul_lo_u32 v16, s27, v3
	v_mad_u64_u32 v[13:14], null, s26, v3, 0
	v_mul_lo_u32 v17, s26, v15
	s_delay_alu instid0(VALU_DEP_2) | instskip(NEXT) | instid1(VALU_DEP_2)
	v_sub_co_u32 v13, vcc_lo, v11, v13
	v_add3_u32 v14, v14, v17, v16
	s_delay_alu instid0(VALU_DEP_1) | instskip(NEXT) | instid1(VALU_DEP_1)
	v_sub_nc_u32_e32 v16, v12, v14
	v_subrev_co_ci_u32_e64 v16, s0, s27, v16, vcc_lo
	v_add_co_u32 v17, s0, v3, 2
	s_delay_alu instid0(VALU_DEP_1) | instskip(SKIP_3) | instid1(VALU_DEP_3)
	v_add_co_ci_u32_e64 v18, s0, 0, v15, s0
	v_sub_co_u32 v19, s0, v13, s26
	v_sub_co_ci_u32_e32 v14, vcc_lo, v12, v14, vcc_lo
	v_subrev_co_ci_u32_e64 v16, s0, 0, v16, s0
	v_cmp_le_u32_e32 vcc_lo, s26, v19
	s_delay_alu instid0(VALU_DEP_3) | instskip(SKIP_1) | instid1(VALU_DEP_4)
	v_cmp_eq_u32_e64 s0, s27, v14
	v_cndmask_b32_e64 v19, 0, -1, vcc_lo
	v_cmp_le_u32_e32 vcc_lo, s27, v16
	v_cndmask_b32_e64 v20, 0, -1, vcc_lo
	v_cmp_le_u32_e32 vcc_lo, s26, v13
	v_cndmask_b32_e64 v13, 0, -1, vcc_lo
	v_cmp_le_u32_e32 vcc_lo, s27, v14
	v_cndmask_b32_e64 v21, 0, -1, vcc_lo
	v_cmp_eq_u32_e32 vcc_lo, s27, v16
	s_delay_alu instid0(VALU_DEP_2) | instskip(SKIP_3) | instid1(VALU_DEP_3)
	v_cndmask_b32_e64 v13, v21, v13, s0
	v_cndmask_b32_e32 v16, v20, v19, vcc_lo
	v_add_co_u32 v19, vcc_lo, v3, 1
	v_add_co_ci_u32_e32 v20, vcc_lo, 0, v15, vcc_lo
	v_cmp_ne_u32_e32 vcc_lo, 0, v16
	s_delay_alu instid0(VALU_DEP_3) | instskip(NEXT) | instid1(VALU_DEP_3)
	v_cndmask_b32_e32 v16, v19, v17, vcc_lo
	v_cndmask_b32_e32 v14, v20, v18, vcc_lo
	v_cmp_ne_u32_e32 vcc_lo, 0, v13
	s_delay_alu instid0(VALU_DEP_3) | instskip(NEXT) | instid1(VALU_DEP_3)
	v_cndmask_b32_e32 v13, v3, v16, vcc_lo
	v_cndmask_b32_e32 v14, v15, v14, vcc_lo
.LBB54_16:                              ;   in Loop: Header=BB54_14 Depth=2
	s_and_not1_saveexec_b32 s0, s44
	s_cbranch_execz .LBB54_18
; %bb.17:                               ;   in Loop: Header=BB54_14 Depth=2
	v_cvt_f32_u32_e32 v3, s26
	s_sub_i32 s44, 0, s26
	s_delay_alu instid0(VALU_DEP_1) | instskip(SKIP_2) | instid1(VALU_DEP_1)
	v_rcp_iflag_f32_e32 v3, v3
	s_waitcnt_depctr 0xfff
	v_mul_f32_e32 v3, 0x4f7ffffe, v3
	v_cvt_u32_f32_e32 v3, v3
	s_delay_alu instid0(VALU_DEP_1) | instskip(NEXT) | instid1(VALU_DEP_1)
	v_mul_lo_u32 v13, s44, v3
	v_mul_hi_u32 v13, v3, v13
	s_delay_alu instid0(VALU_DEP_1) | instskip(NEXT) | instid1(VALU_DEP_1)
	v_add_nc_u32_e32 v3, v3, v13
	v_mul_hi_u32 v3, v11, v3
	s_delay_alu instid0(VALU_DEP_1) | instskip(SKIP_1) | instid1(VALU_DEP_2)
	v_mul_lo_u32 v13, v3, s26
	v_add_nc_u32_e32 v14, 1, v3
	v_sub_nc_u32_e32 v13, v11, v13
	s_delay_alu instid0(VALU_DEP_1) | instskip(SKIP_1) | instid1(VALU_DEP_2)
	v_subrev_nc_u32_e32 v15, s26, v13
	v_cmp_le_u32_e32 vcc_lo, s26, v13
	v_cndmask_b32_e32 v13, v13, v15, vcc_lo
	v_cndmask_b32_e32 v3, v3, v14, vcc_lo
	s_delay_alu instid0(VALU_DEP_2) | instskip(NEXT) | instid1(VALU_DEP_2)
	v_cmp_le_u32_e32 vcc_lo, s26, v13
	v_add_nc_u32_e32 v14, 1, v3
	s_delay_alu instid0(VALU_DEP_1)
	v_dual_cndmask_b32 v13, v3, v14 :: v_dual_mov_b32 v14, v2
.LBB54_18:                              ;   in Loop: Header=BB54_14 Depth=2
	s_or_b32 exec_lo, exec_lo, s0
	s_load_b64 s[44:45], s[24:25], 0xc8
	s_delay_alu instid0(VALU_DEP_1) | instskip(NEXT) | instid1(VALU_DEP_2)
	v_mul_lo_u32 v3, v14, s26
	v_mul_lo_u32 v17, v13, s27
	v_mad_u64_u32 v[15:16], null, v13, s26, 0
	s_add_i32 s43, s43, -1
	s_add_u32 s24, s24, -8
	s_addc_u32 s25, s25, -1
	s_cmp_gt_u32 s43, 2
	s_delay_alu instid0(VALU_DEP_1) | instskip(NEXT) | instid1(VALU_DEP_2)
	v_add3_u32 v3, v16, v17, v3
	v_sub_co_u32 v15, vcc_lo, v11, v15
	s_delay_alu instid0(VALU_DEP_2) | instskip(SKIP_1) | instid1(VALU_DEP_2)
	v_sub_co_ci_u32_e32 v3, vcc_lo, v12, v3, vcc_lo
	s_waitcnt lgkmcnt(0)
	v_mul_lo_u32 v16, s45, v15
	s_delay_alu instid0(VALU_DEP_2) | instskip(SKIP_1) | instid1(VALU_DEP_1)
	v_mul_lo_u32 v3, s44, v3
	v_mad_u64_u32 v[11:12], null, s44, v15, v[9:10]
	v_add3_u32 v10, v16, v12, v3
	s_delay_alu instid0(VALU_DEP_2)
	v_mov_b32_e32 v9, v11
	s_cbranch_scc0 .LBB54_20
; %bb.19:                               ;   in Loop: Header=BB54_14 Depth=2
	v_dual_mov_b32 v11, v13 :: v_dual_mov_b32 v12, v14
	s_branch .LBB54_14
.LBB54_20:                              ;   in Loop: Header=BB54_3 Depth=1
	s_delay_alu instid0(VALU_DEP_1) | instskip(SKIP_2) | instid1(VALU_DEP_1)
	v_mad_u64_u32 v[11:12], null, s2, v13, v[9:10]
	v_mul_lo_u32 v3, s2, v14
	v_mul_lo_u32 v9, s3, v13
	v_add3_u32 v12, v9, v12, v3
.LBB54_21:                              ;   in Loop: Header=BB54_3 Depth=1
	s_or_b32 exec_lo, exec_lo, s1
	v_dual_mov_b32 v14, v5 :: v_dual_mov_b32 v9, 0
	v_or_b32_e32 v13, 1, v4
	v_mov_b32_e32 v10, 0
	v_cmp_lt_i32_e64 s0, 1, v32
	s_delay_alu instid0(VALU_DEP_1)
	s_and_saveexec_b32 s43, s0
	s_cbranch_execz .LBB54_30
; %bb.22:                               ;   in Loop: Header=BB54_3 Depth=1
	v_mov_b32_e32 v15, 0
	v_dual_mov_b32 v16, 0 :: v_dual_mov_b32 v9, v13
	v_mov_b32_e32 v10, v14
	v_dual_mov_b32 v18, v14 :: v_dual_mov_b32 v17, v13
	s_and_not1_b32 vcc_lo, exec_lo, s28
	s_mov_b64 s[24:25], s[20:21]
	s_mov_b32 s44, s33
	s_cbranch_vccnz .LBB54_29
.LBB54_23:                              ;   Parent Loop BB54_3 Depth=1
                                        ; =>  This Inner Loop Header: Depth=2
	s_load_b64 s[26:27], s[24:25], 0x0
                                        ; implicit-def: $vgpr17_vgpr18
	s_mov_b32 s1, exec_lo
	s_waitcnt lgkmcnt(0)
	v_or_b32_e32 v3, s27, v10
	s_delay_alu instid0(VALU_DEP_1)
	v_cmpx_ne_u64_e32 0, v[2:3]
	s_xor_b32 s45, exec_lo, s1
	s_cbranch_execz .LBB54_25
; %bb.24:                               ;   in Loop: Header=BB54_23 Depth=2
	v_cvt_f32_u32_e32 v3, s26
	v_cvt_f32_u32_e32 v17, s27
	s_sub_u32 s1, 0, s26
	s_subb_u32 s46, 0, s27
	s_delay_alu instid0(VALU_DEP_1) | instskip(NEXT) | instid1(VALU_DEP_1)
	v_fmac_f32_e32 v3, 0x4f800000, v17
	v_rcp_f32_e32 v3, v3
	s_waitcnt_depctr 0xfff
	v_mul_f32_e32 v3, 0x5f7ffffc, v3
	s_delay_alu instid0(VALU_DEP_1) | instskip(NEXT) | instid1(VALU_DEP_1)
	v_mul_f32_e32 v17, 0x2f800000, v3
	v_trunc_f32_e32 v17, v17
	s_delay_alu instid0(VALU_DEP_1) | instskip(SKIP_1) | instid1(VALU_DEP_2)
	v_fmac_f32_e32 v3, 0xcf800000, v17
	v_cvt_u32_f32_e32 v17, v17
	v_cvt_u32_f32_e32 v3, v3
	s_delay_alu instid0(VALU_DEP_2) | instskip(NEXT) | instid1(VALU_DEP_2)
	v_mul_lo_u32 v18, s1, v17
	v_mul_hi_u32 v19, s1, v3
	v_mul_lo_u32 v20, s46, v3
	s_delay_alu instid0(VALU_DEP_2) | instskip(SKIP_1) | instid1(VALU_DEP_2)
	v_add_nc_u32_e32 v18, v19, v18
	v_mul_lo_u32 v19, s1, v3
	v_add_nc_u32_e32 v18, v18, v20
	s_delay_alu instid0(VALU_DEP_2) | instskip(NEXT) | instid1(VALU_DEP_2)
	v_mul_hi_u32 v20, v3, v19
	v_mul_lo_u32 v21, v3, v18
	v_mul_hi_u32 v22, v3, v18
	v_mul_hi_u32 v23, v17, v19
	v_mul_lo_u32 v19, v17, v19
	v_mul_hi_u32 v24, v17, v18
	v_mul_lo_u32 v18, v17, v18
	v_add_co_u32 v20, vcc_lo, v20, v21
	v_add_co_ci_u32_e32 v21, vcc_lo, 0, v22, vcc_lo
	s_delay_alu instid0(VALU_DEP_2) | instskip(NEXT) | instid1(VALU_DEP_2)
	v_add_co_u32 v19, vcc_lo, v20, v19
	v_add_co_ci_u32_e32 v19, vcc_lo, v21, v23, vcc_lo
	v_add_co_ci_u32_e32 v20, vcc_lo, 0, v24, vcc_lo
	s_delay_alu instid0(VALU_DEP_2) | instskip(NEXT) | instid1(VALU_DEP_2)
	v_add_co_u32 v18, vcc_lo, v19, v18
	v_add_co_ci_u32_e32 v19, vcc_lo, 0, v20, vcc_lo
	s_delay_alu instid0(VALU_DEP_2) | instskip(NEXT) | instid1(VALU_DEP_2)
	v_add_co_u32 v3, vcc_lo, v3, v18
	v_add_co_ci_u32_e32 v17, vcc_lo, v17, v19, vcc_lo
	s_delay_alu instid0(VALU_DEP_2) | instskip(SKIP_1) | instid1(VALU_DEP_3)
	v_mul_hi_u32 v18, s1, v3
	v_mul_lo_u32 v20, s46, v3
	v_mul_lo_u32 v19, s1, v17
	s_delay_alu instid0(VALU_DEP_1) | instskip(SKIP_1) | instid1(VALU_DEP_2)
	v_add_nc_u32_e32 v18, v18, v19
	v_mul_lo_u32 v19, s1, v3
	v_add_nc_u32_e32 v18, v18, v20
	s_delay_alu instid0(VALU_DEP_2) | instskip(NEXT) | instid1(VALU_DEP_2)
	v_mul_hi_u32 v20, v3, v19
	v_mul_lo_u32 v21, v3, v18
	v_mul_hi_u32 v22, v3, v18
	v_mul_hi_u32 v23, v17, v19
	v_mul_lo_u32 v19, v17, v19
	v_mul_hi_u32 v24, v17, v18
	v_mul_lo_u32 v18, v17, v18
	v_add_co_u32 v20, vcc_lo, v20, v21
	v_add_co_ci_u32_e32 v21, vcc_lo, 0, v22, vcc_lo
	s_delay_alu instid0(VALU_DEP_2) | instskip(NEXT) | instid1(VALU_DEP_2)
	v_add_co_u32 v19, vcc_lo, v20, v19
	v_add_co_ci_u32_e32 v19, vcc_lo, v21, v23, vcc_lo
	v_add_co_ci_u32_e32 v20, vcc_lo, 0, v24, vcc_lo
	s_delay_alu instid0(VALU_DEP_2) | instskip(NEXT) | instid1(VALU_DEP_2)
	v_add_co_u32 v18, vcc_lo, v19, v18
	v_add_co_ci_u32_e32 v19, vcc_lo, 0, v20, vcc_lo
	s_delay_alu instid0(VALU_DEP_2) | instskip(NEXT) | instid1(VALU_DEP_2)
	v_add_co_u32 v3, vcc_lo, v3, v18
	v_add_co_ci_u32_e32 v23, vcc_lo, v17, v19, vcc_lo
	s_delay_alu instid0(VALU_DEP_2) | instskip(SKIP_1) | instid1(VALU_DEP_3)
	v_mul_hi_u32 v24, v9, v3
	v_mad_u64_u32 v[19:20], null, v10, v3, 0
	v_mad_u64_u32 v[17:18], null, v9, v23, 0
	;; [unrolled: 1-line block ×3, first 2 shown]
	s_delay_alu instid0(VALU_DEP_2) | instskip(NEXT) | instid1(VALU_DEP_3)
	v_add_co_u32 v3, vcc_lo, v24, v17
	v_add_co_ci_u32_e32 v17, vcc_lo, 0, v18, vcc_lo
	s_delay_alu instid0(VALU_DEP_2) | instskip(NEXT) | instid1(VALU_DEP_2)
	v_add_co_u32 v3, vcc_lo, v3, v19
	v_add_co_ci_u32_e32 v3, vcc_lo, v17, v20, vcc_lo
	v_add_co_ci_u32_e32 v17, vcc_lo, 0, v22, vcc_lo
	s_delay_alu instid0(VALU_DEP_2) | instskip(NEXT) | instid1(VALU_DEP_2)
	v_add_co_u32 v3, vcc_lo, v3, v21
	v_add_co_ci_u32_e32 v19, vcc_lo, 0, v17, vcc_lo
	s_delay_alu instid0(VALU_DEP_2) | instskip(SKIP_1) | instid1(VALU_DEP_3)
	v_mul_lo_u32 v20, s27, v3
	v_mad_u64_u32 v[17:18], null, s26, v3, 0
	v_mul_lo_u32 v21, s26, v19
	s_delay_alu instid0(VALU_DEP_2) | instskip(NEXT) | instid1(VALU_DEP_2)
	v_sub_co_u32 v17, vcc_lo, v9, v17
	v_add3_u32 v18, v18, v21, v20
	s_delay_alu instid0(VALU_DEP_1) | instskip(NEXT) | instid1(VALU_DEP_1)
	v_sub_nc_u32_e32 v20, v10, v18
	v_subrev_co_ci_u32_e64 v20, s1, s27, v20, vcc_lo
	v_add_co_u32 v21, s1, v3, 2
	s_delay_alu instid0(VALU_DEP_1) | instskip(SKIP_3) | instid1(VALU_DEP_3)
	v_add_co_ci_u32_e64 v22, s1, 0, v19, s1
	v_sub_co_u32 v23, s1, v17, s26
	v_sub_co_ci_u32_e32 v18, vcc_lo, v10, v18, vcc_lo
	v_subrev_co_ci_u32_e64 v20, s1, 0, v20, s1
	v_cmp_le_u32_e32 vcc_lo, s26, v23
	s_delay_alu instid0(VALU_DEP_3) | instskip(SKIP_1) | instid1(VALU_DEP_4)
	v_cmp_eq_u32_e64 s1, s27, v18
	v_cndmask_b32_e64 v23, 0, -1, vcc_lo
	v_cmp_le_u32_e32 vcc_lo, s27, v20
	v_cndmask_b32_e64 v24, 0, -1, vcc_lo
	v_cmp_le_u32_e32 vcc_lo, s26, v17
	;; [unrolled: 2-line block ×3, first 2 shown]
	v_cndmask_b32_e64 v25, 0, -1, vcc_lo
	v_cmp_eq_u32_e32 vcc_lo, s27, v20
	s_delay_alu instid0(VALU_DEP_2) | instskip(SKIP_3) | instid1(VALU_DEP_3)
	v_cndmask_b32_e64 v17, v25, v17, s1
	v_cndmask_b32_e32 v20, v24, v23, vcc_lo
	v_add_co_u32 v23, vcc_lo, v3, 1
	v_add_co_ci_u32_e32 v24, vcc_lo, 0, v19, vcc_lo
	v_cmp_ne_u32_e32 vcc_lo, 0, v20
	s_delay_alu instid0(VALU_DEP_3) | instskip(NEXT) | instid1(VALU_DEP_3)
	v_cndmask_b32_e32 v20, v23, v21, vcc_lo
	v_cndmask_b32_e32 v18, v24, v22, vcc_lo
	v_cmp_ne_u32_e32 vcc_lo, 0, v17
	s_delay_alu instid0(VALU_DEP_3) | instskip(NEXT) | instid1(VALU_DEP_3)
	v_cndmask_b32_e32 v17, v3, v20, vcc_lo
	v_cndmask_b32_e32 v18, v19, v18, vcc_lo
.LBB54_25:                              ;   in Loop: Header=BB54_23 Depth=2
	s_and_not1_saveexec_b32 s1, s45
	s_cbranch_execz .LBB54_27
; %bb.26:                               ;   in Loop: Header=BB54_23 Depth=2
	v_cvt_f32_u32_e32 v3, s26
	s_sub_i32 s45, 0, s26
	s_delay_alu instid0(VALU_DEP_1) | instskip(SKIP_2) | instid1(VALU_DEP_1)
	v_rcp_iflag_f32_e32 v3, v3
	s_waitcnt_depctr 0xfff
	v_mul_f32_e32 v3, 0x4f7ffffe, v3
	v_cvt_u32_f32_e32 v3, v3
	s_delay_alu instid0(VALU_DEP_1) | instskip(NEXT) | instid1(VALU_DEP_1)
	v_mul_lo_u32 v17, s45, v3
	v_mul_hi_u32 v17, v3, v17
	s_delay_alu instid0(VALU_DEP_1) | instskip(NEXT) | instid1(VALU_DEP_1)
	v_add_nc_u32_e32 v3, v3, v17
	v_mul_hi_u32 v3, v9, v3
	s_delay_alu instid0(VALU_DEP_1) | instskip(SKIP_1) | instid1(VALU_DEP_2)
	v_mul_lo_u32 v17, v3, s26
	v_add_nc_u32_e32 v18, 1, v3
	v_sub_nc_u32_e32 v17, v9, v17
	s_delay_alu instid0(VALU_DEP_1) | instskip(SKIP_1) | instid1(VALU_DEP_2)
	v_subrev_nc_u32_e32 v19, s26, v17
	v_cmp_le_u32_e32 vcc_lo, s26, v17
	v_cndmask_b32_e32 v17, v17, v19, vcc_lo
	v_cndmask_b32_e32 v3, v3, v18, vcc_lo
	s_delay_alu instid0(VALU_DEP_2) | instskip(NEXT) | instid1(VALU_DEP_2)
	v_cmp_le_u32_e32 vcc_lo, s26, v17
	v_add_nc_u32_e32 v18, 1, v3
	s_delay_alu instid0(VALU_DEP_1)
	v_dual_cndmask_b32 v17, v3, v18 :: v_dual_mov_b32 v18, v2
.LBB54_27:                              ;   in Loop: Header=BB54_23 Depth=2
	s_or_b32 exec_lo, exec_lo, s1
	s_load_b64 s[46:47], s[24:25], 0xc8
	s_delay_alu instid0(VALU_DEP_1) | instskip(NEXT) | instid1(VALU_DEP_2)
	v_mul_lo_u32 v3, v18, s26
	v_mul_lo_u32 v21, v17, s27
	v_mad_u64_u32 v[19:20], null, v17, s26, 0
	s_add_i32 s44, s44, -1
	s_add_u32 s24, s24, -8
	s_addc_u32 s25, s25, -1
	s_cmp_gt_u32 s44, 2
	s_delay_alu instid0(VALU_DEP_1) | instskip(NEXT) | instid1(VALU_DEP_2)
	v_add3_u32 v3, v20, v21, v3
	v_sub_co_u32 v19, vcc_lo, v9, v19
	s_delay_alu instid0(VALU_DEP_2) | instskip(SKIP_1) | instid1(VALU_DEP_2)
	v_sub_co_ci_u32_e32 v3, vcc_lo, v10, v3, vcc_lo
	s_waitcnt lgkmcnt(0)
	v_mul_lo_u32 v20, s47, v19
	s_delay_alu instid0(VALU_DEP_2) | instskip(SKIP_1) | instid1(VALU_DEP_1)
	v_mul_lo_u32 v3, s46, v3
	v_mad_u64_u32 v[9:10], null, s46, v19, v[15:16]
	v_add3_u32 v16, v20, v10, v3
	s_delay_alu instid0(VALU_DEP_2)
	v_mov_b32_e32 v15, v9
	s_cbranch_scc0 .LBB54_29
; %bb.28:                               ;   in Loop: Header=BB54_23 Depth=2
	v_dual_mov_b32 v9, v17 :: v_dual_mov_b32 v10, v18
	s_branch .LBB54_23
.LBB54_29:                              ;   in Loop: Header=BB54_3 Depth=1
	s_delay_alu instid0(VALU_DEP_1) | instskip(SKIP_2) | instid1(VALU_DEP_1)
	v_mad_u64_u32 v[9:10], null, s14, v17, v[15:16]
	v_mul_lo_u32 v3, s14, v18
	v_mul_lo_u32 v15, s15, v17
	v_add3_u32 v10, v15, v10, v3
.LBB54_30:                              ;   in Loop: Header=BB54_3 Depth=1
	s_or_b32 exec_lo, exec_lo, s43
	v_mov_b32_e32 v15, 0
	v_mov_b32_e32 v16, 0
	s_and_saveexec_b32 s1, s0
	s_cbranch_execz .LBB54_33
; %bb.31:                               ;   in Loop: Header=BB54_3 Depth=1
	v_mov_b32_e32 v17, 0
	v_mov_b32_e32 v18, 0
	s_and_not1_b32 vcc_lo, exec_lo, s29
	s_mov_b64 s[24:25], s[22:23]
	s_mov_b32 s43, s34
	s_cbranch_vccz .LBB54_42
.LBB54_32:                              ;   in Loop: Header=BB54_3 Depth=1
	s_delay_alu instid0(VALU_DEP_1) | instskip(NEXT) | instid1(VALU_DEP_2)
	v_mad_u64_u32 v[15:16], null, s2, v13, v[17:18]
	v_mul_lo_u32 v3, s2, v14
	v_mul_lo_u32 v13, s3, v13
	s_delay_alu instid0(VALU_DEP_1)
	v_add3_u32 v16, v13, v16, v3
.LBB54_33:                              ;   in Loop: Header=BB54_3 Depth=1
	s_or_b32 exec_lo, exec_lo, s1
	v_dual_mov_b32 v18, v5 :: v_dual_mov_b32 v13, 0
	v_or_b32_e32 v17, 2, v4
	v_mov_b32_e32 v14, 0
	v_cmp_lt_i32_e64 s0, 2, v32
	s_delay_alu instid0(VALU_DEP_1)
	s_and_saveexec_b32 s43, s0
	s_cbranch_execz .LBB54_47
; %bb.34:                               ;   in Loop: Header=BB54_3 Depth=1
	v_mov_b32_e32 v19, 0
	v_dual_mov_b32 v20, 0 :: v_dual_mov_b32 v13, v17
	v_mov_b32_e32 v14, v18
	v_dual_mov_b32 v22, v18 :: v_dual_mov_b32 v21, v17
	s_and_not1_b32 vcc_lo, exec_lo, s28
	s_mov_b64 s[24:25], s[20:21]
	s_mov_b32 s44, s33
	s_cbranch_vccnz .LBB54_46
.LBB54_35:                              ;   Parent Loop BB54_3 Depth=1
                                        ; =>  This Inner Loop Header: Depth=2
	s_load_b64 s[26:27], s[24:25], 0x0
                                        ; implicit-def: $vgpr21_vgpr22
	s_mov_b32 s1, exec_lo
	s_waitcnt lgkmcnt(0)
	v_or_b32_e32 v3, s27, v14
	s_delay_alu instid0(VALU_DEP_1)
	v_cmpx_ne_u64_e32 0, v[2:3]
	s_xor_b32 s45, exec_lo, s1
	s_cbranch_execz .LBB54_37
; %bb.36:                               ;   in Loop: Header=BB54_35 Depth=2
	v_cvt_f32_u32_e32 v3, s26
	v_cvt_f32_u32_e32 v21, s27
	s_sub_u32 s1, 0, s26
	s_subb_u32 s46, 0, s27
	s_delay_alu instid0(VALU_DEP_1) | instskip(NEXT) | instid1(VALU_DEP_1)
	v_fmac_f32_e32 v3, 0x4f800000, v21
	v_rcp_f32_e32 v3, v3
	s_waitcnt_depctr 0xfff
	v_mul_f32_e32 v3, 0x5f7ffffc, v3
	s_delay_alu instid0(VALU_DEP_1) | instskip(NEXT) | instid1(VALU_DEP_1)
	v_mul_f32_e32 v21, 0x2f800000, v3
	v_trunc_f32_e32 v21, v21
	s_delay_alu instid0(VALU_DEP_1) | instskip(SKIP_1) | instid1(VALU_DEP_2)
	v_fmac_f32_e32 v3, 0xcf800000, v21
	v_cvt_u32_f32_e32 v21, v21
	v_cvt_u32_f32_e32 v3, v3
	s_delay_alu instid0(VALU_DEP_2) | instskip(NEXT) | instid1(VALU_DEP_2)
	v_mul_lo_u32 v22, s1, v21
	v_mul_hi_u32 v23, s1, v3
	v_mul_lo_u32 v24, s46, v3
	s_delay_alu instid0(VALU_DEP_2) | instskip(SKIP_1) | instid1(VALU_DEP_2)
	v_add_nc_u32_e32 v22, v23, v22
	v_mul_lo_u32 v23, s1, v3
	v_add_nc_u32_e32 v22, v22, v24
	s_delay_alu instid0(VALU_DEP_2) | instskip(NEXT) | instid1(VALU_DEP_2)
	v_mul_hi_u32 v24, v3, v23
	v_mul_lo_u32 v25, v3, v22
	v_mul_hi_u32 v26, v3, v22
	v_mul_hi_u32 v27, v21, v23
	v_mul_lo_u32 v23, v21, v23
	v_mul_hi_u32 v28, v21, v22
	v_mul_lo_u32 v22, v21, v22
	v_add_co_u32 v24, vcc_lo, v24, v25
	v_add_co_ci_u32_e32 v25, vcc_lo, 0, v26, vcc_lo
	s_delay_alu instid0(VALU_DEP_2) | instskip(NEXT) | instid1(VALU_DEP_2)
	v_add_co_u32 v23, vcc_lo, v24, v23
	v_add_co_ci_u32_e32 v23, vcc_lo, v25, v27, vcc_lo
	v_add_co_ci_u32_e32 v24, vcc_lo, 0, v28, vcc_lo
	s_delay_alu instid0(VALU_DEP_2) | instskip(NEXT) | instid1(VALU_DEP_2)
	v_add_co_u32 v22, vcc_lo, v23, v22
	v_add_co_ci_u32_e32 v23, vcc_lo, 0, v24, vcc_lo
	s_delay_alu instid0(VALU_DEP_2) | instskip(NEXT) | instid1(VALU_DEP_2)
	v_add_co_u32 v3, vcc_lo, v3, v22
	v_add_co_ci_u32_e32 v21, vcc_lo, v21, v23, vcc_lo
	s_delay_alu instid0(VALU_DEP_2) | instskip(SKIP_1) | instid1(VALU_DEP_3)
	v_mul_hi_u32 v22, s1, v3
	v_mul_lo_u32 v24, s46, v3
	v_mul_lo_u32 v23, s1, v21
	s_delay_alu instid0(VALU_DEP_1) | instskip(SKIP_1) | instid1(VALU_DEP_2)
	v_add_nc_u32_e32 v22, v22, v23
	v_mul_lo_u32 v23, s1, v3
	v_add_nc_u32_e32 v22, v22, v24
	s_delay_alu instid0(VALU_DEP_2) | instskip(NEXT) | instid1(VALU_DEP_2)
	v_mul_hi_u32 v24, v3, v23
	v_mul_lo_u32 v25, v3, v22
	v_mul_hi_u32 v26, v3, v22
	v_mul_hi_u32 v27, v21, v23
	v_mul_lo_u32 v23, v21, v23
	v_mul_hi_u32 v28, v21, v22
	v_mul_lo_u32 v22, v21, v22
	v_add_co_u32 v24, vcc_lo, v24, v25
	v_add_co_ci_u32_e32 v25, vcc_lo, 0, v26, vcc_lo
	s_delay_alu instid0(VALU_DEP_2) | instskip(NEXT) | instid1(VALU_DEP_2)
	v_add_co_u32 v23, vcc_lo, v24, v23
	v_add_co_ci_u32_e32 v23, vcc_lo, v25, v27, vcc_lo
	v_add_co_ci_u32_e32 v24, vcc_lo, 0, v28, vcc_lo
	s_delay_alu instid0(VALU_DEP_2) | instskip(NEXT) | instid1(VALU_DEP_2)
	v_add_co_u32 v22, vcc_lo, v23, v22
	v_add_co_ci_u32_e32 v23, vcc_lo, 0, v24, vcc_lo
	s_delay_alu instid0(VALU_DEP_2) | instskip(NEXT) | instid1(VALU_DEP_2)
	v_add_co_u32 v3, vcc_lo, v3, v22
	v_add_co_ci_u32_e32 v27, vcc_lo, v21, v23, vcc_lo
	s_delay_alu instid0(VALU_DEP_2) | instskip(SKIP_1) | instid1(VALU_DEP_3)
	v_mul_hi_u32 v28, v13, v3
	v_mad_u64_u32 v[23:24], null, v14, v3, 0
	v_mad_u64_u32 v[21:22], null, v13, v27, 0
	;; [unrolled: 1-line block ×3, first 2 shown]
	s_delay_alu instid0(VALU_DEP_2) | instskip(NEXT) | instid1(VALU_DEP_3)
	v_add_co_u32 v3, vcc_lo, v28, v21
	v_add_co_ci_u32_e32 v21, vcc_lo, 0, v22, vcc_lo
	s_delay_alu instid0(VALU_DEP_2) | instskip(NEXT) | instid1(VALU_DEP_2)
	v_add_co_u32 v3, vcc_lo, v3, v23
	v_add_co_ci_u32_e32 v3, vcc_lo, v21, v24, vcc_lo
	v_add_co_ci_u32_e32 v21, vcc_lo, 0, v26, vcc_lo
	s_delay_alu instid0(VALU_DEP_2) | instskip(NEXT) | instid1(VALU_DEP_2)
	v_add_co_u32 v3, vcc_lo, v3, v25
	v_add_co_ci_u32_e32 v23, vcc_lo, 0, v21, vcc_lo
	s_delay_alu instid0(VALU_DEP_2) | instskip(SKIP_1) | instid1(VALU_DEP_3)
	v_mul_lo_u32 v24, s27, v3
	v_mad_u64_u32 v[21:22], null, s26, v3, 0
	v_mul_lo_u32 v25, s26, v23
	s_delay_alu instid0(VALU_DEP_2) | instskip(NEXT) | instid1(VALU_DEP_2)
	v_sub_co_u32 v21, vcc_lo, v13, v21
	v_add3_u32 v22, v22, v25, v24
	s_delay_alu instid0(VALU_DEP_1) | instskip(NEXT) | instid1(VALU_DEP_1)
	v_sub_nc_u32_e32 v24, v14, v22
	v_subrev_co_ci_u32_e64 v24, s1, s27, v24, vcc_lo
	v_add_co_u32 v25, s1, v3, 2
	s_delay_alu instid0(VALU_DEP_1) | instskip(SKIP_3) | instid1(VALU_DEP_3)
	v_add_co_ci_u32_e64 v26, s1, 0, v23, s1
	v_sub_co_u32 v27, s1, v21, s26
	v_sub_co_ci_u32_e32 v22, vcc_lo, v14, v22, vcc_lo
	v_subrev_co_ci_u32_e64 v24, s1, 0, v24, s1
	v_cmp_le_u32_e32 vcc_lo, s26, v27
	s_delay_alu instid0(VALU_DEP_3) | instskip(SKIP_1) | instid1(VALU_DEP_4)
	v_cmp_eq_u32_e64 s1, s27, v22
	v_cndmask_b32_e64 v27, 0, -1, vcc_lo
	v_cmp_le_u32_e32 vcc_lo, s27, v24
	v_cndmask_b32_e64 v28, 0, -1, vcc_lo
	v_cmp_le_u32_e32 vcc_lo, s26, v21
	;; [unrolled: 2-line block ×3, first 2 shown]
	v_cndmask_b32_e64 v29, 0, -1, vcc_lo
	v_cmp_eq_u32_e32 vcc_lo, s27, v24
	s_delay_alu instid0(VALU_DEP_2) | instskip(SKIP_3) | instid1(VALU_DEP_3)
	v_cndmask_b32_e64 v21, v29, v21, s1
	v_cndmask_b32_e32 v24, v28, v27, vcc_lo
	v_add_co_u32 v27, vcc_lo, v3, 1
	v_add_co_ci_u32_e32 v28, vcc_lo, 0, v23, vcc_lo
	v_cmp_ne_u32_e32 vcc_lo, 0, v24
	s_delay_alu instid0(VALU_DEP_3) | instskip(NEXT) | instid1(VALU_DEP_3)
	v_cndmask_b32_e32 v24, v27, v25, vcc_lo
	v_cndmask_b32_e32 v22, v28, v26, vcc_lo
	v_cmp_ne_u32_e32 vcc_lo, 0, v21
	s_delay_alu instid0(VALU_DEP_3) | instskip(NEXT) | instid1(VALU_DEP_3)
	v_cndmask_b32_e32 v21, v3, v24, vcc_lo
	v_cndmask_b32_e32 v22, v23, v22, vcc_lo
.LBB54_37:                              ;   in Loop: Header=BB54_35 Depth=2
	s_and_not1_saveexec_b32 s1, s45
	s_cbranch_execz .LBB54_39
; %bb.38:                               ;   in Loop: Header=BB54_35 Depth=2
	v_cvt_f32_u32_e32 v3, s26
	s_sub_i32 s45, 0, s26
	s_delay_alu instid0(VALU_DEP_1) | instskip(SKIP_2) | instid1(VALU_DEP_1)
	v_rcp_iflag_f32_e32 v3, v3
	s_waitcnt_depctr 0xfff
	v_mul_f32_e32 v3, 0x4f7ffffe, v3
	v_cvt_u32_f32_e32 v3, v3
	s_delay_alu instid0(VALU_DEP_1) | instskip(NEXT) | instid1(VALU_DEP_1)
	v_mul_lo_u32 v21, s45, v3
	v_mul_hi_u32 v21, v3, v21
	s_delay_alu instid0(VALU_DEP_1) | instskip(NEXT) | instid1(VALU_DEP_1)
	v_add_nc_u32_e32 v3, v3, v21
	v_mul_hi_u32 v3, v13, v3
	s_delay_alu instid0(VALU_DEP_1) | instskip(SKIP_1) | instid1(VALU_DEP_2)
	v_mul_lo_u32 v21, v3, s26
	v_add_nc_u32_e32 v22, 1, v3
	v_sub_nc_u32_e32 v21, v13, v21
	s_delay_alu instid0(VALU_DEP_1) | instskip(SKIP_1) | instid1(VALU_DEP_2)
	v_subrev_nc_u32_e32 v23, s26, v21
	v_cmp_le_u32_e32 vcc_lo, s26, v21
	v_cndmask_b32_e32 v21, v21, v23, vcc_lo
	v_cndmask_b32_e32 v3, v3, v22, vcc_lo
	s_delay_alu instid0(VALU_DEP_2) | instskip(NEXT) | instid1(VALU_DEP_2)
	v_cmp_le_u32_e32 vcc_lo, s26, v21
	v_add_nc_u32_e32 v22, 1, v3
	s_delay_alu instid0(VALU_DEP_1)
	v_dual_cndmask_b32 v21, v3, v22 :: v_dual_mov_b32 v22, v2
.LBB54_39:                              ;   in Loop: Header=BB54_35 Depth=2
	s_or_b32 exec_lo, exec_lo, s1
	s_load_b64 s[46:47], s[24:25], 0xc8
	s_delay_alu instid0(VALU_DEP_1) | instskip(NEXT) | instid1(VALU_DEP_2)
	v_mul_lo_u32 v3, v22, s26
	v_mul_lo_u32 v25, v21, s27
	v_mad_u64_u32 v[23:24], null, v21, s26, 0
	s_add_i32 s44, s44, -1
	s_add_u32 s24, s24, -8
	s_addc_u32 s25, s25, -1
	s_cmp_gt_u32 s44, 2
	s_delay_alu instid0(VALU_DEP_1) | instskip(NEXT) | instid1(VALU_DEP_2)
	v_add3_u32 v3, v24, v25, v3
	v_sub_co_u32 v23, vcc_lo, v13, v23
	s_delay_alu instid0(VALU_DEP_2) | instskip(SKIP_1) | instid1(VALU_DEP_2)
	v_sub_co_ci_u32_e32 v3, vcc_lo, v14, v3, vcc_lo
	s_waitcnt lgkmcnt(0)
	v_mul_lo_u32 v24, s47, v23
	s_delay_alu instid0(VALU_DEP_2) | instskip(SKIP_1) | instid1(VALU_DEP_1)
	v_mul_lo_u32 v3, s46, v3
	v_mad_u64_u32 v[13:14], null, s46, v23, v[19:20]
	v_add3_u32 v20, v24, v14, v3
	s_delay_alu instid0(VALU_DEP_2)
	v_mov_b32_e32 v19, v13
	s_cbranch_scc0 .LBB54_46
; %bb.40:                               ;   in Loop: Header=BB54_35 Depth=2
	v_dual_mov_b32 v13, v21 :: v_dual_mov_b32 v14, v22
	s_branch .LBB54_35
.LBB54_41:                              ;   in Loop: Header=BB54_42 Depth=2
	s_or_b32 exec_lo, exec_lo, s0
	s_load_b64 s[44:45], s[24:25], 0xc8
	s_delay_alu instid0(VALU_DEP_1)
	v_mul_lo_u32 v3, v16, s26
	v_mul_lo_u32 v21, v15, s27
	v_mad_u64_u32 v[19:20], null, v15, s26, 0
	s_add_i32 s43, s43, -1
	s_add_u32 s24, s24, -8
	s_addc_u32 s25, s25, -1
	s_cmp_gt_u32 s43, 2
	s_delay_alu instid0(VALU_DEP_1) | instskip(NEXT) | instid1(VALU_DEP_2)
	v_add3_u32 v3, v20, v21, v3
	v_sub_co_u32 v19, vcc_lo, v13, v19
	s_delay_alu instid0(VALU_DEP_2) | instskip(SKIP_1) | instid1(VALU_DEP_2)
	v_sub_co_ci_u32_e32 v3, vcc_lo, v14, v3, vcc_lo
	s_waitcnt lgkmcnt(0)
	v_mul_lo_u32 v20, s45, v19
	s_delay_alu instid0(VALU_DEP_2) | instskip(SKIP_1) | instid1(VALU_DEP_1)
	v_mul_lo_u32 v3, s44, v3
	v_mad_u64_u32 v[13:14], null, s44, v19, v[17:18]
	v_add3_u32 v18, v20, v14, v3
	s_delay_alu instid0(VALU_DEP_2)
	v_mov_b32_e32 v17, v13
	v_dual_mov_b32 v13, v15 :: v_dual_mov_b32 v14, v16
	s_cbranch_scc0 .LBB54_32
.LBB54_42:                              ;   Parent Loop BB54_3 Depth=1
                                        ; =>  This Inner Loop Header: Depth=2
	s_load_b64 s[26:27], s[24:25], 0x0
                                        ; implicit-def: $vgpr15_vgpr16
	s_mov_b32 s0, exec_lo
	s_waitcnt lgkmcnt(0)
	v_or_b32_e32 v3, s27, v14
	s_delay_alu instid0(VALU_DEP_1)
	v_cmpx_ne_u64_e32 0, v[2:3]
	s_xor_b32 s44, exec_lo, s0
	s_cbranch_execz .LBB54_44
; %bb.43:                               ;   in Loop: Header=BB54_42 Depth=2
	v_cvt_f32_u32_e32 v3, s26
	v_cvt_f32_u32_e32 v15, s27
	s_sub_u32 s0, 0, s26
	s_subb_u32 s45, 0, s27
	s_delay_alu instid0(VALU_DEP_1) | instskip(NEXT) | instid1(VALU_DEP_1)
	v_fmac_f32_e32 v3, 0x4f800000, v15
	v_rcp_f32_e32 v3, v3
	s_waitcnt_depctr 0xfff
	v_mul_f32_e32 v3, 0x5f7ffffc, v3
	s_delay_alu instid0(VALU_DEP_1) | instskip(NEXT) | instid1(VALU_DEP_1)
	v_mul_f32_e32 v15, 0x2f800000, v3
	v_trunc_f32_e32 v15, v15
	s_delay_alu instid0(VALU_DEP_1) | instskip(SKIP_1) | instid1(VALU_DEP_2)
	v_fmac_f32_e32 v3, 0xcf800000, v15
	v_cvt_u32_f32_e32 v15, v15
	v_cvt_u32_f32_e32 v3, v3
	s_delay_alu instid0(VALU_DEP_2) | instskip(NEXT) | instid1(VALU_DEP_2)
	v_mul_lo_u32 v16, s0, v15
	v_mul_hi_u32 v19, s0, v3
	v_mul_lo_u32 v20, s45, v3
	s_delay_alu instid0(VALU_DEP_2) | instskip(SKIP_1) | instid1(VALU_DEP_2)
	v_add_nc_u32_e32 v16, v19, v16
	v_mul_lo_u32 v19, s0, v3
	v_add_nc_u32_e32 v16, v16, v20
	s_delay_alu instid0(VALU_DEP_2) | instskip(NEXT) | instid1(VALU_DEP_2)
	v_mul_hi_u32 v20, v3, v19
	v_mul_lo_u32 v21, v3, v16
	v_mul_hi_u32 v22, v3, v16
	v_mul_hi_u32 v23, v15, v19
	v_mul_lo_u32 v19, v15, v19
	v_mul_hi_u32 v24, v15, v16
	v_mul_lo_u32 v16, v15, v16
	v_add_co_u32 v20, vcc_lo, v20, v21
	v_add_co_ci_u32_e32 v21, vcc_lo, 0, v22, vcc_lo
	s_delay_alu instid0(VALU_DEP_2) | instskip(NEXT) | instid1(VALU_DEP_2)
	v_add_co_u32 v19, vcc_lo, v20, v19
	v_add_co_ci_u32_e32 v19, vcc_lo, v21, v23, vcc_lo
	v_add_co_ci_u32_e32 v20, vcc_lo, 0, v24, vcc_lo
	s_delay_alu instid0(VALU_DEP_2) | instskip(NEXT) | instid1(VALU_DEP_2)
	v_add_co_u32 v16, vcc_lo, v19, v16
	v_add_co_ci_u32_e32 v19, vcc_lo, 0, v20, vcc_lo
	s_delay_alu instid0(VALU_DEP_2) | instskip(NEXT) | instid1(VALU_DEP_2)
	v_add_co_u32 v3, vcc_lo, v3, v16
	v_add_co_ci_u32_e32 v15, vcc_lo, v15, v19, vcc_lo
	s_delay_alu instid0(VALU_DEP_2) | instskip(SKIP_1) | instid1(VALU_DEP_3)
	v_mul_hi_u32 v16, s0, v3
	v_mul_lo_u32 v20, s45, v3
	v_mul_lo_u32 v19, s0, v15
	s_delay_alu instid0(VALU_DEP_1) | instskip(SKIP_1) | instid1(VALU_DEP_2)
	v_add_nc_u32_e32 v16, v16, v19
	v_mul_lo_u32 v19, s0, v3
	v_add_nc_u32_e32 v16, v16, v20
	s_delay_alu instid0(VALU_DEP_2) | instskip(NEXT) | instid1(VALU_DEP_2)
	v_mul_hi_u32 v20, v3, v19
	v_mul_lo_u32 v21, v3, v16
	v_mul_hi_u32 v22, v3, v16
	v_mul_hi_u32 v23, v15, v19
	v_mul_lo_u32 v19, v15, v19
	v_mul_hi_u32 v24, v15, v16
	v_mul_lo_u32 v16, v15, v16
	v_add_co_u32 v20, vcc_lo, v20, v21
	v_add_co_ci_u32_e32 v21, vcc_lo, 0, v22, vcc_lo
	s_delay_alu instid0(VALU_DEP_2) | instskip(NEXT) | instid1(VALU_DEP_2)
	v_add_co_u32 v19, vcc_lo, v20, v19
	v_add_co_ci_u32_e32 v19, vcc_lo, v21, v23, vcc_lo
	v_add_co_ci_u32_e32 v20, vcc_lo, 0, v24, vcc_lo
	s_delay_alu instid0(VALU_DEP_2) | instskip(NEXT) | instid1(VALU_DEP_2)
	v_add_co_u32 v16, vcc_lo, v19, v16
	v_add_co_ci_u32_e32 v19, vcc_lo, 0, v20, vcc_lo
	s_delay_alu instid0(VALU_DEP_2) | instskip(NEXT) | instid1(VALU_DEP_2)
	v_add_co_u32 v3, vcc_lo, v3, v16
	v_add_co_ci_u32_e32 v23, vcc_lo, v15, v19, vcc_lo
	s_delay_alu instid0(VALU_DEP_2) | instskip(SKIP_1) | instid1(VALU_DEP_3)
	v_mul_hi_u32 v24, v13, v3
	v_mad_u64_u32 v[19:20], null, v14, v3, 0
	v_mad_u64_u32 v[15:16], null, v13, v23, 0
	;; [unrolled: 1-line block ×3, first 2 shown]
	s_delay_alu instid0(VALU_DEP_2) | instskip(NEXT) | instid1(VALU_DEP_3)
	v_add_co_u32 v3, vcc_lo, v24, v15
	v_add_co_ci_u32_e32 v15, vcc_lo, 0, v16, vcc_lo
	s_delay_alu instid0(VALU_DEP_2) | instskip(NEXT) | instid1(VALU_DEP_2)
	v_add_co_u32 v3, vcc_lo, v3, v19
	v_add_co_ci_u32_e32 v3, vcc_lo, v15, v20, vcc_lo
	v_add_co_ci_u32_e32 v15, vcc_lo, 0, v22, vcc_lo
	s_delay_alu instid0(VALU_DEP_2) | instskip(NEXT) | instid1(VALU_DEP_2)
	v_add_co_u32 v3, vcc_lo, v3, v21
	v_add_co_ci_u32_e32 v19, vcc_lo, 0, v15, vcc_lo
	s_delay_alu instid0(VALU_DEP_2) | instskip(SKIP_1) | instid1(VALU_DEP_3)
	v_mul_lo_u32 v20, s27, v3
	v_mad_u64_u32 v[15:16], null, s26, v3, 0
	v_mul_lo_u32 v21, s26, v19
	s_delay_alu instid0(VALU_DEP_2) | instskip(NEXT) | instid1(VALU_DEP_2)
	v_sub_co_u32 v15, vcc_lo, v13, v15
	v_add3_u32 v16, v16, v21, v20
	s_delay_alu instid0(VALU_DEP_1) | instskip(NEXT) | instid1(VALU_DEP_1)
	v_sub_nc_u32_e32 v20, v14, v16
	v_subrev_co_ci_u32_e64 v20, s0, s27, v20, vcc_lo
	v_add_co_u32 v21, s0, v3, 2
	s_delay_alu instid0(VALU_DEP_1) | instskip(SKIP_3) | instid1(VALU_DEP_3)
	v_add_co_ci_u32_e64 v22, s0, 0, v19, s0
	v_sub_co_u32 v23, s0, v15, s26
	v_sub_co_ci_u32_e32 v16, vcc_lo, v14, v16, vcc_lo
	v_subrev_co_ci_u32_e64 v20, s0, 0, v20, s0
	v_cmp_le_u32_e32 vcc_lo, s26, v23
	s_delay_alu instid0(VALU_DEP_3) | instskip(SKIP_1) | instid1(VALU_DEP_4)
	v_cmp_eq_u32_e64 s0, s27, v16
	v_cndmask_b32_e64 v23, 0, -1, vcc_lo
	v_cmp_le_u32_e32 vcc_lo, s27, v20
	v_cndmask_b32_e64 v24, 0, -1, vcc_lo
	v_cmp_le_u32_e32 vcc_lo, s26, v15
	;; [unrolled: 2-line block ×3, first 2 shown]
	v_cndmask_b32_e64 v25, 0, -1, vcc_lo
	v_cmp_eq_u32_e32 vcc_lo, s27, v20
	s_delay_alu instid0(VALU_DEP_2) | instskip(SKIP_3) | instid1(VALU_DEP_3)
	v_cndmask_b32_e64 v15, v25, v15, s0
	v_cndmask_b32_e32 v20, v24, v23, vcc_lo
	v_add_co_u32 v23, vcc_lo, v3, 1
	v_add_co_ci_u32_e32 v24, vcc_lo, 0, v19, vcc_lo
	v_cmp_ne_u32_e32 vcc_lo, 0, v20
	s_delay_alu instid0(VALU_DEP_2) | instskip(NEXT) | instid1(VALU_DEP_4)
	v_cndmask_b32_e32 v16, v24, v22, vcc_lo
	v_cndmask_b32_e32 v20, v23, v21, vcc_lo
	v_cmp_ne_u32_e32 vcc_lo, 0, v15
	s_delay_alu instid0(VALU_DEP_2) | instskip(NEXT) | instid1(VALU_DEP_4)
	v_cndmask_b32_e32 v15, v3, v20, vcc_lo
	v_cndmask_b32_e32 v16, v19, v16, vcc_lo
.LBB54_44:                              ;   in Loop: Header=BB54_42 Depth=2
	s_and_not1_saveexec_b32 s0, s44
	s_cbranch_execz .LBB54_41
; %bb.45:                               ;   in Loop: Header=BB54_42 Depth=2
	v_cvt_f32_u32_e32 v3, s26
	s_sub_i32 s44, 0, s26
	s_delay_alu instid0(VALU_DEP_1) | instskip(SKIP_2) | instid1(VALU_DEP_1)
	v_rcp_iflag_f32_e32 v3, v3
	s_waitcnt_depctr 0xfff
	v_mul_f32_e32 v3, 0x4f7ffffe, v3
	v_cvt_u32_f32_e32 v3, v3
	s_delay_alu instid0(VALU_DEP_1) | instskip(NEXT) | instid1(VALU_DEP_1)
	v_mul_lo_u32 v15, s44, v3
	v_mul_hi_u32 v15, v3, v15
	s_delay_alu instid0(VALU_DEP_1) | instskip(NEXT) | instid1(VALU_DEP_1)
	v_add_nc_u32_e32 v3, v3, v15
	v_mul_hi_u32 v3, v13, v3
	s_delay_alu instid0(VALU_DEP_1) | instskip(SKIP_1) | instid1(VALU_DEP_2)
	v_mul_lo_u32 v15, v3, s26
	v_add_nc_u32_e32 v16, 1, v3
	v_sub_nc_u32_e32 v15, v13, v15
	s_delay_alu instid0(VALU_DEP_1) | instskip(SKIP_1) | instid1(VALU_DEP_2)
	v_subrev_nc_u32_e32 v19, s26, v15
	v_cmp_le_u32_e32 vcc_lo, s26, v15
	v_cndmask_b32_e32 v15, v15, v19, vcc_lo
	v_cndmask_b32_e32 v3, v3, v16, vcc_lo
	s_delay_alu instid0(VALU_DEP_2) | instskip(NEXT) | instid1(VALU_DEP_2)
	v_cmp_le_u32_e32 vcc_lo, s26, v15
	v_add_nc_u32_e32 v16, 1, v3
	s_delay_alu instid0(VALU_DEP_1)
	v_dual_cndmask_b32 v15, v3, v16 :: v_dual_mov_b32 v16, v2
	s_branch .LBB54_41
.LBB54_46:                              ;   in Loop: Header=BB54_3 Depth=1
	s_delay_alu instid0(VALU_DEP_1) | instskip(SKIP_2) | instid1(VALU_DEP_1)
	v_mad_u64_u32 v[13:14], null, s14, v21, v[19:20]
	v_mul_lo_u32 v3, s14, v22
	v_mul_lo_u32 v19, s15, v21
	v_add3_u32 v14, v19, v14, v3
.LBB54_47:                              ;   in Loop: Header=BB54_3 Depth=1
	s_or_b32 exec_lo, exec_lo, s43
	v_mov_b32_e32 v19, 0
	v_mov_b32_e32 v20, 0
	s_and_saveexec_b32 s1, s0
	s_cbranch_execz .LBB54_50
; %bb.48:                               ;   in Loop: Header=BB54_3 Depth=1
	v_mov_b32_e32 v21, 0
	v_mov_b32_e32 v22, 0
	s_and_not1_b32 vcc_lo, exec_lo, s29
	s_mov_b64 s[24:25], s[22:23]
	s_mov_b32 s43, s34
	s_cbranch_vccz .LBB54_59
.LBB54_49:                              ;   in Loop: Header=BB54_3 Depth=1
	s_delay_alu instid0(VALU_DEP_1) | instskip(NEXT) | instid1(VALU_DEP_2)
	v_mad_u64_u32 v[19:20], null, s2, v17, v[21:22]
	v_mul_lo_u32 v3, s2, v18
	v_mul_lo_u32 v17, s3, v17
	s_delay_alu instid0(VALU_DEP_1)
	v_add3_u32 v20, v17, v20, v3
.LBB54_50:                              ;   in Loop: Header=BB54_3 Depth=1
	s_or_b32 exec_lo, exec_lo, s1
	v_dual_mov_b32 v22, v5 :: v_dual_mov_b32 v17, 0
	v_or_b32_e32 v21, 3, v4
	v_mov_b32_e32 v18, 0
	v_cmp_lt_i32_e64 s0, 3, v32
	s_delay_alu instid0(VALU_DEP_1)
	s_and_saveexec_b32 s43, s0
	s_cbranch_execz .LBB54_64
; %bb.51:                               ;   in Loop: Header=BB54_3 Depth=1
	v_mov_b32_e32 v23, 0
	v_dual_mov_b32 v24, 0 :: v_dual_mov_b32 v17, v21
	v_mov_b32_e32 v18, v22
	v_dual_mov_b32 v26, v22 :: v_dual_mov_b32 v25, v21
	s_and_not1_b32 vcc_lo, exec_lo, s28
	s_mov_b64 s[24:25], s[20:21]
	s_mov_b32 s44, s33
	s_cbranch_vccnz .LBB54_63
.LBB54_52:                              ;   Parent Loop BB54_3 Depth=1
                                        ; =>  This Inner Loop Header: Depth=2
	s_load_b64 s[26:27], s[24:25], 0x0
                                        ; implicit-def: $vgpr25_vgpr26
	s_mov_b32 s1, exec_lo
	s_waitcnt lgkmcnt(0)
	v_or_b32_e32 v3, s27, v18
	s_delay_alu instid0(VALU_DEP_1)
	v_cmpx_ne_u64_e32 0, v[2:3]
	s_xor_b32 s45, exec_lo, s1
	s_cbranch_execz .LBB54_54
; %bb.53:                               ;   in Loop: Header=BB54_52 Depth=2
	v_cvt_f32_u32_e32 v3, s26
	v_cvt_f32_u32_e32 v25, s27
	s_sub_u32 s1, 0, s26
	s_subb_u32 s46, 0, s27
	s_delay_alu instid0(VALU_DEP_1) | instskip(NEXT) | instid1(VALU_DEP_1)
	v_fmac_f32_e32 v3, 0x4f800000, v25
	v_rcp_f32_e32 v3, v3
	s_waitcnt_depctr 0xfff
	v_mul_f32_e32 v3, 0x5f7ffffc, v3
	s_delay_alu instid0(VALU_DEP_1) | instskip(NEXT) | instid1(VALU_DEP_1)
	v_mul_f32_e32 v25, 0x2f800000, v3
	v_trunc_f32_e32 v25, v25
	s_delay_alu instid0(VALU_DEP_1) | instskip(SKIP_1) | instid1(VALU_DEP_2)
	v_fmac_f32_e32 v3, 0xcf800000, v25
	v_cvt_u32_f32_e32 v25, v25
	v_cvt_u32_f32_e32 v3, v3
	s_delay_alu instid0(VALU_DEP_2) | instskip(NEXT) | instid1(VALU_DEP_2)
	v_mul_lo_u32 v26, s1, v25
	v_mul_hi_u32 v27, s1, v3
	v_mul_lo_u32 v28, s46, v3
	s_delay_alu instid0(VALU_DEP_2) | instskip(SKIP_1) | instid1(VALU_DEP_2)
	v_add_nc_u32_e32 v26, v27, v26
	v_mul_lo_u32 v27, s1, v3
	v_add_nc_u32_e32 v26, v26, v28
	s_delay_alu instid0(VALU_DEP_2) | instskip(NEXT) | instid1(VALU_DEP_2)
	v_mul_hi_u32 v28, v3, v27
	v_mul_lo_u32 v29, v3, v26
	v_mul_hi_u32 v30, v3, v26
	v_mul_hi_u32 v31, v25, v27
	v_mul_lo_u32 v27, v25, v27
	v_mul_hi_u32 v33, v25, v26
	v_mul_lo_u32 v26, v25, v26
	v_add_co_u32 v28, vcc_lo, v28, v29
	v_add_co_ci_u32_e32 v29, vcc_lo, 0, v30, vcc_lo
	s_delay_alu instid0(VALU_DEP_2) | instskip(NEXT) | instid1(VALU_DEP_2)
	v_add_co_u32 v27, vcc_lo, v28, v27
	v_add_co_ci_u32_e32 v27, vcc_lo, v29, v31, vcc_lo
	v_add_co_ci_u32_e32 v28, vcc_lo, 0, v33, vcc_lo
	s_delay_alu instid0(VALU_DEP_2) | instskip(NEXT) | instid1(VALU_DEP_2)
	v_add_co_u32 v26, vcc_lo, v27, v26
	v_add_co_ci_u32_e32 v27, vcc_lo, 0, v28, vcc_lo
	s_delay_alu instid0(VALU_DEP_2) | instskip(NEXT) | instid1(VALU_DEP_2)
	v_add_co_u32 v3, vcc_lo, v3, v26
	v_add_co_ci_u32_e32 v25, vcc_lo, v25, v27, vcc_lo
	s_delay_alu instid0(VALU_DEP_2) | instskip(SKIP_1) | instid1(VALU_DEP_3)
	v_mul_hi_u32 v26, s1, v3
	v_mul_lo_u32 v28, s46, v3
	v_mul_lo_u32 v27, s1, v25
	s_delay_alu instid0(VALU_DEP_1) | instskip(SKIP_1) | instid1(VALU_DEP_2)
	v_add_nc_u32_e32 v26, v26, v27
	v_mul_lo_u32 v27, s1, v3
	v_add_nc_u32_e32 v26, v26, v28
	s_delay_alu instid0(VALU_DEP_2) | instskip(NEXT) | instid1(VALU_DEP_2)
	v_mul_hi_u32 v28, v3, v27
	v_mul_lo_u32 v29, v3, v26
	v_mul_hi_u32 v30, v3, v26
	v_mul_hi_u32 v31, v25, v27
	v_mul_lo_u32 v27, v25, v27
	v_mul_hi_u32 v33, v25, v26
	v_mul_lo_u32 v26, v25, v26
	v_add_co_u32 v28, vcc_lo, v28, v29
	v_add_co_ci_u32_e32 v29, vcc_lo, 0, v30, vcc_lo
	s_delay_alu instid0(VALU_DEP_2) | instskip(NEXT) | instid1(VALU_DEP_2)
	v_add_co_u32 v27, vcc_lo, v28, v27
	v_add_co_ci_u32_e32 v27, vcc_lo, v29, v31, vcc_lo
	v_add_co_ci_u32_e32 v28, vcc_lo, 0, v33, vcc_lo
	s_delay_alu instid0(VALU_DEP_2) | instskip(NEXT) | instid1(VALU_DEP_2)
	v_add_co_u32 v26, vcc_lo, v27, v26
	v_add_co_ci_u32_e32 v27, vcc_lo, 0, v28, vcc_lo
	s_delay_alu instid0(VALU_DEP_2) | instskip(NEXT) | instid1(VALU_DEP_2)
	v_add_co_u32 v3, vcc_lo, v3, v26
	v_add_co_ci_u32_e32 v31, vcc_lo, v25, v27, vcc_lo
	s_delay_alu instid0(VALU_DEP_2) | instskip(SKIP_1) | instid1(VALU_DEP_3)
	v_mul_hi_u32 v33, v17, v3
	v_mad_u64_u32 v[27:28], null, v18, v3, 0
	v_mad_u64_u32 v[25:26], null, v17, v31, 0
	v_mad_u64_u32 v[29:30], null, v18, v31, 0
	s_delay_alu instid0(VALU_DEP_2) | instskip(NEXT) | instid1(VALU_DEP_3)
	v_add_co_u32 v3, vcc_lo, v33, v25
	v_add_co_ci_u32_e32 v25, vcc_lo, 0, v26, vcc_lo
	s_delay_alu instid0(VALU_DEP_2) | instskip(NEXT) | instid1(VALU_DEP_2)
	v_add_co_u32 v3, vcc_lo, v3, v27
	v_add_co_ci_u32_e32 v3, vcc_lo, v25, v28, vcc_lo
	v_add_co_ci_u32_e32 v25, vcc_lo, 0, v30, vcc_lo
	s_delay_alu instid0(VALU_DEP_2) | instskip(NEXT) | instid1(VALU_DEP_2)
	v_add_co_u32 v3, vcc_lo, v3, v29
	v_add_co_ci_u32_e32 v27, vcc_lo, 0, v25, vcc_lo
	s_delay_alu instid0(VALU_DEP_2) | instskip(SKIP_1) | instid1(VALU_DEP_3)
	v_mul_lo_u32 v28, s27, v3
	v_mad_u64_u32 v[25:26], null, s26, v3, 0
	v_mul_lo_u32 v29, s26, v27
	s_delay_alu instid0(VALU_DEP_2) | instskip(NEXT) | instid1(VALU_DEP_2)
	v_sub_co_u32 v25, vcc_lo, v17, v25
	v_add3_u32 v26, v26, v29, v28
	s_delay_alu instid0(VALU_DEP_1) | instskip(NEXT) | instid1(VALU_DEP_1)
	v_sub_nc_u32_e32 v28, v18, v26
	v_subrev_co_ci_u32_e64 v28, s1, s27, v28, vcc_lo
	v_add_co_u32 v29, s1, v3, 2
	s_delay_alu instid0(VALU_DEP_1) | instskip(SKIP_3) | instid1(VALU_DEP_3)
	v_add_co_ci_u32_e64 v30, s1, 0, v27, s1
	v_sub_co_u32 v31, s1, v25, s26
	v_sub_co_ci_u32_e32 v26, vcc_lo, v18, v26, vcc_lo
	v_subrev_co_ci_u32_e64 v28, s1, 0, v28, s1
	v_cmp_le_u32_e32 vcc_lo, s26, v31
	s_delay_alu instid0(VALU_DEP_3) | instskip(SKIP_1) | instid1(VALU_DEP_4)
	v_cmp_eq_u32_e64 s1, s27, v26
	v_cndmask_b32_e64 v31, 0, -1, vcc_lo
	v_cmp_le_u32_e32 vcc_lo, s27, v28
	v_cndmask_b32_e64 v33, 0, -1, vcc_lo
	v_cmp_le_u32_e32 vcc_lo, s26, v25
	;; [unrolled: 2-line block ×3, first 2 shown]
	v_cndmask_b32_e64 v34, 0, -1, vcc_lo
	v_cmp_eq_u32_e32 vcc_lo, s27, v28
	s_delay_alu instid0(VALU_DEP_2) | instskip(SKIP_3) | instid1(VALU_DEP_3)
	v_cndmask_b32_e64 v25, v34, v25, s1
	v_cndmask_b32_e32 v28, v33, v31, vcc_lo
	v_add_co_u32 v31, vcc_lo, v3, 1
	v_add_co_ci_u32_e32 v33, vcc_lo, 0, v27, vcc_lo
	v_cmp_ne_u32_e32 vcc_lo, 0, v28
	s_delay_alu instid0(VALU_DEP_3) | instskip(NEXT) | instid1(VALU_DEP_3)
	v_cndmask_b32_e32 v28, v31, v29, vcc_lo
	v_cndmask_b32_e32 v26, v33, v30, vcc_lo
	v_cmp_ne_u32_e32 vcc_lo, 0, v25
	s_delay_alu instid0(VALU_DEP_3) | instskip(NEXT) | instid1(VALU_DEP_3)
	v_cndmask_b32_e32 v25, v3, v28, vcc_lo
	v_cndmask_b32_e32 v26, v27, v26, vcc_lo
.LBB54_54:                              ;   in Loop: Header=BB54_52 Depth=2
	s_and_not1_saveexec_b32 s1, s45
	s_cbranch_execz .LBB54_56
; %bb.55:                               ;   in Loop: Header=BB54_52 Depth=2
	v_cvt_f32_u32_e32 v3, s26
	s_sub_i32 s45, 0, s26
	s_delay_alu instid0(VALU_DEP_1) | instskip(SKIP_2) | instid1(VALU_DEP_1)
	v_rcp_iflag_f32_e32 v3, v3
	s_waitcnt_depctr 0xfff
	v_mul_f32_e32 v3, 0x4f7ffffe, v3
	v_cvt_u32_f32_e32 v3, v3
	s_delay_alu instid0(VALU_DEP_1) | instskip(NEXT) | instid1(VALU_DEP_1)
	v_mul_lo_u32 v25, s45, v3
	v_mul_hi_u32 v25, v3, v25
	s_delay_alu instid0(VALU_DEP_1) | instskip(NEXT) | instid1(VALU_DEP_1)
	v_add_nc_u32_e32 v3, v3, v25
	v_mul_hi_u32 v3, v17, v3
	s_delay_alu instid0(VALU_DEP_1) | instskip(SKIP_1) | instid1(VALU_DEP_2)
	v_mul_lo_u32 v25, v3, s26
	v_add_nc_u32_e32 v26, 1, v3
	v_sub_nc_u32_e32 v25, v17, v25
	s_delay_alu instid0(VALU_DEP_1) | instskip(SKIP_1) | instid1(VALU_DEP_2)
	v_subrev_nc_u32_e32 v27, s26, v25
	v_cmp_le_u32_e32 vcc_lo, s26, v25
	v_cndmask_b32_e32 v25, v25, v27, vcc_lo
	v_cndmask_b32_e32 v3, v3, v26, vcc_lo
	s_delay_alu instid0(VALU_DEP_2) | instskip(NEXT) | instid1(VALU_DEP_2)
	v_cmp_le_u32_e32 vcc_lo, s26, v25
	v_add_nc_u32_e32 v26, 1, v3
	s_delay_alu instid0(VALU_DEP_1)
	v_dual_cndmask_b32 v25, v3, v26 :: v_dual_mov_b32 v26, v2
.LBB54_56:                              ;   in Loop: Header=BB54_52 Depth=2
	s_or_b32 exec_lo, exec_lo, s1
	s_load_b64 s[46:47], s[24:25], 0xc8
	s_delay_alu instid0(VALU_DEP_1) | instskip(NEXT) | instid1(VALU_DEP_2)
	v_mul_lo_u32 v3, v26, s26
	v_mul_lo_u32 v29, v25, s27
	v_mad_u64_u32 v[27:28], null, v25, s26, 0
	s_add_i32 s44, s44, -1
	s_add_u32 s24, s24, -8
	s_addc_u32 s25, s25, -1
	s_cmp_gt_u32 s44, 2
	s_delay_alu instid0(VALU_DEP_1) | instskip(NEXT) | instid1(VALU_DEP_2)
	v_add3_u32 v3, v28, v29, v3
	v_sub_co_u32 v27, vcc_lo, v17, v27
	s_delay_alu instid0(VALU_DEP_2) | instskip(SKIP_1) | instid1(VALU_DEP_2)
	v_sub_co_ci_u32_e32 v3, vcc_lo, v18, v3, vcc_lo
	s_waitcnt lgkmcnt(0)
	v_mul_lo_u32 v28, s47, v27
	s_delay_alu instid0(VALU_DEP_2) | instskip(SKIP_1) | instid1(VALU_DEP_1)
	v_mul_lo_u32 v3, s46, v3
	v_mad_u64_u32 v[17:18], null, s46, v27, v[23:24]
	v_add3_u32 v24, v28, v18, v3
	s_delay_alu instid0(VALU_DEP_2)
	v_mov_b32_e32 v23, v17
	s_cbranch_scc0 .LBB54_63
; %bb.57:                               ;   in Loop: Header=BB54_52 Depth=2
	v_dual_mov_b32 v17, v25 :: v_dual_mov_b32 v18, v26
	s_branch .LBB54_52
.LBB54_58:                              ;   in Loop: Header=BB54_59 Depth=2
	s_or_b32 exec_lo, exec_lo, s0
	s_load_b64 s[44:45], s[24:25], 0xc8
	s_delay_alu instid0(VALU_DEP_1)
	v_mul_lo_u32 v3, v20, s26
	v_mul_lo_u32 v25, v19, s27
	v_mad_u64_u32 v[23:24], null, v19, s26, 0
	s_add_i32 s43, s43, -1
	s_add_u32 s24, s24, -8
	s_addc_u32 s25, s25, -1
	s_cmp_gt_u32 s43, 2
	s_delay_alu instid0(VALU_DEP_1) | instskip(NEXT) | instid1(VALU_DEP_2)
	v_add3_u32 v3, v24, v25, v3
	v_sub_co_u32 v23, vcc_lo, v17, v23
	s_delay_alu instid0(VALU_DEP_2) | instskip(SKIP_1) | instid1(VALU_DEP_2)
	v_sub_co_ci_u32_e32 v3, vcc_lo, v18, v3, vcc_lo
	s_waitcnt lgkmcnt(0)
	v_mul_lo_u32 v24, s45, v23
	s_delay_alu instid0(VALU_DEP_2) | instskip(SKIP_1) | instid1(VALU_DEP_1)
	v_mul_lo_u32 v3, s44, v3
	v_mad_u64_u32 v[17:18], null, s44, v23, v[21:22]
	v_add3_u32 v22, v24, v18, v3
	s_delay_alu instid0(VALU_DEP_2)
	v_mov_b32_e32 v21, v17
	v_dual_mov_b32 v17, v19 :: v_dual_mov_b32 v18, v20
	s_cbranch_scc0 .LBB54_49
.LBB54_59:                              ;   Parent Loop BB54_3 Depth=1
                                        ; =>  This Inner Loop Header: Depth=2
	s_load_b64 s[26:27], s[24:25], 0x0
                                        ; implicit-def: $vgpr19_vgpr20
	s_mov_b32 s0, exec_lo
	s_waitcnt lgkmcnt(0)
	v_or_b32_e32 v3, s27, v18
	s_delay_alu instid0(VALU_DEP_1)
	v_cmpx_ne_u64_e32 0, v[2:3]
	s_xor_b32 s44, exec_lo, s0
	s_cbranch_execz .LBB54_61
; %bb.60:                               ;   in Loop: Header=BB54_59 Depth=2
	v_cvt_f32_u32_e32 v3, s26
	v_cvt_f32_u32_e32 v19, s27
	s_sub_u32 s0, 0, s26
	s_subb_u32 s45, 0, s27
	s_delay_alu instid0(VALU_DEP_1) | instskip(NEXT) | instid1(VALU_DEP_1)
	v_fmac_f32_e32 v3, 0x4f800000, v19
	v_rcp_f32_e32 v3, v3
	s_waitcnt_depctr 0xfff
	v_mul_f32_e32 v3, 0x5f7ffffc, v3
	s_delay_alu instid0(VALU_DEP_1) | instskip(NEXT) | instid1(VALU_DEP_1)
	v_mul_f32_e32 v19, 0x2f800000, v3
	v_trunc_f32_e32 v19, v19
	s_delay_alu instid0(VALU_DEP_1) | instskip(SKIP_1) | instid1(VALU_DEP_2)
	v_fmac_f32_e32 v3, 0xcf800000, v19
	v_cvt_u32_f32_e32 v19, v19
	v_cvt_u32_f32_e32 v3, v3
	s_delay_alu instid0(VALU_DEP_2) | instskip(NEXT) | instid1(VALU_DEP_2)
	v_mul_lo_u32 v20, s0, v19
	v_mul_hi_u32 v23, s0, v3
	v_mul_lo_u32 v24, s45, v3
	s_delay_alu instid0(VALU_DEP_2) | instskip(SKIP_1) | instid1(VALU_DEP_2)
	v_add_nc_u32_e32 v20, v23, v20
	v_mul_lo_u32 v23, s0, v3
	v_add_nc_u32_e32 v20, v20, v24
	s_delay_alu instid0(VALU_DEP_2) | instskip(NEXT) | instid1(VALU_DEP_2)
	v_mul_hi_u32 v24, v3, v23
	v_mul_lo_u32 v25, v3, v20
	v_mul_hi_u32 v26, v3, v20
	v_mul_hi_u32 v27, v19, v23
	v_mul_lo_u32 v23, v19, v23
	v_mul_hi_u32 v28, v19, v20
	v_mul_lo_u32 v20, v19, v20
	v_add_co_u32 v24, vcc_lo, v24, v25
	v_add_co_ci_u32_e32 v25, vcc_lo, 0, v26, vcc_lo
	s_delay_alu instid0(VALU_DEP_2) | instskip(NEXT) | instid1(VALU_DEP_2)
	v_add_co_u32 v23, vcc_lo, v24, v23
	v_add_co_ci_u32_e32 v23, vcc_lo, v25, v27, vcc_lo
	v_add_co_ci_u32_e32 v24, vcc_lo, 0, v28, vcc_lo
	s_delay_alu instid0(VALU_DEP_2) | instskip(NEXT) | instid1(VALU_DEP_2)
	v_add_co_u32 v20, vcc_lo, v23, v20
	v_add_co_ci_u32_e32 v23, vcc_lo, 0, v24, vcc_lo
	s_delay_alu instid0(VALU_DEP_2) | instskip(NEXT) | instid1(VALU_DEP_2)
	v_add_co_u32 v3, vcc_lo, v3, v20
	v_add_co_ci_u32_e32 v19, vcc_lo, v19, v23, vcc_lo
	s_delay_alu instid0(VALU_DEP_2) | instskip(SKIP_1) | instid1(VALU_DEP_3)
	v_mul_hi_u32 v20, s0, v3
	v_mul_lo_u32 v24, s45, v3
	v_mul_lo_u32 v23, s0, v19
	s_delay_alu instid0(VALU_DEP_1) | instskip(SKIP_1) | instid1(VALU_DEP_2)
	v_add_nc_u32_e32 v20, v20, v23
	v_mul_lo_u32 v23, s0, v3
	v_add_nc_u32_e32 v20, v20, v24
	s_delay_alu instid0(VALU_DEP_2) | instskip(NEXT) | instid1(VALU_DEP_2)
	v_mul_hi_u32 v24, v3, v23
	v_mul_lo_u32 v25, v3, v20
	v_mul_hi_u32 v26, v3, v20
	v_mul_hi_u32 v27, v19, v23
	v_mul_lo_u32 v23, v19, v23
	v_mul_hi_u32 v28, v19, v20
	v_mul_lo_u32 v20, v19, v20
	v_add_co_u32 v24, vcc_lo, v24, v25
	v_add_co_ci_u32_e32 v25, vcc_lo, 0, v26, vcc_lo
	s_delay_alu instid0(VALU_DEP_2) | instskip(NEXT) | instid1(VALU_DEP_2)
	v_add_co_u32 v23, vcc_lo, v24, v23
	v_add_co_ci_u32_e32 v23, vcc_lo, v25, v27, vcc_lo
	v_add_co_ci_u32_e32 v24, vcc_lo, 0, v28, vcc_lo
	s_delay_alu instid0(VALU_DEP_2) | instskip(NEXT) | instid1(VALU_DEP_2)
	v_add_co_u32 v20, vcc_lo, v23, v20
	v_add_co_ci_u32_e32 v23, vcc_lo, 0, v24, vcc_lo
	s_delay_alu instid0(VALU_DEP_2) | instskip(NEXT) | instid1(VALU_DEP_2)
	v_add_co_u32 v3, vcc_lo, v3, v20
	v_add_co_ci_u32_e32 v27, vcc_lo, v19, v23, vcc_lo
	s_delay_alu instid0(VALU_DEP_2) | instskip(SKIP_1) | instid1(VALU_DEP_3)
	v_mul_hi_u32 v28, v17, v3
	v_mad_u64_u32 v[23:24], null, v18, v3, 0
	v_mad_u64_u32 v[19:20], null, v17, v27, 0
	;; [unrolled: 1-line block ×3, first 2 shown]
	s_delay_alu instid0(VALU_DEP_2) | instskip(NEXT) | instid1(VALU_DEP_3)
	v_add_co_u32 v3, vcc_lo, v28, v19
	v_add_co_ci_u32_e32 v19, vcc_lo, 0, v20, vcc_lo
	s_delay_alu instid0(VALU_DEP_2) | instskip(NEXT) | instid1(VALU_DEP_2)
	v_add_co_u32 v3, vcc_lo, v3, v23
	v_add_co_ci_u32_e32 v3, vcc_lo, v19, v24, vcc_lo
	v_add_co_ci_u32_e32 v19, vcc_lo, 0, v26, vcc_lo
	s_delay_alu instid0(VALU_DEP_2) | instskip(NEXT) | instid1(VALU_DEP_2)
	v_add_co_u32 v3, vcc_lo, v3, v25
	v_add_co_ci_u32_e32 v23, vcc_lo, 0, v19, vcc_lo
	s_delay_alu instid0(VALU_DEP_2) | instskip(SKIP_1) | instid1(VALU_DEP_3)
	v_mul_lo_u32 v24, s27, v3
	v_mad_u64_u32 v[19:20], null, s26, v3, 0
	v_mul_lo_u32 v25, s26, v23
	s_delay_alu instid0(VALU_DEP_2) | instskip(NEXT) | instid1(VALU_DEP_2)
	v_sub_co_u32 v19, vcc_lo, v17, v19
	v_add3_u32 v20, v20, v25, v24
	s_delay_alu instid0(VALU_DEP_1) | instskip(NEXT) | instid1(VALU_DEP_1)
	v_sub_nc_u32_e32 v24, v18, v20
	v_subrev_co_ci_u32_e64 v24, s0, s27, v24, vcc_lo
	v_add_co_u32 v25, s0, v3, 2
	s_delay_alu instid0(VALU_DEP_1) | instskip(SKIP_3) | instid1(VALU_DEP_3)
	v_add_co_ci_u32_e64 v26, s0, 0, v23, s0
	v_sub_co_u32 v27, s0, v19, s26
	v_sub_co_ci_u32_e32 v20, vcc_lo, v18, v20, vcc_lo
	v_subrev_co_ci_u32_e64 v24, s0, 0, v24, s0
	v_cmp_le_u32_e32 vcc_lo, s26, v27
	s_delay_alu instid0(VALU_DEP_3) | instskip(SKIP_1) | instid1(VALU_DEP_4)
	v_cmp_eq_u32_e64 s0, s27, v20
	v_cndmask_b32_e64 v27, 0, -1, vcc_lo
	v_cmp_le_u32_e32 vcc_lo, s27, v24
	v_cndmask_b32_e64 v28, 0, -1, vcc_lo
	v_cmp_le_u32_e32 vcc_lo, s26, v19
	;; [unrolled: 2-line block ×3, first 2 shown]
	v_cndmask_b32_e64 v29, 0, -1, vcc_lo
	v_cmp_eq_u32_e32 vcc_lo, s27, v24
	s_delay_alu instid0(VALU_DEP_2) | instskip(SKIP_3) | instid1(VALU_DEP_3)
	v_cndmask_b32_e64 v19, v29, v19, s0
	v_cndmask_b32_e32 v24, v28, v27, vcc_lo
	v_add_co_u32 v27, vcc_lo, v3, 1
	v_add_co_ci_u32_e32 v28, vcc_lo, 0, v23, vcc_lo
	v_cmp_ne_u32_e32 vcc_lo, 0, v24
	s_delay_alu instid0(VALU_DEP_2) | instskip(NEXT) | instid1(VALU_DEP_4)
	v_cndmask_b32_e32 v20, v28, v26, vcc_lo
	v_cndmask_b32_e32 v24, v27, v25, vcc_lo
	v_cmp_ne_u32_e32 vcc_lo, 0, v19
	s_delay_alu instid0(VALU_DEP_2) | instskip(NEXT) | instid1(VALU_DEP_4)
	v_cndmask_b32_e32 v19, v3, v24, vcc_lo
	v_cndmask_b32_e32 v20, v23, v20, vcc_lo
.LBB54_61:                              ;   in Loop: Header=BB54_59 Depth=2
	s_and_not1_saveexec_b32 s0, s44
	s_cbranch_execz .LBB54_58
; %bb.62:                               ;   in Loop: Header=BB54_59 Depth=2
	v_cvt_f32_u32_e32 v3, s26
	s_sub_i32 s44, 0, s26
	s_delay_alu instid0(VALU_DEP_1) | instskip(SKIP_2) | instid1(VALU_DEP_1)
	v_rcp_iflag_f32_e32 v3, v3
	s_waitcnt_depctr 0xfff
	v_mul_f32_e32 v3, 0x4f7ffffe, v3
	v_cvt_u32_f32_e32 v3, v3
	s_delay_alu instid0(VALU_DEP_1) | instskip(NEXT) | instid1(VALU_DEP_1)
	v_mul_lo_u32 v19, s44, v3
	v_mul_hi_u32 v19, v3, v19
	s_delay_alu instid0(VALU_DEP_1) | instskip(NEXT) | instid1(VALU_DEP_1)
	v_add_nc_u32_e32 v3, v3, v19
	v_mul_hi_u32 v3, v17, v3
	s_delay_alu instid0(VALU_DEP_1) | instskip(SKIP_1) | instid1(VALU_DEP_2)
	v_mul_lo_u32 v19, v3, s26
	v_add_nc_u32_e32 v20, 1, v3
	v_sub_nc_u32_e32 v19, v17, v19
	s_delay_alu instid0(VALU_DEP_1) | instskip(SKIP_1) | instid1(VALU_DEP_2)
	v_subrev_nc_u32_e32 v23, s26, v19
	v_cmp_le_u32_e32 vcc_lo, s26, v19
	v_cndmask_b32_e32 v19, v19, v23, vcc_lo
	v_cndmask_b32_e32 v3, v3, v20, vcc_lo
	s_delay_alu instid0(VALU_DEP_2) | instskip(NEXT) | instid1(VALU_DEP_2)
	v_cmp_le_u32_e32 vcc_lo, s26, v19
	v_add_nc_u32_e32 v20, 1, v3
	s_delay_alu instid0(VALU_DEP_1)
	v_dual_cndmask_b32 v19, v3, v20 :: v_dual_mov_b32 v20, v2
	s_branch .LBB54_58
.LBB54_63:                              ;   in Loop: Header=BB54_3 Depth=1
	s_delay_alu instid0(VALU_DEP_1) | instskip(SKIP_2) | instid1(VALU_DEP_1)
	v_mad_u64_u32 v[17:18], null, s14, v25, v[23:24]
	v_mul_lo_u32 v3, s14, v26
	v_mul_lo_u32 v23, s15, v25
	v_add3_u32 v18, v23, v18, v3
.LBB54_64:                              ;   in Loop: Header=BB54_3 Depth=1
	s_or_b32 exec_lo, exec_lo, s43
	v_mov_b32_e32 v25, 0
	v_mov_b32_e32 v26, 0
	s_and_saveexec_b32 s1, s0
	s_cbranch_execz .LBB54_67
; %bb.65:                               ;   in Loop: Header=BB54_3 Depth=1
	v_mov_b32_e32 v23, 0
	v_mov_b32_e32 v24, 0
	s_and_not1_b32 vcc_lo, exec_lo, s29
	s_mov_b64 s[24:25], s[22:23]
	s_mov_b32 s43, s34
	s_cbranch_vccz .LBB54_97
.LBB54_66:                              ;   in Loop: Header=BB54_3 Depth=1
	s_delay_alu instid0(VALU_DEP_1) | instskip(NEXT) | instid1(VALU_DEP_2)
	v_mad_u64_u32 v[25:26], null, s2, v21, v[23:24]
	v_mul_lo_u32 v3, s2, v22
	v_mul_lo_u32 v21, s3, v21
	s_delay_alu instid0(VALU_DEP_1)
	v_add3_u32 v26, v21, v26, v3
.LBB54_67:                              ;   in Loop: Header=BB54_3 Depth=1
	s_or_b32 exec_lo, exec_lo, s1
	v_lshlrev_b64 v[11:12], 2, v[11:12]
	v_lshlrev_b64 v[15:16], 2, v[15:16]
	;; [unrolled: 1-line block ×4, first 2 shown]
	s_delay_alu instid0(VALU_DEP_4)
	v_add_co_u32 v11, vcc_lo, s12, v11
	v_add_co_ci_u32_e32 v12, vcc_lo, s13, v12, vcc_lo
	v_add_co_u32 v15, vcc_lo, s12, v15
	v_add_co_ci_u32_e32 v16, vcc_lo, s13, v16, vcc_lo
	;; [unrolled: 2-line block ×4, first 2 shown]
	s_clause 0x3
	global_load_b32 v3, v[11:12], off
	global_load_b32 v33, v[15:16], off
	;; [unrolled: 1-line block ×4, first 2 shown]
	v_dual_mov_b32 v20, s9 :: v_dual_mov_b32 v19, s8
	v_dual_mov_b32 v22, s7 :: v_dual_mov_b32 v21, s6
	s_and_not1_b32 vcc_lo, exec_lo, s30
	s_cbranch_vccnz .LBB54_69
; %bb.68:                               ;   in Loop: Header=BB54_3 Depth=1
	v_dual_mov_b32 v12, s9 :: v_dual_mov_b32 v11, s8
	v_dual_mov_b32 v16, s7 :: v_dual_mov_b32 v15, s6
	flat_load_b64 v[11:12], v[11:12]
	flat_load_b64 v[21:22], v[15:16]
	s_waitcnt vmcnt(1) lgkmcnt(1)
	v_add_co_u32 v19, vcc_lo, v11, s10
	v_add_co_ci_u32_e32 v20, vcc_lo, s11, v12, vcc_lo
.LBB54_69:                              ;   in Loop: Header=BB54_3 Depth=1
	s_delay_alu instid0(VALU_DEP_1)
	v_alignbit_b32 v23, v20, v19, 2
	v_lshrrev_b32_e32 v15, 2, v20
	s_waitcnt vmcnt(0) lgkmcnt(0)
	v_add_nc_u32_e32 v36, 0x9e3779b9, v21
	v_add_nc_u32_e32 v38, 0x3c6ef372, v21
	;; [unrolled: 1-line block ×3, first 2 shown]
	v_add_co_u32 v16, vcc_lo, v23, 1
	s_delay_alu instid0(VALU_DEP_1) | instskip(SKIP_4) | instid1(VALU_DEP_4)
	v_cndmask_b32_e64 v11, 0, 1, vcc_lo
	v_add_co_ci_u32_e32 v20, vcc_lo, 0, v15, vcc_lo
	v_xor3_b32 v25, v0, v21, v15
	v_add_nc_u32_e32 v40, 0x32370b8f, v22
	v_add_nc_u32_e32 v41, 0xed9eba14, v22
	v_cmp_eq_u32_e32 vcc_lo, 0, v20
	v_add_nc_u32_e32 v42, 0x646e171e, v22
	v_add_nc_u32_e32 v43, 0x1fd5c5a3, v22
	s_mov_b32 s0, exec_lo
	v_dual_cndmask_b32 v24, 0, v11 :: v_dual_add_nc_u32 v37, 0xbb67ae85, v22
	v_mad_u64_u32 v[11:12], null, 0xd2511f53, v16, 0
	v_mad_u64_u32 v[15:16], null, 0xd2511f53, v23, 0
	s_delay_alu instid0(VALU_DEP_3) | instskip(NEXT) | instid1(VALU_DEP_3)
	v_add_nc_u32_e32 v27, v24, v1
	v_xor_b32_e32 v12, v12, v22
	s_delay_alu instid0(VALU_DEP_2) | instskip(SKIP_1) | instid1(VALU_DEP_1)
	v_cmp_eq_u32_e32 vcc_lo, 0, v27
	v_cndmask_b32_e32 v24, 0, v24, vcc_lo
	v_xor_b32_e32 v12, v24, v12
	v_mad_u64_u32 v[23:24], null, 0xd2511f53, v25, 0
	v_mad_u64_u32 v[25:26], null, 0xcd9e8d57, v27, 0
	s_delay_alu instid0(VALU_DEP_3) | instskip(SKIP_1) | instid1(VALU_DEP_4)
	v_mad_u64_u32 v[27:28], null, 0xcd9e8d57, v12, 0
	v_xor_b32_e32 v12, v16, v22
	v_xor3_b32 v29, v37, v24, v15
	s_delay_alu instid0(VALU_DEP_2) | instskip(SKIP_2) | instid1(VALU_DEP_4)
	v_mad_u64_u32 v[15:16], null, 0xcd9e8d57, v12, 0
	v_xor3_b32 v12, v26, v21, v20
	v_xor3_b32 v20, v36, v28, v25
	v_mad_u64_u32 v[24:25], null, 0xcd9e8d57, v29, 0
	s_delay_alu instid0(VALU_DEP_3) | instskip(NEXT) | instid1(VALU_DEP_3)
	v_mad_u64_u32 v[28:29], null, 0xd2511f53, v12, 0
	v_mad_u64_u32 v[30:31], null, 0xd2511f53, v20, 0
	v_xor3_b32 v12, v6, v16, v36
	s_delay_alu instid0(VALU_DEP_4) | instskip(SKIP_2) | instid1(VALU_DEP_4)
	v_xor3_b32 v25, v38, v25, v15
	v_add_nc_u32_e32 v20, 0xdaa66d2b, v21
	v_xor3_b32 v29, v37, v29, v11
	v_mad_u64_u32 v[15:16], null, 0xd2511f53, v12, 0
	v_xor3_b32 v31, v39, v31, v28
	v_mad_u64_u32 v[11:12], null, 0xd2511f53, v25, 0
	s_delay_alu instid0(VALU_DEP_4) | instskip(NEXT) | instid1(VALU_DEP_3)
	v_mad_u64_u32 v[25:26], null, 0xcd9e8d57, v29, 0
	v_mad_u64_u32 v[28:29], null, 0xcd9e8d57, v31, 0
	v_xor3_b32 v23, v39, v16, v23
	v_add_nc_u32_e32 v31, 0x78dde6e4, v21
	v_xor3_b32 v12, v40, v12, v15
	s_delay_alu instid0(VALU_DEP_3) | instskip(SKIP_2) | instid1(VALU_DEP_4)
	v_mad_u64_u32 v[15:16], null, 0xcd9e8d57, v23, 0
	v_xor3_b32 v23, v38, v26, v27
	v_xor3_b32 v27, v20, v29, v25
	v_mad_u64_u32 v[25:26], null, 0xcd9e8d57, v12, 0
	s_delay_alu instid0(VALU_DEP_3) | instskip(NEXT) | instid1(VALU_DEP_3)
	v_mad_u64_u32 v[36:37], null, 0xd2511f53, v23, 0
	v_mad_u64_u32 v[38:39], null, 0xd2511f53, v27, 0
	v_xor3_b32 v12, v20, v16, v24
	s_delay_alu instid0(VALU_DEP_4) | instskip(SKIP_2) | instid1(VALU_DEP_4)
	v_xor3_b32 v23, v31, v26, v15
	v_add_nc_u32_e32 v20, 0x1715609d, v21
	v_add_nc_u32_e32 v27, 0xa9066899, v22
	v_mad_u64_u32 v[15:16], null, 0xd2511f53, v12, 0
	v_xor3_b32 v12, v40, v37, v30
	v_xor3_b32 v26, v41, v39, v36
	v_mad_u64_u32 v[29:30], null, 0xd2511f53, v23, 0
	s_delay_alu instid0(VALU_DEP_3) | instskip(NEXT) | instid1(VALU_DEP_3)
	v_mad_u64_u32 v[23:24], null, 0xcd9e8d57, v12, 0
	v_mad_u64_u32 v[36:37], null, 0xcd9e8d57, v26, 0
	v_xor3_b32 v16, v41, v16, v11
	s_delay_alu instid0(VALU_DEP_4) | instskip(SKIP_2) | instid1(VALU_DEP_4)
	v_xor3_b32 v26, v27, v30, v15
	v_add_nc_u32_e32 v41, 0xb54cda56, v21
	v_xor3_b32 v28, v31, v24, v28
	v_mad_u64_u32 v[11:12], null, 0xcd9e8d57, v16, 0
	v_xor3_b32 v30, v20, v37, v23
	v_mad_u64_u32 v[15:16], null, 0xcd9e8d57, v26, 0
	s_delay_alu instid0(VALU_DEP_4) | instskip(NEXT) | instid1(VALU_DEP_3)
	v_mad_u64_u32 v[23:24], null, 0xd2511f53, v28, 0
	v_mad_u64_u32 v[39:40], null, 0xd2511f53, v30, 0
	v_xor3_b32 v20, v20, v12, v25
	v_add_nc_u32_e32 v28, 0x5384540f, v21
	v_xor3_b32 v16, v41, v16, v11
	v_add_nc_u32_e32 v37, 0xdb3d7428, v22
	s_delay_alu instid0(VALU_DEP_4) | instskip(SKIP_4) | instid1(VALU_DEP_4)
	v_mad_u64_u32 v[11:12], null, 0xd2511f53, v20, 0
	v_xor3_b32 v20, v27, v24, v38
	v_xor3_b32 v25, v42, v40, v23
	v_mad_u64_u32 v[23:24], null, 0xd2511f53, v16, 0
	v_add_nc_u32_e32 v38, 0x96a522ad, v22
	v_mad_u64_u32 v[30:31], null, 0xcd9e8d57, v20, 0
	s_delay_alu instid0(VALU_DEP_4) | instskip(SKIP_3) | instid1(VALU_DEP_3)
	v_mad_u64_u32 v[26:27], null, 0xcd9e8d57, v25, 0
	v_xor3_b32 v16, v42, v12, v29
	v_xor3_b32 v29, v43, v24, v11
	v_add_co_u32 v20, null, 0xf1bbcdc8, v21
	v_mad_u64_u32 v[11:12], null, 0xcd9e8d57, v16, 0
	v_xor3_b32 v16, v41, v31, v36
	v_xor3_b32 v27, v28, v27, v30
	v_mad_u64_u32 v[24:25], null, 0xcd9e8d57, v29, 0
	v_and_b32_e32 v36, 3, v19
	s_delay_alu instid0(VALU_DEP_4) | instskip(NEXT) | instid1(VALU_DEP_4)
	v_mad_u64_u32 v[40:41], null, 0xd2511f53, v16, 0
	v_mad_u64_u32 v[29:30], null, 0xd2511f53, v27, 0
	v_xor3_b32 v12, v28, v12, v15
	v_xor3_b32 v15, v20, v25, v11
	s_delay_alu instid0(VALU_DEP_4) | instskip(NEXT) | instid1(VALU_DEP_3)
	v_xor3_b32 v16, v43, v41, v39
	v_mad_u64_u32 v[27:28], null, 0xd2511f53, v12, 0
	v_xor3_b32 v25, v37, v30, v40
	s_delay_alu instid0(VALU_DEP_4) | instskip(NEXT) | instid1(VALU_DEP_4)
	v_mad_u64_u32 v[11:12], null, 0xd2511f53, v15, 0
	v_mad_u64_u32 v[30:31], null, 0xcd9e8d57, v16, 0
	s_delay_alu instid0(VALU_DEP_3) | instskip(SKIP_1) | instid1(VALU_DEP_4)
	v_mad_u64_u32 v[15:16], null, 0xcd9e8d57, v25, 0
	v_add_nc_u32_e32 v25, 0x8ff34781, v21
                                        ; implicit-def: $vgpr21
	v_xor3_b32 v22, v12, v27, v38
	s_delay_alu instid0(VALU_DEP_2)
	v_xor3_b32 v12, v16, v30, v25
	v_cmpx_lt_i32_e32 1, v36
	s_xor_b32 s0, exec_lo, s0
	s_cbranch_execz .LBB54_75
; %bb.70:                               ;   in Loop: Header=BB54_3 Depth=1
	s_mov_b32 s1, exec_lo
                                        ; implicit-def: $vgpr21
	v_cmpx_lt_i32_e32 2, v36
	s_xor_b32 s1, exec_lo, s1
; %bb.71:                               ;   in Loop: Header=BB54_3 Depth=1
	v_xor3_b32 v16, v20, v31, v26
                                        ; implicit-def: $vgpr22
	s_delay_alu instid0(VALU_DEP_1) | instskip(NEXT) | instid1(VALU_DEP_1)
	v_mul_hi_u32 v16, 0xd2511f53, v16
	v_xor3_b32 v21, v16, v29, v38
; %bb.72:                               ;   in Loop: Header=BB54_3 Depth=1
	s_and_not1_saveexec_b32 s1, s1
; %bb.73:                               ;   in Loop: Header=BB54_3 Depth=1
	v_mov_b32_e32 v21, v15
	v_dual_mov_b32 v15, v12 :: v_dual_mov_b32 v12, v11
	v_mov_b32_e32 v11, v22
; %bb.74:                               ;   in Loop: Header=BB54_3 Depth=1
	s_or_b32 exec_lo, exec_lo, s1
                                        ; implicit-def: $vgpr23_vgpr24
                                        ; implicit-def: $vgpr36
                                        ; implicit-def: $vgpr22
                                        ; implicit-def: $vgpr37
                                        ; implicit-def: $vgpr27_vgpr28
                                        ; implicit-def: $vgpr24_vgpr25
                                        ; implicit-def: $vgpr25
.LBB54_75:                              ;   in Loop: Header=BB54_3 Depth=1
	s_and_not1_saveexec_b32 s0, s0
	s_cbranch_execz .LBB54_79
; %bb.76:                               ;   in Loop: Header=BB54_3 Depth=1
	v_xor3_b32 v15, v37, v28, v23
	v_mov_b32_e32 v21, v11
	s_mov_b32 s1, exec_lo
	s_delay_alu instid0(VALU_DEP_2) | instskip(NEXT) | instid1(VALU_DEP_1)
	v_mad_u64_u32 v[19:20], null, 0xcd9e8d57, v15, 0
	v_dual_mov_b32 v15, v22 :: v_dual_mov_b32 v16, v19
	s_delay_alu instid0(VALU_DEP_2)
	v_xor3_b32 v20, v20, v24, v25
	v_cmpx_eq_u32_e32 1, v36
; %bb.77:                               ;   in Loop: Header=BB54_3 Depth=1
	v_dual_mov_b32 v21, v12 :: v_dual_mov_b32 v16, v22
	v_mov_b32_e32 v15, v11
	v_mov_b32_e32 v20, v19
; %bb.78:                               ;   in Loop: Header=BB54_3 Depth=1
	s_or_b32 exec_lo, exec_lo, s1
	s_delay_alu instid0(VALU_DEP_1)
	v_mov_b32_e32 v11, v20
	v_mov_b32_e32 v12, v16
.LBB54_79:                              ;   in Loop: Header=BB54_3 Depth=1
	s_or_b32 exec_lo, exec_lo, s0
	v_min_i32_e32 v16, 4, v32
	s_mov_b32 s1, 0
	s_mov_b32 s44, 0
	;; [unrolled: 1-line block ×3, first 2 shown]
                                        ; implicit-def: $sgpr25
                                        ; implicit-def: $sgpr26
                                        ; implicit-def: $sgpr27
	s_mov_b32 s0, exec_lo
	v_cmpx_lt_i32_e32 2, v16
	s_xor_b32 s43, exec_lo, s0
	s_cbranch_execz .LBB54_91
; %bb.80:                               ;   in Loop: Header=BB54_3 Depth=1
	s_mov_b32 s0, -1
	s_mov_b32 s45, 0
	s_mov_b32 s26, exec_lo
                                        ; implicit-def: $sgpr24
                                        ; implicit-def: $sgpr25
	v_cmpx_lt_i32_e32 3, v16
	s_cbranch_execz .LBB54_86
; %bb.81:                               ;   in Loop: Header=BB54_3 Depth=1
	s_mov_b32 s0, 0
	s_mov_b32 s45, -1
	s_mov_b32 s27, exec_lo
                                        ; implicit-def: $sgpr24
                                        ; implicit-def: $sgpr25
	v_cmpx_eq_u32_e32 4, v16
	s_cbranch_execz .LBB54_85
; %bb.82:                               ;   in Loop: Header=BB54_3 Depth=1
	v_cmp_le_f32_e32 vcc_lo, 0, v35
	v_cmp_ge_f32_e64 s0, 1.0, v35
	s_mov_b32 s24, 0
	s_delay_alu instid0(VALU_DEP_1)
	s_and_b32 s45, vcc_lo, s0
	s_mov_b32 s0, 0
	s_and_saveexec_b32 s25, s45
	s_cbranch_execz .LBB54_84
; %bb.83:                               ;   in Loop: Header=BB54_3 Depth=1
	v_cvt_f32_u32_e32 v19, v21
	v_lshlrev_b64 v[17:18], 3, v[17:18]
	s_mov_b32 s0, exec_lo
	s_delay_alu instid0(VALU_DEP_2) | instskip(NEXT) | instid1(VALU_DEP_2)
	v_dual_mov_b32 v20, s19 :: v_dual_fmaak_f32 v19, 0x2f800000, v19, 0x2f800000
	v_add_co_u32 v17, vcc_lo, s16, v17
	s_delay_alu instid0(VALU_DEP_3) | instskip(NEXT) | instid1(VALU_DEP_3)
	v_add_co_ci_u32_e32 v18, vcc_lo, s17, v18, vcc_lo
	v_cmp_le_f32_e32 vcc_lo, v19, v35
	v_cndmask_b32_e64 v19, 0, 1, vcc_lo
	global_store_b64 v[17:18], v[19:20], off
.LBB54_84:                              ;   in Loop: Header=BB54_3 Depth=1
	s_or_b32 exec_lo, exec_lo, s25
	s_mov_b32 s25, -1
	s_xor_b32 s45, exec_lo, -1
	s_and_b32 s0, s0, exec_lo
.LBB54_85:                              ;   in Loop: Header=BB54_3 Depth=1
	s_or_b32 exec_lo, exec_lo, s27
	s_delay_alu instid0(SALU_CYCLE_1)
	s_and_b32 s45, s45, exec_lo
	s_or_not1_b32 s0, s0, exec_lo
.LBB54_86:                              ;   in Loop: Header=BB54_3 Depth=1
	s_or_b32 exec_lo, exec_lo, s26
	s_mov_b32 s27, s24
	s_and_saveexec_b32 s26, s0
	s_cbranch_execz .LBB54_90
; %bb.87:                               ;   in Loop: Header=BB54_3 Depth=1
	v_cmp_le_f32_e32 vcc_lo, 0, v34
	v_cmp_ge_f32_e64 s0, 1.0, v34
	s_delay_alu instid0(VALU_DEP_1) | instskip(SKIP_2) | instid1(SALU_CYCLE_1)
	s_and_b32 s27, vcc_lo, s0
	s_mov_b32 s0, 0
	s_and_saveexec_b32 s44, s27
	s_xor_b32 s27, exec_lo, s44
	s_cbranch_execz .LBB54_89
; %bb.88:                               ;   in Loop: Header=BB54_3 Depth=1
	v_cvt_f32_u32_e32 v15, v15
	v_lshlrev_b64 v[13:14], 3, v[13:14]
	s_mov_b32 s0, exec_lo
	s_delay_alu instid0(VALU_DEP_2) | instskip(NEXT) | instid1(VALU_DEP_2)
	v_dual_mov_b32 v18, s19 :: v_dual_fmaak_f32 v15, 0x2f800000, v15, 0x2f800000
	v_add_co_u32 v13, vcc_lo, s16, v13
	s_delay_alu instid0(VALU_DEP_3) | instskip(NEXT) | instid1(VALU_DEP_3)
	v_add_co_ci_u32_e32 v14, vcc_lo, s17, v14, vcc_lo
	v_cmp_le_f32_e32 vcc_lo, v15, v34
	v_cndmask_b32_e64 v17, 0, 1, vcc_lo
	global_store_b64 v[13:14], v[17:18], off
.LBB54_89:                              ;   in Loop: Header=BB54_3 Depth=1
	s_or_b32 exec_lo, exec_lo, s27
	s_delay_alu instid0(SALU_CYCLE_1)
	s_and_not1_b32 s27, s24, exec_lo
	s_or_b32 s24, s24, exec_lo
	s_and_not1_b32 s25, s25, exec_lo
	s_and_b32 s44, s0, exec_lo
.LBB54_90:                              ;   in Loop: Header=BB54_3 Depth=1
	s_or_b32 exec_lo, exec_lo, s26
	s_delay_alu instid0(SALU_CYCLE_1)
	s_and_b32 s27, s27, exec_lo
	s_and_b32 s26, s24, exec_lo
	;; [unrolled: 1-line block ×5, first 2 shown]
.LBB54_91:                              ;   in Loop: Header=BB54_3 Depth=1
	s_and_not1_saveexec_b32 s0, s43
; %bb.92:                               ;   in Loop: Header=BB54_3 Depth=1
	v_cmp_lt_i32_e32 vcc_lo, 1, v16
	s_and_not1_b32 s43, s44, exec_lo
	s_mov_b32 s1, exec_lo
	s_and_not1_b32 s27, s27, exec_lo
	s_and_not1_b32 s26, s26, exec_lo
	s_and_b32 s44, vcc_lo, exec_lo
	s_and_not1_b32 s25, s25, exec_lo
	s_or_b32 s44, s43, s44
; %bb.93:                               ;   in Loop: Header=BB54_3 Depth=1
	s_or_b32 exec_lo, exec_lo, s0
	s_mov_b32 s0, 0
	s_mov_b32 s43, s27
	s_and_saveexec_b32 s45, s44
	s_cbranch_execnz .LBB54_101
; %bb.94:                               ;   in Loop: Header=BB54_3 Depth=1
	s_or_b32 exec_lo, exec_lo, s45
	s_and_saveexec_b32 s44, s1
	s_cbranch_execnz .LBB54_104
.LBB54_95:                              ;   in Loop: Header=BB54_3 Depth=1
	s_or_b32 exec_lo, exec_lo, s44
	s_and_saveexec_b32 s1, s0
	s_cbranch_execnz .LBB54_105
	s_branch .LBB54_108
.LBB54_96:                              ;   in Loop: Header=BB54_97 Depth=2
	s_or_b32 exec_lo, exec_lo, s0
	s_load_b64 s[44:45], s[24:25], 0xc8
	s_delay_alu instid0(VALU_DEP_1)
	v_mul_lo_u32 v3, v26, s26
	v_mul_lo_u32 v29, v25, s27
	v_mad_u64_u32 v[27:28], null, v25, s26, 0
	s_add_i32 s43, s43, -1
	s_add_u32 s24, s24, -8
	s_addc_u32 s25, s25, -1
	s_cmp_gt_u32 s43, 2
	s_delay_alu instid0(VALU_DEP_1) | instskip(NEXT) | instid1(VALU_DEP_2)
	v_add3_u32 v3, v28, v29, v3
	v_sub_co_u32 v27, vcc_lo, v21, v27
	s_delay_alu instid0(VALU_DEP_2) | instskip(SKIP_1) | instid1(VALU_DEP_2)
	v_sub_co_ci_u32_e32 v3, vcc_lo, v22, v3, vcc_lo
	s_waitcnt lgkmcnt(0)
	v_mul_lo_u32 v28, s45, v27
	s_delay_alu instid0(VALU_DEP_2) | instskip(SKIP_1) | instid1(VALU_DEP_1)
	v_mul_lo_u32 v3, s44, v3
	v_mad_u64_u32 v[21:22], null, s44, v27, v[23:24]
	v_add3_u32 v24, v28, v22, v3
	s_delay_alu instid0(VALU_DEP_2)
	v_mov_b32_e32 v23, v21
	v_dual_mov_b32 v21, v25 :: v_dual_mov_b32 v22, v26
	s_cbranch_scc0 .LBB54_66
.LBB54_97:                              ;   Parent Loop BB54_3 Depth=1
                                        ; =>  This Inner Loop Header: Depth=2
	s_load_b64 s[26:27], s[24:25], 0x0
                                        ; implicit-def: $vgpr25_vgpr26
	s_mov_b32 s0, exec_lo
	s_waitcnt lgkmcnt(0)
	v_or_b32_e32 v3, s27, v22
	s_delay_alu instid0(VALU_DEP_1)
	v_cmpx_ne_u64_e32 0, v[2:3]
	s_xor_b32 s44, exec_lo, s0
	s_cbranch_execz .LBB54_99
; %bb.98:                               ;   in Loop: Header=BB54_97 Depth=2
	v_cvt_f32_u32_e32 v3, s26
	v_cvt_f32_u32_e32 v25, s27
	s_sub_u32 s0, 0, s26
	s_subb_u32 s45, 0, s27
	s_delay_alu instid0(VALU_DEP_1) | instskip(NEXT) | instid1(VALU_DEP_1)
	v_fmac_f32_e32 v3, 0x4f800000, v25
	v_rcp_f32_e32 v3, v3
	s_waitcnt_depctr 0xfff
	v_mul_f32_e32 v3, 0x5f7ffffc, v3
	s_delay_alu instid0(VALU_DEP_1) | instskip(NEXT) | instid1(VALU_DEP_1)
	v_mul_f32_e32 v25, 0x2f800000, v3
	v_trunc_f32_e32 v25, v25
	s_delay_alu instid0(VALU_DEP_1) | instskip(SKIP_1) | instid1(VALU_DEP_2)
	v_fmac_f32_e32 v3, 0xcf800000, v25
	v_cvt_u32_f32_e32 v25, v25
	v_cvt_u32_f32_e32 v3, v3
	s_delay_alu instid0(VALU_DEP_2) | instskip(NEXT) | instid1(VALU_DEP_2)
	v_mul_lo_u32 v26, s0, v25
	v_mul_hi_u32 v27, s0, v3
	v_mul_lo_u32 v28, s45, v3
	s_delay_alu instid0(VALU_DEP_2) | instskip(SKIP_1) | instid1(VALU_DEP_2)
	v_add_nc_u32_e32 v26, v27, v26
	v_mul_lo_u32 v27, s0, v3
	v_add_nc_u32_e32 v26, v26, v28
	s_delay_alu instid0(VALU_DEP_2) | instskip(NEXT) | instid1(VALU_DEP_2)
	v_mul_hi_u32 v28, v3, v27
	v_mul_lo_u32 v29, v3, v26
	v_mul_hi_u32 v30, v3, v26
	v_mul_hi_u32 v31, v25, v27
	v_mul_lo_u32 v27, v25, v27
	v_mul_hi_u32 v33, v25, v26
	v_mul_lo_u32 v26, v25, v26
	v_add_co_u32 v28, vcc_lo, v28, v29
	v_add_co_ci_u32_e32 v29, vcc_lo, 0, v30, vcc_lo
	s_delay_alu instid0(VALU_DEP_2) | instskip(NEXT) | instid1(VALU_DEP_2)
	v_add_co_u32 v27, vcc_lo, v28, v27
	v_add_co_ci_u32_e32 v27, vcc_lo, v29, v31, vcc_lo
	v_add_co_ci_u32_e32 v28, vcc_lo, 0, v33, vcc_lo
	s_delay_alu instid0(VALU_DEP_2) | instskip(NEXT) | instid1(VALU_DEP_2)
	v_add_co_u32 v26, vcc_lo, v27, v26
	v_add_co_ci_u32_e32 v27, vcc_lo, 0, v28, vcc_lo
	s_delay_alu instid0(VALU_DEP_2) | instskip(NEXT) | instid1(VALU_DEP_2)
	v_add_co_u32 v3, vcc_lo, v3, v26
	v_add_co_ci_u32_e32 v25, vcc_lo, v25, v27, vcc_lo
	s_delay_alu instid0(VALU_DEP_2) | instskip(SKIP_1) | instid1(VALU_DEP_3)
	v_mul_hi_u32 v26, s0, v3
	v_mul_lo_u32 v28, s45, v3
	v_mul_lo_u32 v27, s0, v25
	s_delay_alu instid0(VALU_DEP_1) | instskip(SKIP_1) | instid1(VALU_DEP_2)
	v_add_nc_u32_e32 v26, v26, v27
	v_mul_lo_u32 v27, s0, v3
	v_add_nc_u32_e32 v26, v26, v28
	s_delay_alu instid0(VALU_DEP_2) | instskip(NEXT) | instid1(VALU_DEP_2)
	v_mul_hi_u32 v28, v3, v27
	v_mul_lo_u32 v29, v3, v26
	v_mul_hi_u32 v30, v3, v26
	v_mul_hi_u32 v31, v25, v27
	v_mul_lo_u32 v27, v25, v27
	v_mul_hi_u32 v33, v25, v26
	v_mul_lo_u32 v26, v25, v26
	v_add_co_u32 v28, vcc_lo, v28, v29
	v_add_co_ci_u32_e32 v29, vcc_lo, 0, v30, vcc_lo
	s_delay_alu instid0(VALU_DEP_2) | instskip(NEXT) | instid1(VALU_DEP_2)
	v_add_co_u32 v27, vcc_lo, v28, v27
	v_add_co_ci_u32_e32 v27, vcc_lo, v29, v31, vcc_lo
	v_add_co_ci_u32_e32 v28, vcc_lo, 0, v33, vcc_lo
	s_delay_alu instid0(VALU_DEP_2) | instskip(NEXT) | instid1(VALU_DEP_2)
	v_add_co_u32 v26, vcc_lo, v27, v26
	v_add_co_ci_u32_e32 v27, vcc_lo, 0, v28, vcc_lo
	s_delay_alu instid0(VALU_DEP_2) | instskip(NEXT) | instid1(VALU_DEP_2)
	v_add_co_u32 v3, vcc_lo, v3, v26
	v_add_co_ci_u32_e32 v31, vcc_lo, v25, v27, vcc_lo
	s_delay_alu instid0(VALU_DEP_2) | instskip(SKIP_1) | instid1(VALU_DEP_3)
	v_mul_hi_u32 v33, v21, v3
	v_mad_u64_u32 v[27:28], null, v22, v3, 0
	v_mad_u64_u32 v[25:26], null, v21, v31, 0
	;; [unrolled: 1-line block ×3, first 2 shown]
	s_delay_alu instid0(VALU_DEP_2) | instskip(NEXT) | instid1(VALU_DEP_3)
	v_add_co_u32 v3, vcc_lo, v33, v25
	v_add_co_ci_u32_e32 v25, vcc_lo, 0, v26, vcc_lo
	s_delay_alu instid0(VALU_DEP_2) | instskip(NEXT) | instid1(VALU_DEP_2)
	v_add_co_u32 v3, vcc_lo, v3, v27
	v_add_co_ci_u32_e32 v3, vcc_lo, v25, v28, vcc_lo
	v_add_co_ci_u32_e32 v25, vcc_lo, 0, v30, vcc_lo
	s_delay_alu instid0(VALU_DEP_2) | instskip(NEXT) | instid1(VALU_DEP_2)
	v_add_co_u32 v3, vcc_lo, v3, v29
	v_add_co_ci_u32_e32 v27, vcc_lo, 0, v25, vcc_lo
	s_delay_alu instid0(VALU_DEP_2) | instskip(SKIP_1) | instid1(VALU_DEP_3)
	v_mul_lo_u32 v28, s27, v3
	v_mad_u64_u32 v[25:26], null, s26, v3, 0
	v_mul_lo_u32 v29, s26, v27
	s_delay_alu instid0(VALU_DEP_2) | instskip(NEXT) | instid1(VALU_DEP_2)
	v_sub_co_u32 v25, vcc_lo, v21, v25
	v_add3_u32 v26, v26, v29, v28
	s_delay_alu instid0(VALU_DEP_1) | instskip(NEXT) | instid1(VALU_DEP_1)
	v_sub_nc_u32_e32 v28, v22, v26
	v_subrev_co_ci_u32_e64 v28, s0, s27, v28, vcc_lo
	v_add_co_u32 v29, s0, v3, 2
	s_delay_alu instid0(VALU_DEP_1) | instskip(SKIP_3) | instid1(VALU_DEP_3)
	v_add_co_ci_u32_e64 v30, s0, 0, v27, s0
	v_sub_co_u32 v31, s0, v25, s26
	v_sub_co_ci_u32_e32 v26, vcc_lo, v22, v26, vcc_lo
	v_subrev_co_ci_u32_e64 v28, s0, 0, v28, s0
	v_cmp_le_u32_e32 vcc_lo, s26, v31
	s_delay_alu instid0(VALU_DEP_3) | instskip(SKIP_1) | instid1(VALU_DEP_4)
	v_cmp_eq_u32_e64 s0, s27, v26
	v_cndmask_b32_e64 v31, 0, -1, vcc_lo
	v_cmp_le_u32_e32 vcc_lo, s27, v28
	v_cndmask_b32_e64 v33, 0, -1, vcc_lo
	v_cmp_le_u32_e32 vcc_lo, s26, v25
	;; [unrolled: 2-line block ×3, first 2 shown]
	v_cndmask_b32_e64 v34, 0, -1, vcc_lo
	v_cmp_eq_u32_e32 vcc_lo, s27, v28
	s_delay_alu instid0(VALU_DEP_2) | instskip(SKIP_3) | instid1(VALU_DEP_3)
	v_cndmask_b32_e64 v25, v34, v25, s0
	v_cndmask_b32_e32 v28, v33, v31, vcc_lo
	v_add_co_u32 v31, vcc_lo, v3, 1
	v_add_co_ci_u32_e32 v33, vcc_lo, 0, v27, vcc_lo
	v_cmp_ne_u32_e32 vcc_lo, 0, v28
	s_delay_alu instid0(VALU_DEP_3) | instskip(NEXT) | instid1(VALU_DEP_3)
	v_cndmask_b32_e32 v28, v31, v29, vcc_lo
	v_cndmask_b32_e32 v26, v33, v30, vcc_lo
	v_cmp_ne_u32_e32 vcc_lo, 0, v25
	s_delay_alu instid0(VALU_DEP_3) | instskip(NEXT) | instid1(VALU_DEP_3)
	v_cndmask_b32_e32 v25, v3, v28, vcc_lo
	v_cndmask_b32_e32 v26, v27, v26, vcc_lo
.LBB54_99:                              ;   in Loop: Header=BB54_97 Depth=2
	s_and_not1_saveexec_b32 s0, s44
	s_cbranch_execz .LBB54_96
; %bb.100:                              ;   in Loop: Header=BB54_97 Depth=2
	v_cvt_f32_u32_e32 v3, s26
	s_sub_i32 s44, 0, s26
	s_delay_alu instid0(VALU_DEP_1) | instskip(SKIP_2) | instid1(VALU_DEP_1)
	v_rcp_iflag_f32_e32 v3, v3
	s_waitcnt_depctr 0xfff
	v_mul_f32_e32 v3, 0x4f7ffffe, v3
	v_cvt_u32_f32_e32 v3, v3
	s_delay_alu instid0(VALU_DEP_1) | instskip(NEXT) | instid1(VALU_DEP_1)
	v_mul_lo_u32 v25, s44, v3
	v_mul_hi_u32 v25, v3, v25
	s_delay_alu instid0(VALU_DEP_1) | instskip(NEXT) | instid1(VALU_DEP_1)
	v_add_nc_u32_e32 v3, v3, v25
	v_mul_hi_u32 v3, v21, v3
	s_delay_alu instid0(VALU_DEP_1) | instskip(SKIP_1) | instid1(VALU_DEP_2)
	v_mul_lo_u32 v25, v3, s26
	v_add_nc_u32_e32 v26, 1, v3
	v_sub_nc_u32_e32 v25, v21, v25
	s_delay_alu instid0(VALU_DEP_1) | instskip(SKIP_1) | instid1(VALU_DEP_2)
	v_subrev_nc_u32_e32 v27, s26, v25
	v_cmp_le_u32_e32 vcc_lo, s26, v25
	v_cndmask_b32_e32 v25, v25, v27, vcc_lo
	v_cndmask_b32_e32 v3, v3, v26, vcc_lo
	s_delay_alu instid0(VALU_DEP_2) | instskip(NEXT) | instid1(VALU_DEP_2)
	v_cmp_le_u32_e32 vcc_lo, s26, v25
	v_add_nc_u32_e32 v26, 1, v3
	s_delay_alu instid0(VALU_DEP_1)
	v_dual_cndmask_b32 v25, v3, v26 :: v_dual_mov_b32 v26, v2
	s_branch .LBB54_96
.LBB54_101:                             ;   in Loop: Header=BB54_3 Depth=1
	v_cmp_le_f32_e32 vcc_lo, 0, v33
	v_cmp_ge_f32_e64 s0, 1.0, v33
	s_delay_alu instid0(VALU_DEP_1) | instskip(SKIP_2) | instid1(SALU_CYCLE_1)
	s_and_b32 s43, vcc_lo, s0
	s_mov_b32 s0, 0
	s_and_saveexec_b32 s44, s43
	s_xor_b32 s43, exec_lo, s44
	s_cbranch_execz .LBB54_103
; %bb.102:                              ;   in Loop: Header=BB54_3 Depth=1
	v_cvt_f32_u32_e32 v12, v12
	v_lshlrev_b64 v[9:10], 3, v[9:10]
	s_mov_b32 s0, exec_lo
	s_delay_alu instid0(VALU_DEP_2) | instskip(NEXT) | instid1(VALU_DEP_2)
	v_dual_mov_b32 v13, s19 :: v_dual_fmaak_f32 v12, 0x2f800000, v12, 0x2f800000
	v_add_co_u32 v9, vcc_lo, s16, v9
	s_delay_alu instid0(VALU_DEP_3) | instskip(NEXT) | instid1(VALU_DEP_3)
	v_add_co_ci_u32_e32 v10, vcc_lo, s17, v10, vcc_lo
	v_cmp_le_f32_e32 vcc_lo, v12, v33
	v_cndmask_b32_e64 v12, 0, 1, vcc_lo
	global_store_b64 v[9:10], v[12:13], off
.LBB54_103:                             ;   in Loop: Header=BB54_3 Depth=1
	s_or_b32 exec_lo, exec_lo, s43
	s_delay_alu instid0(SALU_CYCLE_1)
	s_and_not1_b32 s43, s27, exec_lo
	s_or_b32 s27, s27, exec_lo
	s_and_not1_b32 s26, s26, exec_lo
	s_and_not1_b32 s25, s25, exec_lo
	s_and_b32 s0, s0, exec_lo
	s_and_not1_b32 s1, s1, exec_lo
	s_or_b32 exec_lo, exec_lo, s45
	s_and_saveexec_b32 s44, s1
	s_cbranch_execz .LBB54_95
.LBB54_104:                             ;   in Loop: Header=BB54_3 Depth=1
	v_cmp_eq_u32_e32 vcc_lo, 1, v16
	s_and_not1_b32 s0, s0, exec_lo
	s_and_not1_b32 s43, s43, exec_lo
	;; [unrolled: 1-line block ×4, first 2 shown]
	s_and_b32 s1, vcc_lo, exec_lo
	s_and_not1_b32 s25, s25, exec_lo
	s_or_b32 s24, s24, exec_lo
	s_or_b32 s0, s0, s1
	s_or_b32 exec_lo, exec_lo, s44
	s_and_saveexec_b32 s1, s0
	s_cbranch_execz .LBB54_108
.LBB54_105:                             ;   in Loop: Header=BB54_3 Depth=1
	v_cmp_le_f32_e32 vcc_lo, 0, v3
	v_cmp_ge_f32_e64 s0, 1.0, v3
	s_delay_alu instid0(VALU_DEP_1)
	s_and_b32 s45, vcc_lo, s0
	s_mov_b32 s0, 0
	s_and_saveexec_b32 s44, s45
	s_cbranch_execz .LBB54_107
; %bb.106:                              ;   in Loop: Header=BB54_3 Depth=1
	v_cvt_f32_u32_e32 v9, v11
	v_lshlrev_b64 v[7:8], 3, v[7:8]
	s_mov_b32 s0, exec_lo
	s_delay_alu instid0(VALU_DEP_2) | instskip(NEXT) | instid1(VALU_DEP_2)
	v_dual_mov_b32 v10, s19 :: v_dual_fmaak_f32 v9, 0x2f800000, v9, 0x2f800000
	v_add_co_u32 v7, vcc_lo, s16, v7
	s_delay_alu instid0(VALU_DEP_3) | instskip(NEXT) | instid1(VALU_DEP_3)
	v_add_co_ci_u32_e32 v8, vcc_lo, s17, v8, vcc_lo
	v_cmp_le_f32_e32 vcc_lo, v9, v3
	v_cndmask_b32_e64 v9, 0, 1, vcc_lo
	global_store_b64 v[7:8], v[9:10], off
.LBB54_107:                             ;   in Loop: Header=BB54_3 Depth=1
	s_or_b32 exec_lo, exec_lo, s44
	s_delay_alu instid0(SALU_CYCLE_1)
	s_and_not1_b32 s24, s24, exec_lo
	s_and_b32 s0, s0, exec_lo
	s_or_b32 s43, s43, exec_lo
	s_and_not1_b32 s27, s27, exec_lo
	s_and_not1_b32 s26, s26, exec_lo
	;; [unrolled: 1-line block ×3, first 2 shown]
	s_or_b32 s24, s24, s0
.LBB54_108:                             ;   in Loop: Header=BB54_3 Depth=1
	s_or_b32 exec_lo, exec_lo, s1
	s_delay_alu instid0(SALU_CYCLE_1)
	s_and_not1_b32 s1, s42, exec_lo
	s_and_b32 s42, s43, exec_lo
	s_and_not1_b32 s40, s40, exec_lo
	s_and_b32 s27, s27, exec_lo
	s_or_b32 s42, s1, s42
	s_or_b32 s40, s40, s27
	s_and_not1_b32 s1, s41, exec_lo
	s_and_b32 s26, s26, exec_lo
	s_and_not1_b32 s27, s39, exec_lo
	s_and_b32 s25, s25, exec_lo
	s_mov_b32 s0, -1
	s_or_b32 s41, s1, s26
	s_or_b32 s39, s27, s25
	s_and_saveexec_b32 s1, s24
	s_cbranch_execz .LBB54_2
; %bb.109:                              ;   in Loop: Header=BB54_3 Depth=1
	v_add_co_u32 v4, vcc_lo, v4, s31
	v_add_co_ci_u32_e32 v5, vcc_lo, 0, v5, vcc_lo
	s_and_not1_b32 s42, s42, exec_lo
	s_and_not1_b32 s40, s40, exec_lo
	;; [unrolled: 1-line block ×3, first 2 shown]
	s_delay_alu instid0(VALU_DEP_1)
	v_cmp_le_u64_e32 vcc_lo, s[4:5], v[4:5]
	s_and_not1_b32 s39, s39, exec_lo
	s_or_not1_b32 s0, vcc_lo, exec_lo
	s_branch .LBB54_2
.LBB54_110:
	s_or_b32 exec_lo, exec_lo, s35
	s_xor_b32 s3, s37, -1
	s_xor_b32 s4, s38, -1
	;; [unrolled: 1-line block ×3, first 2 shown]
	s_mov_b32 s1, 0
	s_and_saveexec_b32 s2, s0
	s_delay_alu instid0(SALU_CYCLE_1)
	s_xor_b32 s0, exec_lo, s2
	s_cbranch_execz .LBB54_119
; %bb.111:
	s_mov_b32 s2, 0
	s_and_saveexec_b32 s1, s4
	s_delay_alu instid0(SALU_CYCLE_1)
	s_xor_b32 s1, exec_lo, s1
	s_cbranch_execz .LBB54_117
; %bb.112:
	s_and_saveexec_b32 s4, s3
	s_delay_alu instid0(SALU_CYCLE_1)
	s_xor_b32 s3, exec_lo, s4
	s_cbranch_execz .LBB54_115
; %bb.113:
	s_and_saveexec_b32 s4, s18
	s_delay_alu instid0(SALU_CYCLE_1)
	s_xor_b32 s4, exec_lo, s4
	s_cbranch_execnz .LBB54_133
.LBB54_114:
	s_or_b32 exec_lo, exec_lo, s4
	s_delay_alu instid0(SALU_CYCLE_1)
	s_and_b32 s2, s2, exec_lo
.LBB54_115:
	s_and_not1_saveexec_b32 s3, s3
	s_cbranch_execnz .LBB54_129
.LBB54_116:
	s_or_b32 exec_lo, exec_lo, s3
	s_delay_alu instid0(SALU_CYCLE_1)
	s_and_b32 s2, s2, exec_lo
.LBB54_117:
	s_and_not1_saveexec_b32 s1, s1
	s_cbranch_execnz .LBB54_125
.LBB54_118:
	s_or_b32 exec_lo, exec_lo, s1
	s_delay_alu instid0(SALU_CYCLE_1)
	s_and_b32 s1, s2, exec_lo
.LBB54_119:
	s_and_not1_saveexec_b32 s0, s0
	s_cbranch_execnz .LBB54_123
; %bb.120:
	s_or_b32 exec_lo, exec_lo, s0
	s_delay_alu instid0(SALU_CYCLE_1)
	s_and_b32 exec_lo, exec_lo, s1
.LBB54_121:
	; divergent unreachable
.LBB54_122:
	s_nop 0
	s_sendmsg sendmsg(MSG_DEALLOC_VGPRS)
	s_endpgm
.LBB54_123:
	s_cbranch_execnz .LBB54_127
; %bb.124:
	s_or_b32 s1, s1, exec_lo
	s_or_b32 exec_lo, exec_lo, s0
	s_delay_alu instid0(SALU_CYCLE_1)
	s_and_b32 exec_lo, exec_lo, s1
	s_cbranch_execnz .LBB54_121
	s_branch .LBB54_122
.LBB54_125:
	s_cbranch_execnz .LBB54_131
; %bb.126:
	s_or_b32 s2, s2, exec_lo
	s_branch .LBB54_118
.LBB54_127:
	s_trap 2
	s_sendmsg_rtn_b32 s0, sendmsg(MSG_RTN_GET_DOORBELL)
	s_mov_b32 ttmp2, m0
	s_waitcnt lgkmcnt(0)
	s_and_b32 s0, s0, 0x3ff
	s_delay_alu instid0(SALU_CYCLE_1) | instskip(NEXT) | instid1(SALU_CYCLE_1)
	s_bitset1_b32 s0, 10
	s_mov_b32 m0, s0
	s_sendmsg sendmsg(MSG_INTERRUPT)
	s_mov_b32 m0, ttmp2
.LBB54_128:                             ; =>This Inner Loop Header: Depth=1
	s_sethalt 5
	s_branch .LBB54_128
.LBB54_129:
	s_cbranch_execnz .LBB54_135
; %bb.130:
	s_or_b32 s2, s2, exec_lo
	s_branch .LBB54_116
.LBB54_131:
	s_trap 2
	s_sendmsg_rtn_b32 s0, sendmsg(MSG_RTN_GET_DOORBELL)
	s_mov_b32 ttmp2, m0
	s_waitcnt lgkmcnt(0)
	s_and_b32 s0, s0, 0x3ff
	s_delay_alu instid0(SALU_CYCLE_1) | instskip(NEXT) | instid1(SALU_CYCLE_1)
	s_bitset1_b32 s0, 10
	s_mov_b32 m0, s0
	s_sendmsg sendmsg(MSG_INTERRUPT)
	s_mov_b32 m0, ttmp2
.LBB54_132:                             ; =>This Inner Loop Header: Depth=1
	s_sethalt 5
	s_branch .LBB54_132
.LBB54_133:
	s_cbranch_execnz .LBB54_137
; %bb.134:
	s_mov_b32 s2, exec_lo
	s_branch .LBB54_114
.LBB54_135:
	s_trap 2
	s_sendmsg_rtn_b32 s0, sendmsg(MSG_RTN_GET_DOORBELL)
	s_mov_b32 ttmp2, m0
	s_waitcnt lgkmcnt(0)
	s_and_b32 s0, s0, 0x3ff
	s_delay_alu instid0(SALU_CYCLE_1) | instskip(NEXT) | instid1(SALU_CYCLE_1)
	s_bitset1_b32 s0, 10
	s_mov_b32 m0, s0
	s_sendmsg sendmsg(MSG_INTERRUPT)
	s_mov_b32 m0, ttmp2
.LBB54_136:                             ; =>This Inner Loop Header: Depth=1
	s_sethalt 5
	s_branch .LBB54_136
.LBB54_137:
	s_trap 2
	s_sendmsg_rtn_b32 s0, sendmsg(MSG_RTN_GET_DOORBELL)
	s_mov_b32 ttmp2, m0
	s_waitcnt lgkmcnt(0)
	s_and_b32 s0, s0, 0x3ff
	s_delay_alu instid0(SALU_CYCLE_1) | instskip(NEXT) | instid1(SALU_CYCLE_1)
	s_bitset1_b32 s0, 10
	s_mov_b32 m0, s0
	s_sendmsg sendmsg(MSG_INTERRUPT)
	s_mov_b32 m0, ttmp2
.LBB54_138:                             ; =>This Inner Loop Header: Depth=1
	s_sethalt 5
	s_branch .LBB54_138
	.section	.rodata,"a",@progbits
	.p2align	6, 0x0
	.amdhsa_kernel _ZN2at4cuda12_GLOBAL__N_121kernelPointwiseApply2IZNS_6native9templates4cuda28bernoulli_tensor_cuda_kernelIlfEEvRKNS_10TensorBaseES9_NS_15PhiloxCudaStateEEUliRlSB_SB_SB_RKfSD_SD_SD_E_lSC_mLin1ELin1ELi4ELi512ELi2EEEvNS0_6detail10TensorInfoIT0_T2_EENSG_IT1_SI_EESI_T_
		.amdhsa_group_segment_fixed_size 0
		.amdhsa_private_segment_fixed_size 0
		.amdhsa_kernarg_size 1128
		.amdhsa_user_sgpr_count 15
		.amdhsa_user_sgpr_dispatch_ptr 0
		.amdhsa_user_sgpr_queue_ptr 0
		.amdhsa_user_sgpr_kernarg_segment_ptr 1
		.amdhsa_user_sgpr_dispatch_id 0
		.amdhsa_user_sgpr_private_segment_size 0
		.amdhsa_wavefront_size32 1
		.amdhsa_uses_dynamic_stack 0
		.amdhsa_enable_private_segment 0
		.amdhsa_system_sgpr_workgroup_id_x 1
		.amdhsa_system_sgpr_workgroup_id_y 0
		.amdhsa_system_sgpr_workgroup_id_z 0
		.amdhsa_system_sgpr_workgroup_info 0
		.amdhsa_system_vgpr_workitem_id 0
		.amdhsa_next_free_vgpr 44
		.amdhsa_next_free_sgpr 48
		.amdhsa_reserve_vcc 1
		.amdhsa_float_round_mode_32 0
		.amdhsa_float_round_mode_16_64 0
		.amdhsa_float_denorm_mode_32 3
		.amdhsa_float_denorm_mode_16_64 3
		.amdhsa_dx10_clamp 1
		.amdhsa_ieee_mode 1
		.amdhsa_fp16_overflow 0
		.amdhsa_workgroup_processor_mode 1
		.amdhsa_memory_ordered 1
		.amdhsa_forward_progress 0
		.amdhsa_shared_vgpr_count 0
		.amdhsa_exception_fp_ieee_invalid_op 0
		.amdhsa_exception_fp_denorm_src 0
		.amdhsa_exception_fp_ieee_div_zero 0
		.amdhsa_exception_fp_ieee_overflow 0
		.amdhsa_exception_fp_ieee_underflow 0
		.amdhsa_exception_fp_ieee_inexact 0
		.amdhsa_exception_int_div_zero 0
	.end_amdhsa_kernel
	.section	.text._ZN2at4cuda12_GLOBAL__N_121kernelPointwiseApply2IZNS_6native9templates4cuda28bernoulli_tensor_cuda_kernelIlfEEvRKNS_10TensorBaseES9_NS_15PhiloxCudaStateEEUliRlSB_SB_SB_RKfSD_SD_SD_E_lSC_mLin1ELin1ELi4ELi512ELi2EEEvNS0_6detail10TensorInfoIT0_T2_EENSG_IT1_SI_EESI_T_,"axG",@progbits,_ZN2at4cuda12_GLOBAL__N_121kernelPointwiseApply2IZNS_6native9templates4cuda28bernoulli_tensor_cuda_kernelIlfEEvRKNS_10TensorBaseES9_NS_15PhiloxCudaStateEEUliRlSB_SB_SB_RKfSD_SD_SD_E_lSC_mLin1ELin1ELi4ELi512ELi2EEEvNS0_6detail10TensorInfoIT0_T2_EENSG_IT1_SI_EESI_T_,comdat
.Lfunc_end54:
	.size	_ZN2at4cuda12_GLOBAL__N_121kernelPointwiseApply2IZNS_6native9templates4cuda28bernoulli_tensor_cuda_kernelIlfEEvRKNS_10TensorBaseES9_NS_15PhiloxCudaStateEEUliRlSB_SB_SB_RKfSD_SD_SD_E_lSC_mLin1ELin1ELi4ELi512ELi2EEEvNS0_6detail10TensorInfoIT0_T2_EENSG_IT1_SI_EESI_T_, .Lfunc_end54-_ZN2at4cuda12_GLOBAL__N_121kernelPointwiseApply2IZNS_6native9templates4cuda28bernoulli_tensor_cuda_kernelIlfEEvRKNS_10TensorBaseES9_NS_15PhiloxCudaStateEEUliRlSB_SB_SB_RKfSD_SD_SD_E_lSC_mLin1ELin1ELi4ELi512ELi2EEEvNS0_6detail10TensorInfoIT0_T2_EENSG_IT1_SI_EESI_T_
                                        ; -- End function
	.section	.AMDGPU.csdata,"",@progbits
; Kernel info:
; codeLenInByte = 12440
; NumSgprs: 50
; NumVgprs: 44
; ScratchSize: 0
; MemoryBound: 0
; FloatMode: 240
; IeeeMode: 1
; LDSByteSize: 0 bytes/workgroup (compile time only)
; SGPRBlocks: 6
; VGPRBlocks: 5
; NumSGPRsForWavesPerEU: 50
; NumVGPRsForWavesPerEU: 44
; Occupancy: 16
; WaveLimiterHint : 1
; COMPUTE_PGM_RSRC2:SCRATCH_EN: 0
; COMPUTE_PGM_RSRC2:USER_SGPR: 15
; COMPUTE_PGM_RSRC2:TRAP_HANDLER: 0
; COMPUTE_PGM_RSRC2:TGID_X_EN: 1
; COMPUTE_PGM_RSRC2:TGID_Y_EN: 0
; COMPUTE_PGM_RSRC2:TGID_Z_EN: 0
; COMPUTE_PGM_RSRC2:TIDIG_COMP_CNT: 0
	.section	.text._ZN2at4cuda12_GLOBAL__N_121kernelPointwiseApply2IZNS_6native9templates4cuda28bernoulli_tensor_cuda_kernelIsfEEvRKNS_10TensorBaseES9_NS_15PhiloxCudaStateEEUliRsSB_SB_SB_RKfSD_SD_SD_E_sSC_jLi1ELi1ELi4ELi512ELi2EEEvNS0_6detail10TensorInfoIT0_T2_EENSG_IT1_SI_EESI_T_,"axG",@progbits,_ZN2at4cuda12_GLOBAL__N_121kernelPointwiseApply2IZNS_6native9templates4cuda28bernoulli_tensor_cuda_kernelIsfEEvRKNS_10TensorBaseES9_NS_15PhiloxCudaStateEEUliRsSB_SB_SB_RKfSD_SD_SD_E_sSC_jLi1ELi1ELi4ELi512ELi2EEEvNS0_6detail10TensorInfoIT0_T2_EENSG_IT1_SI_EESI_T_,comdat
	.globl	_ZN2at4cuda12_GLOBAL__N_121kernelPointwiseApply2IZNS_6native9templates4cuda28bernoulli_tensor_cuda_kernelIsfEEvRKNS_10TensorBaseES9_NS_15PhiloxCudaStateEEUliRsSB_SB_SB_RKfSD_SD_SD_E_sSC_jLi1ELi1ELi4ELi512ELi2EEEvNS0_6detail10TensorInfoIT0_T2_EENSG_IT1_SI_EESI_T_ ; -- Begin function _ZN2at4cuda12_GLOBAL__N_121kernelPointwiseApply2IZNS_6native9templates4cuda28bernoulli_tensor_cuda_kernelIsfEEvRKNS_10TensorBaseES9_NS_15PhiloxCudaStateEEUliRsSB_SB_SB_RKfSD_SD_SD_E_sSC_jLi1ELi1ELi4ELi512ELi2EEEvNS0_6detail10TensorInfoIT0_T2_EENSG_IT1_SI_EESI_T_
	.p2align	8
	.type	_ZN2at4cuda12_GLOBAL__N_121kernelPointwiseApply2IZNS_6native9templates4cuda28bernoulli_tensor_cuda_kernelIsfEEvRKNS_10TensorBaseES9_NS_15PhiloxCudaStateEEUliRsSB_SB_SB_RKfSD_SD_SD_E_sSC_jLi1ELi1ELi4ELi512ELi2EEEvNS0_6detail10TensorInfoIT0_T2_EENSG_IT1_SI_EESI_T_,@function
_ZN2at4cuda12_GLOBAL__N_121kernelPointwiseApply2IZNS_6native9templates4cuda28bernoulli_tensor_cuda_kernelIsfEEvRKNS_10TensorBaseES9_NS_15PhiloxCudaStateEEUliRsSB_SB_SB_RKfSD_SD_SD_E_sSC_jLi1ELi1ELi4ELi512ELi2EEEvNS0_6detail10TensorInfoIT0_T2_EENSG_IT1_SI_EESI_T_: ; @_ZN2at4cuda12_GLOBAL__N_121kernelPointwiseApply2IZNS_6native9templates4cuda28bernoulli_tensor_cuda_kernelIsfEEvRKNS_10TensorBaseES9_NS_15PhiloxCudaStateEEUliRsSB_SB_SB_RKfSD_SD_SD_E_sSC_jLi1ELi1ELi4ELi512ELi2EEEvNS0_6detail10TensorInfoIT0_T2_EENSG_IT1_SI_EESI_T_
; %bb.0:
	s_clause 0x1
	s_load_b32 s4, s[0:1], 0x1e4
	s_load_b32 s5, s[0:1], 0x1b0
	s_add_u32 s2, s0, 0x1d8
	s_addc_u32 s3, s1, 0
	s_mov_b32 s6, exec_lo
	s_waitcnt lgkmcnt(0)
	s_and_b32 s4, s4, 0xffff
	s_delay_alu instid0(SALU_CYCLE_1) | instskip(NEXT) | instid1(VALU_DEP_1)
	v_mad_u64_u32 v[1:2], null, s15, s4, v[0:1]
	v_lshlrev_b32_e32 v0, 2, v1
	s_delay_alu instid0(VALU_DEP_1)
	v_cmpx_gt_u32_e64 s5, v0
	s_cbranch_execz .LBB55_51
; %bb.1:
	s_load_b32 s3, s[2:3], 0x0
	s_clause 0x4
	s_load_b32 s17, s[0:1], 0x1d0
	s_load_b32 s2, s[0:1], 0x6c
	;; [unrolled: 1-line block ×3, first 2 shown]
	s_load_b64 s[6:7], s[0:1], 0x0
	s_load_b64 s[12:13], s[0:1], 0xd8
	v_mad_u64_u32 v[2:3], null, 0xcd9e8d57, v1, 0
	s_clause 0x1
	s_load_b64 s[14:15], s[0:1], 0x1c8
	s_load_b128 s[8:11], s[0:1], 0x1b8
	v_dual_mov_b32 v4, 0 :: v_dual_add_nc_u32 v9, 3, v0
	v_add_nc_u32_e32 v8, 2, v0
	v_sub_nc_u32_e32 v24, s5, v0
	s_mov_b32 s16, 0
	v_mov_b32_e32 v25, v3
	s_mov_b32 s24, 0
                                        ; implicit-def: $sgpr26
                                        ; implicit-def: $sgpr25
                                        ; implicit-def: $sgpr27
                                        ; implicit-def: $sgpr29
                                        ; implicit-def: $sgpr28
                                        ; implicit-def: $sgpr30
	s_waitcnt lgkmcnt(0)
	s_mul_i32 s0, s3, s4
	s_bitcmp1_b32 s17, 0
	v_mul_lo_u32 v3, s2, v1
	v_mul_lo_u32 v10, s22, v1
	v_mad_u64_u32 v[5:6], null, s2, v0, s[2:3]
	v_mul_lo_u32 v26, s2, v8
	v_mul_lo_u32 v27, s2, v9
	v_mad_u64_u32 v[6:7], null, s22, v0, s[22:23]
	v_mul_lo_u32 v29, s22, v8
	v_mul_lo_u32 v30, s22, v9
	v_lshlrev_b32_e32 v28, 2, v3
	v_lshlrev_b32_e32 v31, 2, v10
	s_mul_i32 s1, s0, s2
	s_cselect_b32 s18, -1, 0
	s_lshl_b32 s19, s0, 2
	s_mul_i32 s0, s0, s22
	s_lshl_b32 s20, s1, 2
	s_lshl_b32 s21, s0, 2
	s_mov_b32 s22, 0
                                        ; implicit-def: $sgpr23
                                        ; implicit-def: $sgpr17
	s_branch .LBB55_3
.LBB55_2:                               ;   in Loop: Header=BB55_3 Depth=1
	s_or_b32 exec_lo, exec_lo, s1
	s_delay_alu instid0(SALU_CYCLE_1) | instskip(NEXT) | instid1(SALU_CYCLE_1)
	s_and_b32 s0, exec_lo, s0
	s_or_b32 s16, s0, s16
	s_and_not1_b32 s0, s17, exec_lo
	s_and_b32 s1, s30, exec_lo
	s_and_not1_b32 s2, s25, exec_lo
	s_and_b32 s3, s28, exec_lo
	s_or_b32 s17, s0, s1
	s_or_b32 s25, s2, s3
	s_and_not1_b32 s0, s26, exec_lo
	s_and_b32 s1, s29, exec_lo
	s_and_not1_b32 s2, s23, exec_lo
	s_and_b32 s3, s27, exec_lo
	s_or_b32 s26, s0, s1
	s_or_b32 s23, s2, s3
	s_and_not1_b32 exec_lo, exec_lo, s16
	s_cbranch_execz .LBB55_39
.LBB55_3:                               ; =>This Inner Loop Header: Depth=1
	v_add_nc_u32_e32 v3, s22, v31
	v_cmp_lt_i32_e64 s0, 0, v24
	v_add_nc_u32_e32 v9, s22, v6
	v_cmp_lt_i32_e64 s1, 1, v24
	;; [unrolled: 2-line block ×3, first 2 shown]
	v_cndmask_b32_e64 v3, 0, v3, s0
	v_add_nc_u32_e32 v13, s22, v30
	v_cmp_lt_i32_e64 s3, 3, v24
	s_delay_alu instid0(VALU_DEP_3) | instskip(SKIP_1) | instid1(VALU_DEP_1)
	v_lshlrev_b64 v[7:8], 2, v[3:4]
	v_cndmask_b32_e64 v3, 0, v9, s1
	v_lshlrev_b64 v[9:10], 2, v[3:4]
	v_cndmask_b32_e64 v3, 0, v11, s2
	s_delay_alu instid0(VALU_DEP_4) | instskip(SKIP_1) | instid1(VALU_DEP_3)
	v_add_co_u32 v7, vcc_lo, s12, v7
	v_add_co_ci_u32_e32 v8, vcc_lo, s13, v8, vcc_lo
	v_lshlrev_b64 v[11:12], 2, v[3:4]
	v_cndmask_b32_e64 v3, 0, v13, s3
	v_add_co_u32 v9, vcc_lo, s12, v9
	v_add_co_ci_u32_e32 v10, vcc_lo, s13, v10, vcc_lo
	s_delay_alu instid0(VALU_DEP_3) | instskip(SKIP_2) | instid1(VALU_DEP_3)
	v_lshlrev_b64 v[13:14], 2, v[3:4]
	v_add_co_u32 v11, vcc_lo, s12, v11
	v_add_co_ci_u32_e32 v12, vcc_lo, s13, v12, vcc_lo
	v_add_co_u32 v13, vcc_lo, s12, v13
	s_delay_alu instid0(VALU_DEP_4)
	v_add_co_ci_u32_e32 v14, vcc_lo, s13, v14, vcc_lo
	s_clause 0x3
	global_load_b32 v32, v[7:8], off
	global_load_b32 v33, v[9:10], off
	;; [unrolled: 1-line block ×4, first 2 shown]
	v_mov_b32_e32 v14, s9
	v_dual_mov_b32 v12, s11 :: v_dual_mov_b32 v11, s10
	v_mov_b32_e32 v13, s8
	s_and_not1_b32 vcc_lo, exec_lo, s18
	s_cbranch_vccnz .LBB55_5
; %bb.4:                                ;   in Loop: Header=BB55_3 Depth=1
	v_dual_mov_b32 v7, s10 :: v_dual_mov_b32 v8, s11
	v_dual_mov_b32 v10, s9 :: v_dual_mov_b32 v9, s8
	flat_load_b64 v[7:8], v[7:8]
	flat_load_b64 v[13:14], v[9:10]
	s_waitcnt vmcnt(1) lgkmcnt(1)
	v_add_co_u32 v11, vcc_lo, v7, s14
	v_add_co_ci_u32_e32 v12, vcc_lo, s15, v8, vcc_lo
.LBB55_5:                               ;   in Loop: Header=BB55_3 Depth=1
	s_delay_alu instid0(VALU_DEP_1)
	v_alignbit_b32 v3, v12, v11, 2
	v_lshrrev_b32_e32 v9, 2, v12
	s_waitcnt vmcnt(0) lgkmcnt(0)
	v_add_nc_u32_e32 v37, 0xbb67ae85, v14
	v_add_nc_u32_e32 v38, 0x76cf5d0a, v14
	;; [unrolled: 1-line block ×3, first 2 shown]
	v_add_co_u32 v10, vcc_lo, v3, 1
	s_delay_alu instid0(VALU_DEP_1) | instskip(SKIP_4) | instid1(VALU_DEP_4)
	v_cndmask_b32_e64 v7, 0, 1, vcc_lo
	v_add_co_ci_u32_e32 v12, vcc_lo, 0, v9, vcc_lo
	v_xor3_b32 v17, v25, v13, v9
	v_add_nc_u32_e32 v40, 0xed9eba14, v14
	v_add_nc_u32_e32 v42, 0xa9066899, v14
	v_cmp_eq_u32_e32 vcc_lo, 0, v12
	v_add_nc_u32_e32 v43, 0x646e171e, v14
	s_mov_b32 s4, exec_lo
	v_dual_cndmask_b32 v15, 0, v7 :: v_dual_add_nc_u32 v36, 0x9e3779b9, v13
	v_mad_u64_u32 v[7:8], null, 0xd2511f53, v10, 0
	s_delay_alu instid0(VALU_DEP_2) | instskip(NEXT) | instid1(VALU_DEP_2)
	v_add_nc_u32_e32 v10, v15, v1
	v_xor_b32_e32 v16, v8, v14
	s_delay_alu instid0(VALU_DEP_2) | instskip(SKIP_2) | instid1(VALU_DEP_1)
	v_cmp_eq_u32_e32 vcc_lo, 0, v10
	v_mad_u64_u32 v[8:9], null, 0xd2511f53, v3, 0
	v_cndmask_b32_e32 v15, 0, v15, vcc_lo
	v_xor_b32_e32 v3, v15, v16
	v_mad_u64_u32 v[15:16], null, 0xd2511f53, v17, 0
	v_mad_u64_u32 v[17:18], null, 0xcd9e8d57, v10, 0
	s_delay_alu instid0(VALU_DEP_3) | instskip(SKIP_3) | instid1(VALU_DEP_3)
	v_mad_u64_u32 v[19:20], null, 0xcd9e8d57, v3, 0
	v_xor_b32_e32 v3, v9, v14
	v_add_nc_u32_e32 v10, 0x3c6ef372, v13
	v_xor3_b32 v21, v37, v16, v8
	v_mad_u64_u32 v[8:9], null, 0xcd9e8d57, v3, 0
	v_xor3_b32 v3, v18, v13, v12
	v_xor3_b32 v12, v36, v20, v17
	s_delay_alu instid0(VALU_DEP_4) | instskip(NEXT) | instid1(VALU_DEP_3)
	v_mad_u64_u32 v[16:17], null, 0xcd9e8d57, v21, 0
	v_mad_u64_u32 v[20:21], null, 0xd2511f53, v3, 0
	s_delay_alu instid0(VALU_DEP_3) | instskip(SKIP_1) | instid1(VALU_DEP_4)
	v_mad_u64_u32 v[22:23], null, 0xd2511f53, v12, 0
	v_xor3_b32 v3, v2, v9, v36
	v_xor3_b32 v36, v10, v17, v8
	v_add_nc_u32_e32 v12, 0xdaa66d2b, v13
	s_delay_alu instid0(VALU_DEP_3) | instskip(SKIP_4) | instid1(VALU_DEP_4)
	v_mad_u64_u32 v[8:9], null, 0xd2511f53, v3, 0
	v_xor3_b32 v3, v37, v21, v7
	v_xor3_b32 v7, v38, v23, v20
	v_mad_u64_u32 v[17:18], null, 0xd2511f53, v36, 0
	v_add_nc_u32_e32 v23, 0x78dde6e4, v13
	v_mad_u64_u32 v[20:21], null, 0xcd9e8d57, v3, 0
	s_delay_alu instid0(VALU_DEP_4) | instskip(SKIP_2) | instid1(VALU_DEP_2)
	v_mad_u64_u32 v[36:37], null, 0xcd9e8d57, v7, 0
	v_xor3_b32 v3, v38, v9, v15
	v_xor3_b32 v15, v39, v18, v8
	v_mad_u64_u32 v[7:8], null, 0xcd9e8d57, v3, 0
	v_xor3_b32 v3, v10, v21, v19
	v_xor3_b32 v37, v12, v37, v20
	s_delay_alu instid0(VALU_DEP_4) | instskip(NEXT) | instid1(VALU_DEP_3)
	v_mad_u64_u32 v[9:10], null, 0xcd9e8d57, v15, 0
	v_mad_u64_u32 v[18:19], null, 0xd2511f53, v3, 0
	s_delay_alu instid0(VALU_DEP_3) | instskip(SKIP_1) | instid1(VALU_DEP_4)
	v_mad_u64_u32 v[20:21], null, 0xd2511f53, v37, 0
	v_xor3_b32 v3, v12, v8, v16
	v_xor3_b32 v10, v23, v10, v7
	v_add_nc_u32_e32 v12, 0x1715609d, v13
	s_delay_alu instid0(VALU_DEP_3) | instskip(SKIP_3) | instid1(VALU_DEP_3)
	v_mad_u64_u32 v[7:8], null, 0xd2511f53, v3, 0
	v_xor3_b32 v3, v39, v19, v22
	v_xor3_b32 v18, v40, v21, v18
	v_mad_u64_u32 v[21:22], null, 0xd2511f53, v10, 0
	v_mad_u64_u32 v[15:16], null, 0xcd9e8d57, v3, 0
	s_delay_alu instid0(VALU_DEP_3) | instskip(SKIP_1) | instid1(VALU_DEP_4)
	v_mad_u64_u32 v[37:38], null, 0xcd9e8d57, v18, 0
	v_xor3_b32 v3, v40, v8, v17
	v_xor3_b32 v10, v42, v22, v7
	v_add_nc_u32_e32 v17, 0xb54cda56, v13
	s_delay_alu instid0(VALU_DEP_3) | instskip(SKIP_4) | instid1(VALU_DEP_4)
	v_mad_u64_u32 v[7:8], null, 0xcd9e8d57, v3, 0
	v_xor3_b32 v3, v23, v16, v36
	v_xor3_b32 v18, v12, v38, v15
	v_mad_u64_u32 v[38:39], null, 0xcd9e8d57, v10, 0
	v_add_nc_u32_e32 v23, 0x1fd5c5a3, v14
	v_mad_u64_u32 v[15:16], null, 0xd2511f53, v3, 0
	s_delay_alu instid0(VALU_DEP_4) | instskip(SKIP_4) | instid1(VALU_DEP_4)
	v_mad_u64_u32 v[40:41], null, 0xd2511f53, v18, 0
	v_xor3_b32 v3, v12, v8, v9
	v_xor3_b32 v9, v17, v39, v7
	v_add_nc_u32_e32 v12, 0x5384540f, v13
	v_add_co_u32 v36, null, 0xf1bbcdc8, v13
	v_mad_u64_u32 v[7:8], null, 0xd2511f53, v3, 0
	v_xor3_b32 v3, v42, v16, v20
	v_xor3_b32 v20, v43, v41, v15
	v_mad_u64_u32 v[15:16], null, 0xd2511f53, v9, 0
	s_delay_alu instid0(VALU_DEP_3) | instskip(NEXT) | instid1(VALU_DEP_3)
	v_mad_u64_u32 v[9:10], null, 0xcd9e8d57, v3, 0
	v_mad_u64_u32 v[18:19], null, 0xcd9e8d57, v20, 0
	v_xor3_b32 v3, v43, v8, v21
	s_delay_alu instid0(VALU_DEP_4) | instskip(NEXT) | instid1(VALU_DEP_2)
	v_xor3_b32 v20, v23, v16, v7
	v_mad_u64_u32 v[7:8], null, 0xcd9e8d57, v3, 0
	v_xor3_b32 v3, v17, v10, v37
	v_xor3_b32 v19, v12, v19, v9
	s_delay_alu instid0(VALU_DEP_4) | instskip(SKIP_1) | instid1(VALU_DEP_4)
	v_mad_u64_u32 v[16:17], null, 0xcd9e8d57, v20, 0
	v_add_nc_u32_e32 v37, 0xdb3d7428, v14
	v_mad_u64_u32 v[9:10], null, 0xd2511f53, v3, 0
	s_delay_alu instid0(VALU_DEP_4) | instskip(SKIP_2) | instid1(VALU_DEP_2)
	v_mad_u64_u32 v[21:22], null, 0xd2511f53, v19, 0
	v_xor3_b32 v3, v12, v8, v38
	v_xor3_b32 v12, v36, v17, v7
	v_mad_u64_u32 v[19:20], null, 0xd2511f53, v3, 0
	v_xor3_b32 v3, v23, v10, v40
	v_xor3_b32 v17, v37, v22, v9
	s_delay_alu instid0(VALU_DEP_4) | instskip(NEXT) | instid1(VALU_DEP_3)
	v_mad_u64_u32 v[7:8], null, 0xd2511f53, v12, 0
                                        ; implicit-def: $vgpr12
	v_mad_u64_u32 v[22:23], null, 0xcd9e8d57, v3, 0
	s_delay_alu instid0(VALU_DEP_3) | instskip(SKIP_3) | instid1(VALU_DEP_3)
	v_mad_u64_u32 v[9:10], null, 0xcd9e8d57, v17, 0
	v_add_nc_u32_e32 v17, 0x96a522ad, v14
	v_add_nc_u32_e32 v14, 0x8ff34781, v13
	v_and_b32_e32 v13, 3, v11
	v_xor3_b32 v3, v8, v19, v17
	s_delay_alu instid0(VALU_DEP_3) | instskip(NEXT) | instid1(VALU_DEP_3)
	v_xor3_b32 v8, v10, v22, v14
	v_cmpx_lt_i32_e32 1, v13
	s_xor_b32 s4, exec_lo, s4
	s_cbranch_execz .LBB55_11
; %bb.6:                                ;   in Loop: Header=BB55_3 Depth=1
	s_mov_b32 s31, exec_lo
                                        ; implicit-def: $vgpr12
	v_cmpx_lt_i32_e32 2, v13
	s_xor_b32 s31, exec_lo, s31
; %bb.7:                                ;   in Loop: Header=BB55_3 Depth=1
	v_xor3_b32 v3, v36, v23, v18
	s_delay_alu instid0(VALU_DEP_1) | instskip(NEXT) | instid1(VALU_DEP_1)
	v_mul_hi_u32 v3, 0xd2511f53, v3
	v_xor3_b32 v12, v3, v21, v17
                                        ; implicit-def: $vgpr3
; %bb.8:                                ;   in Loop: Header=BB55_3 Depth=1
	s_and_not1_saveexec_b32 s31, s31
; %bb.9:                                ;   in Loop: Header=BB55_3 Depth=1
	v_dual_mov_b32 v12, v9 :: v_dual_mov_b32 v9, v8
	v_mov_b32_e32 v8, v7
	v_mov_b32_e32 v7, v3
; %bb.10:                               ;   in Loop: Header=BB55_3 Depth=1
	s_or_b32 exec_lo, exec_lo, s31
                                        ; implicit-def: $vgpr15_vgpr16
                                        ; implicit-def: $vgpr13
                                        ; implicit-def: $vgpr3
                                        ; implicit-def: $vgpr37
                                        ; implicit-def: $vgpr19_vgpr20
                                        ; implicit-def: $vgpr14
                                        ; implicit-def: $vgpr16_vgpr17
.LBB55_11:                              ;   in Loop: Header=BB55_3 Depth=1
	s_and_not1_saveexec_b32 s4, s4
	s_cbranch_execz .LBB55_15
; %bb.12:                               ;   in Loop: Header=BB55_3 Depth=1
	v_xor3_b32 v9, v37, v20, v15
	v_cmp_eq_u32_e32 vcc_lo, 1, v13
	s_delay_alu instid0(VALU_DEP_2) | instskip(SKIP_2) | instid1(VALU_DEP_3)
	v_mad_u64_u32 v[10:11], null, 0xcd9e8d57, v9, 0
	v_mov_b32_e32 v12, v7
	v_mov_b32_e32 v9, v3
	v_xor3_b32 v13, v11, v16, v14
	s_delay_alu instid0(VALU_DEP_4)
	v_mov_b32_e32 v11, v10
	s_and_saveexec_b32 s31, vcc_lo
; %bb.13:                               ;   in Loop: Header=BB55_3 Depth=1
	v_dual_mov_b32 v12, v8 :: v_dual_mov_b32 v9, v7
	v_mov_b32_e32 v11, v3
	v_mov_b32_e32 v13, v10
; %bb.14:                               ;   in Loop: Header=BB55_3 Depth=1
	s_or_b32 exec_lo, exec_lo, s31
	s_delay_alu instid0(VALU_DEP_1)
	v_dual_mov_b32 v7, v13 :: v_dual_mov_b32 v8, v11
.LBB55_15:                              ;   in Loop: Header=BB55_3 Depth=1
	s_or_b32 exec_lo, exec_lo, s4
	v_min_i32_e32 v10, 4, v24
	s_mov_b32 s31, 0
	s_mov_b32 s36, 0
	s_mov_b32 s35, exec_lo
                                        ; implicit-def: $sgpr4
                                        ; implicit-def: $sgpr33
                                        ; implicit-def: $sgpr34
	s_delay_alu instid0(VALU_DEP_1)
	v_cmpx_lt_i32_e32 2, v10
	s_xor_b32 s35, exec_lo, s35
	s_cbranch_execz .LBB55_25
; %bb.16:                               ;   in Loop: Header=BB55_3 Depth=1
	s_mov_b32 s36, -1
	s_mov_b32 s34, exec_lo
                                        ; implicit-def: $sgpr33
                                        ; implicit-def: $sgpr4
	v_cmpx_lt_i32_e32 3, v10
	s_cbranch_execz .LBB55_20
; %bb.17:                               ;   in Loop: Header=BB55_3 Depth=1
	v_cmp_le_f32_e32 vcc_lo, 0, v35
	v_cmp_ge_f32_e64 s4, 1.0, v35
	s_mov_b32 s33, 0
	s_mov_b32 s36, 0
	s_delay_alu instid0(VALU_DEP_1) | instskip(NEXT) | instid1(SALU_CYCLE_1)
	s_and_b32 s37, vcc_lo, s4
	s_and_saveexec_b32 s4, s37
	s_cbranch_execz .LBB55_19
; %bb.18:                               ;   in Loop: Header=BB55_3 Depth=1
	v_add_nc_u32_e32 v3, s24, v27
	v_cvt_f32_u32_e32 v13, v12
	s_mov_b32 s36, exec_lo
	s_delay_alu instid0(VALU_DEP_2) | instskip(NEXT) | instid1(VALU_DEP_1)
	v_cndmask_b32_e64 v3, 0, v3, s3
	v_lshlrev_b64 v[11:12], 1, v[3:4]
	s_delay_alu instid0(VALU_DEP_3) | instskip(NEXT) | instid1(VALU_DEP_2)
	v_fmaak_f32 v3, 0x2f800000, v13, 0x2f800000
	v_add_co_u32 v11, vcc_lo, s6, v11
	s_delay_alu instid0(VALU_DEP_3) | instskip(NEXT) | instid1(VALU_DEP_3)
	v_add_co_ci_u32_e32 v12, vcc_lo, s7, v12, vcc_lo
	v_cmp_le_f32_e32 vcc_lo, v3, v35
	v_cndmask_b32_e64 v3, 0, 1, vcc_lo
	global_store_b16 v[11:12], v3, off
.LBB55_19:                              ;   in Loop: Header=BB55_3 Depth=1
	s_or_b32 exec_lo, exec_lo, s4
	s_mov_b32 s4, -1
	s_or_not1_b32 s36, s36, exec_lo
.LBB55_20:                              ;   in Loop: Header=BB55_3 Depth=1
	s_or_b32 exec_lo, exec_lo, s34
	s_mov_b32 s3, 0
	s_mov_b32 s37, s33
	s_and_saveexec_b32 s34, s36
	s_cbranch_execz .LBB55_24
; %bb.21:                               ;   in Loop: Header=BB55_3 Depth=1
	v_cmp_le_f32_e32 vcc_lo, 0, v34
	v_cmp_ge_f32_e64 s3, 1.0, v34
	s_delay_alu instid0(VALU_DEP_1) | instskip(SKIP_2) | instid1(SALU_CYCLE_1)
	s_and_b32 s36, vcc_lo, s3
	s_mov_b32 s3, 0
	s_and_saveexec_b32 s37, s36
	s_xor_b32 s36, exec_lo, s37
	s_cbranch_execz .LBB55_23
; %bb.22:                               ;   in Loop: Header=BB55_3 Depth=1
	v_add_nc_u32_e32 v3, s24, v26
	v_cvt_f32_u32_e32 v9, v9
	s_mov_b32 s3, exec_lo
	s_delay_alu instid0(VALU_DEP_2) | instskip(NEXT) | instid1(VALU_DEP_1)
	v_cndmask_b32_e64 v3, 0, v3, s2
	v_lshlrev_b64 v[11:12], 1, v[3:4]
	s_delay_alu instid0(VALU_DEP_3) | instskip(NEXT) | instid1(VALU_DEP_2)
	v_fmaak_f32 v3, 0x2f800000, v9, 0x2f800000
	v_add_co_u32 v11, vcc_lo, s6, v11
	s_delay_alu instid0(VALU_DEP_3) | instskip(NEXT) | instid1(VALU_DEP_3)
	v_add_co_ci_u32_e32 v12, vcc_lo, s7, v12, vcc_lo
	v_cmp_le_f32_e32 vcc_lo, v3, v34
	v_cndmask_b32_e64 v3, 0, 1, vcc_lo
	global_store_b16 v[11:12], v3, off
.LBB55_23:                              ;   in Loop: Header=BB55_3 Depth=1
	s_or_b32 exec_lo, exec_lo, s36
	s_delay_alu instid0(SALU_CYCLE_1)
	s_and_not1_b32 s37, s33, exec_lo
	s_or_b32 s33, s33, exec_lo
	s_and_not1_b32 s4, s4, exec_lo
	s_and_b32 s3, s3, exec_lo
.LBB55_24:                              ;   in Loop: Header=BB55_3 Depth=1
	s_or_b32 exec_lo, exec_lo, s34
	s_delay_alu instid0(SALU_CYCLE_1)
	s_and_b32 s34, s37, exec_lo
	s_and_b32 s33, s33, exec_lo
	s_and_b32 s4, s4, exec_lo
	s_and_b32 s36, s3, exec_lo
.LBB55_25:                              ;   in Loop: Header=BB55_3 Depth=1
	s_and_not1_saveexec_b32 s2, s35
; %bb.26:                               ;   in Loop: Header=BB55_3 Depth=1
	v_cmp_lt_i32_e32 vcc_lo, 1, v10
	s_and_not1_b32 s3, s36, exec_lo
	s_mov_b32 s31, exec_lo
	s_and_not1_b32 s34, s34, exec_lo
	s_and_not1_b32 s33, s33, exec_lo
	s_and_b32 s35, vcc_lo, exec_lo
	s_and_not1_b32 s4, s4, exec_lo
	s_or_b32 s36, s3, s35
; %bb.27:                               ;   in Loop: Header=BB55_3 Depth=1
	s_or_b32 exec_lo, exec_lo, s2
	s_mov_b32 s3, 0
	s_mov_b32 s35, 0
	;; [unrolled: 1-line block ×3, first 2 shown]
	s_and_saveexec_b32 s37, s36
	s_cbranch_execnz .LBB55_30
; %bb.28:                               ;   in Loop: Header=BB55_3 Depth=1
	s_or_b32 exec_lo, exec_lo, s37
	s_and_saveexec_b32 s1, s31
	s_cbranch_execnz .LBB55_33
.LBB55_29:                              ;   in Loop: Header=BB55_3 Depth=1
	s_or_b32 exec_lo, exec_lo, s1
	s_and_saveexec_b32 s31, s35
	s_cbranch_execnz .LBB55_34
	s_branch .LBB55_37
.LBB55_30:                              ;   in Loop: Header=BB55_3 Depth=1
	v_cmp_le_f32_e32 vcc_lo, 0, v33
	v_cmp_ge_f32_e64 s2, 1.0, v33
	s_delay_alu instid0(VALU_DEP_1) | instskip(NEXT) | instid1(SALU_CYCLE_1)
	s_and_b32 s2, vcc_lo, s2
	s_and_saveexec_b32 s36, s2
	s_delay_alu instid0(SALU_CYCLE_1)
	s_xor_b32 s2, exec_lo, s36
	s_cbranch_execz .LBB55_32
; %bb.31:                               ;   in Loop: Header=BB55_3 Depth=1
	v_add_nc_u32_e32 v3, s24, v5
	v_cvt_f32_u32_e32 v11, v8
	s_mov_b32 s35, exec_lo
	s_delay_alu instid0(VALU_DEP_2) | instskip(NEXT) | instid1(VALU_DEP_1)
	v_cndmask_b32_e64 v3, 0, v3, s1
	v_lshlrev_b64 v[8:9], 1, v[3:4]
	s_delay_alu instid0(VALU_DEP_3) | instskip(NEXT) | instid1(VALU_DEP_2)
	v_fmaak_f32 v3, 0x2f800000, v11, 0x2f800000
	v_add_co_u32 v8, vcc_lo, s6, v8
	s_delay_alu instid0(VALU_DEP_3) | instskip(NEXT) | instid1(VALU_DEP_3)
	v_add_co_ci_u32_e32 v9, vcc_lo, s7, v9, vcc_lo
	v_cmp_le_f32_e32 vcc_lo, v3, v33
	v_cndmask_b32_e64 v3, 0, 1, vcc_lo
	global_store_b16 v[8:9], v3, off
.LBB55_32:                              ;   in Loop: Header=BB55_3 Depth=1
	s_or_b32 exec_lo, exec_lo, s2
	s_delay_alu instid0(SALU_CYCLE_1)
	s_and_not1_b32 s2, s34, exec_lo
	s_or_b32 s34, s34, exec_lo
	s_and_not1_b32 s33, s33, exec_lo
	s_and_not1_b32 s4, s4, exec_lo
	s_and_b32 s35, s35, exec_lo
	s_and_not1_b32 s31, s31, exec_lo
	s_or_b32 exec_lo, exec_lo, s37
	s_and_saveexec_b32 s1, s31
	s_cbranch_execz .LBB55_29
.LBB55_33:                              ;   in Loop: Header=BB55_3 Depth=1
	v_cmp_eq_u32_e32 vcc_lo, 1, v10
	s_and_not1_b32 s31, s35, exec_lo
	s_mov_b32 s3, exec_lo
	s_and_not1_b32 s2, s2, exec_lo
	s_and_not1_b32 s34, s34, exec_lo
	s_and_b32 s35, vcc_lo, exec_lo
	s_and_not1_b32 s33, s33, exec_lo
	s_and_not1_b32 s4, s4, exec_lo
	s_or_b32 s35, s31, s35
	s_or_b32 exec_lo, exec_lo, s1
	s_and_saveexec_b32 s31, s35
	s_cbranch_execz .LBB55_37
.LBB55_34:                              ;   in Loop: Header=BB55_3 Depth=1
	v_cmp_le_f32_e32 vcc_lo, 0, v32
	v_cmp_ge_f32_e64 s1, 1.0, v32
	s_delay_alu instid0(VALU_DEP_1)
	s_and_b32 s36, vcc_lo, s1
	s_mov_b32 s1, 0
	s_and_saveexec_b32 s35, s36
	s_cbranch_execz .LBB55_36
; %bb.35:                               ;   in Loop: Header=BB55_3 Depth=1
	v_add_nc_u32_e32 v3, s24, v28
	v_cvt_f32_u32_e32 v9, v7
	s_mov_b32 s1, exec_lo
	s_delay_alu instid0(VALU_DEP_2) | instskip(NEXT) | instid1(VALU_DEP_1)
	v_cndmask_b32_e64 v3, 0, v3, s0
	v_lshlrev_b64 v[7:8], 1, v[3:4]
	s_delay_alu instid0(VALU_DEP_3) | instskip(NEXT) | instid1(VALU_DEP_2)
	v_fmaak_f32 v3, 0x2f800000, v9, 0x2f800000
	v_add_co_u32 v7, vcc_lo, s6, v7
	s_delay_alu instid0(VALU_DEP_3) | instskip(NEXT) | instid1(VALU_DEP_3)
	v_add_co_ci_u32_e32 v8, vcc_lo, s7, v8, vcc_lo
	v_cmp_le_f32_e32 vcc_lo, v3, v32
	v_cndmask_b32_e64 v3, 0, 1, vcc_lo
	global_store_b16 v[7:8], v3, off
.LBB55_36:                              ;   in Loop: Header=BB55_3 Depth=1
	s_or_b32 exec_lo, exec_lo, s35
	s_delay_alu instid0(SALU_CYCLE_1)
	s_and_not1_b32 s0, s3, exec_lo
	s_and_b32 s1, s1, exec_lo
	s_or_b32 s2, s2, exec_lo
	s_and_not1_b32 s34, s34, exec_lo
	s_and_not1_b32 s33, s33, exec_lo
	;; [unrolled: 1-line block ×3, first 2 shown]
	s_or_b32 s3, s0, s1
.LBB55_37:                              ;   in Loop: Header=BB55_3 Depth=1
	s_or_b32 exec_lo, exec_lo, s31
	s_delay_alu instid0(SALU_CYCLE_1)
	s_and_not1_b32 s1, s30, exec_lo
	s_and_b32 s2, s2, exec_lo
	s_and_not1_b32 s28, s28, exec_lo
	s_and_b32 s31, s34, exec_lo
	s_or_b32 s30, s1, s2
	s_and_not1_b32 s1, s29, exec_lo
	s_and_b32 s2, s33, exec_lo
	s_and_not1_b32 s27, s27, exec_lo
	s_and_b32 s4, s4, exec_lo
	s_mov_b32 s0, -1
	s_or_b32 s28, s28, s31
	s_or_b32 s29, s1, s2
	;; [unrolled: 1-line block ×3, first 2 shown]
	s_and_saveexec_b32 s1, s3
	s_cbranch_execz .LBB55_2
; %bb.38:                               ;   in Loop: Header=BB55_3 Depth=1
	v_add_nc_u32_e32 v0, s19, v0
	v_subrev_nc_u32_e32 v24, s19, v24
	s_add_i32 s24, s24, s20
	s_add_i32 s22, s22, s21
	s_and_not1_b32 s30, s30, exec_lo
	v_cmp_le_u32_e32 vcc_lo, s5, v0
	s_and_not1_b32 s28, s28, exec_lo
	s_and_not1_b32 s29, s29, exec_lo
	;; [unrolled: 1-line block ×3, first 2 shown]
	s_or_not1_b32 s0, vcc_lo, exec_lo
	s_branch .LBB55_2
.LBB55_39:
	s_or_b32 exec_lo, exec_lo, s16
	s_xor_b32 s3, s25, -1
	s_xor_b32 s4, s26, -1
	;; [unrolled: 1-line block ×3, first 2 shown]
	s_mov_b32 s1, 0
	s_and_saveexec_b32 s2, s0
	s_delay_alu instid0(SALU_CYCLE_1)
	s_xor_b32 s0, exec_lo, s2
	s_cbranch_execz .LBB55_48
; %bb.40:
	s_mov_b32 s2, 0
	s_and_saveexec_b32 s1, s4
	s_delay_alu instid0(SALU_CYCLE_1)
	s_xor_b32 s1, exec_lo, s1
	s_cbranch_execz .LBB55_46
; %bb.41:
	s_and_saveexec_b32 s4, s3
	s_delay_alu instid0(SALU_CYCLE_1)
	s_xor_b32 s3, exec_lo, s4
	s_cbranch_execz .LBB55_44
; %bb.42:
	s_and_saveexec_b32 s4, s17
	s_delay_alu instid0(SALU_CYCLE_1)
	s_xor_b32 s4, exec_lo, s4
	s_cbranch_execnz .LBB55_62
.LBB55_43:
	s_or_b32 exec_lo, exec_lo, s4
	s_delay_alu instid0(SALU_CYCLE_1)
	s_and_b32 s2, s2, exec_lo
.LBB55_44:
	s_and_not1_saveexec_b32 s3, s3
	s_cbranch_execnz .LBB55_58
.LBB55_45:
	s_or_b32 exec_lo, exec_lo, s3
	s_delay_alu instid0(SALU_CYCLE_1)
	s_and_b32 s2, s2, exec_lo
.LBB55_46:
	s_and_not1_saveexec_b32 s1, s1
	s_cbranch_execnz .LBB55_54
.LBB55_47:
	s_or_b32 exec_lo, exec_lo, s1
	s_delay_alu instid0(SALU_CYCLE_1)
	s_and_b32 s1, s2, exec_lo
.LBB55_48:
	s_and_not1_saveexec_b32 s0, s0
	s_cbranch_execnz .LBB55_52
; %bb.49:
	s_or_b32 exec_lo, exec_lo, s0
	s_delay_alu instid0(SALU_CYCLE_1)
	s_and_b32 exec_lo, exec_lo, s1
.LBB55_50:
	; divergent unreachable
.LBB55_51:
	s_nop 0
	s_sendmsg sendmsg(MSG_DEALLOC_VGPRS)
	s_endpgm
.LBB55_52:
	s_cbranch_execnz .LBB55_56
; %bb.53:
	s_or_b32 s1, s1, exec_lo
	s_or_b32 exec_lo, exec_lo, s0
	s_delay_alu instid0(SALU_CYCLE_1)
	s_and_b32 exec_lo, exec_lo, s1
	s_cbranch_execnz .LBB55_50
	s_branch .LBB55_51
.LBB55_54:
	s_cbranch_execnz .LBB55_60
; %bb.55:
	s_or_b32 s2, s2, exec_lo
	s_branch .LBB55_47
.LBB55_56:
	s_trap 2
	s_sendmsg_rtn_b32 s0, sendmsg(MSG_RTN_GET_DOORBELL)
	s_mov_b32 ttmp2, m0
	s_waitcnt lgkmcnt(0)
	s_and_b32 s0, s0, 0x3ff
	s_delay_alu instid0(SALU_CYCLE_1) | instskip(NEXT) | instid1(SALU_CYCLE_1)
	s_bitset1_b32 s0, 10
	s_mov_b32 m0, s0
	s_sendmsg sendmsg(MSG_INTERRUPT)
	s_mov_b32 m0, ttmp2
.LBB55_57:                              ; =>This Inner Loop Header: Depth=1
	s_sethalt 5
	s_branch .LBB55_57
.LBB55_58:
	s_cbranch_execnz .LBB55_64
; %bb.59:
	s_or_b32 s2, s2, exec_lo
	s_branch .LBB55_45
.LBB55_60:
	s_trap 2
	s_sendmsg_rtn_b32 s0, sendmsg(MSG_RTN_GET_DOORBELL)
	s_mov_b32 ttmp2, m0
	s_waitcnt lgkmcnt(0)
	s_and_b32 s0, s0, 0x3ff
	s_delay_alu instid0(SALU_CYCLE_1) | instskip(NEXT) | instid1(SALU_CYCLE_1)
	s_bitset1_b32 s0, 10
	s_mov_b32 m0, s0
	s_sendmsg sendmsg(MSG_INTERRUPT)
	s_mov_b32 m0, ttmp2
.LBB55_61:                              ; =>This Inner Loop Header: Depth=1
	s_sethalt 5
	s_branch .LBB55_61
.LBB55_62:
	s_cbranch_execnz .LBB55_66
; %bb.63:
	s_mov_b32 s2, exec_lo
	s_branch .LBB55_43
.LBB55_64:
	s_trap 2
	s_sendmsg_rtn_b32 s0, sendmsg(MSG_RTN_GET_DOORBELL)
	s_mov_b32 ttmp2, m0
	s_waitcnt lgkmcnt(0)
	s_and_b32 s0, s0, 0x3ff
	s_delay_alu instid0(SALU_CYCLE_1) | instskip(NEXT) | instid1(SALU_CYCLE_1)
	s_bitset1_b32 s0, 10
	s_mov_b32 m0, s0
	s_sendmsg sendmsg(MSG_INTERRUPT)
	s_mov_b32 m0, ttmp2
.LBB55_65:                              ; =>This Inner Loop Header: Depth=1
	s_sethalt 5
	s_branch .LBB55_65
.LBB55_66:
	s_trap 2
	s_sendmsg_rtn_b32 s0, sendmsg(MSG_RTN_GET_DOORBELL)
	s_mov_b32 ttmp2, m0
	s_waitcnt lgkmcnt(0)
	s_and_b32 s0, s0, 0x3ff
	s_delay_alu instid0(SALU_CYCLE_1) | instskip(NEXT) | instid1(SALU_CYCLE_1)
	s_bitset1_b32 s0, 10
	s_mov_b32 m0, s0
	s_sendmsg sendmsg(MSG_INTERRUPT)
	s_mov_b32 m0, ttmp2
.LBB55_67:                              ; =>This Inner Loop Header: Depth=1
	s_sethalt 5
	s_branch .LBB55_67
	.section	.rodata,"a",@progbits
	.p2align	6, 0x0
	.amdhsa_kernel _ZN2at4cuda12_GLOBAL__N_121kernelPointwiseApply2IZNS_6native9templates4cuda28bernoulli_tensor_cuda_kernelIsfEEvRKNS_10TensorBaseES9_NS_15PhiloxCudaStateEEUliRsSB_SB_SB_RKfSD_SD_SD_E_sSC_jLi1ELi1ELi4ELi512ELi2EEEvNS0_6detail10TensorInfoIT0_T2_EENSG_IT1_SI_EESI_T_
		.amdhsa_group_segment_fixed_size 0
		.amdhsa_private_segment_fixed_size 0
		.amdhsa_kernarg_size 728
		.amdhsa_user_sgpr_count 15
		.amdhsa_user_sgpr_dispatch_ptr 0
		.amdhsa_user_sgpr_queue_ptr 0
		.amdhsa_user_sgpr_kernarg_segment_ptr 1
		.amdhsa_user_sgpr_dispatch_id 0
		.amdhsa_user_sgpr_private_segment_size 0
		.amdhsa_wavefront_size32 1
		.amdhsa_uses_dynamic_stack 0
		.amdhsa_enable_private_segment 0
		.amdhsa_system_sgpr_workgroup_id_x 1
		.amdhsa_system_sgpr_workgroup_id_y 0
		.amdhsa_system_sgpr_workgroup_id_z 0
		.amdhsa_system_sgpr_workgroup_info 0
		.amdhsa_system_vgpr_workitem_id 0
		.amdhsa_next_free_vgpr 44
		.amdhsa_next_free_sgpr 38
		.amdhsa_reserve_vcc 1
		.amdhsa_float_round_mode_32 0
		.amdhsa_float_round_mode_16_64 0
		.amdhsa_float_denorm_mode_32 3
		.amdhsa_float_denorm_mode_16_64 3
		.amdhsa_dx10_clamp 1
		.amdhsa_ieee_mode 1
		.amdhsa_fp16_overflow 0
		.amdhsa_workgroup_processor_mode 1
		.amdhsa_memory_ordered 1
		.amdhsa_forward_progress 0
		.amdhsa_shared_vgpr_count 0
		.amdhsa_exception_fp_ieee_invalid_op 0
		.amdhsa_exception_fp_denorm_src 0
		.amdhsa_exception_fp_ieee_div_zero 0
		.amdhsa_exception_fp_ieee_overflow 0
		.amdhsa_exception_fp_ieee_underflow 0
		.amdhsa_exception_fp_ieee_inexact 0
		.amdhsa_exception_int_div_zero 0
	.end_amdhsa_kernel
	.section	.text._ZN2at4cuda12_GLOBAL__N_121kernelPointwiseApply2IZNS_6native9templates4cuda28bernoulli_tensor_cuda_kernelIsfEEvRKNS_10TensorBaseES9_NS_15PhiloxCudaStateEEUliRsSB_SB_SB_RKfSD_SD_SD_E_sSC_jLi1ELi1ELi4ELi512ELi2EEEvNS0_6detail10TensorInfoIT0_T2_EENSG_IT1_SI_EESI_T_,"axG",@progbits,_ZN2at4cuda12_GLOBAL__N_121kernelPointwiseApply2IZNS_6native9templates4cuda28bernoulli_tensor_cuda_kernelIsfEEvRKNS_10TensorBaseES9_NS_15PhiloxCudaStateEEUliRsSB_SB_SB_RKfSD_SD_SD_E_sSC_jLi1ELi1ELi4ELi512ELi2EEEvNS0_6detail10TensorInfoIT0_T2_EENSG_IT1_SI_EESI_T_,comdat
.Lfunc_end55:
	.size	_ZN2at4cuda12_GLOBAL__N_121kernelPointwiseApply2IZNS_6native9templates4cuda28bernoulli_tensor_cuda_kernelIsfEEvRKNS_10TensorBaseES9_NS_15PhiloxCudaStateEEUliRsSB_SB_SB_RKfSD_SD_SD_E_sSC_jLi1ELi1ELi4ELi512ELi2EEEvNS0_6detail10TensorInfoIT0_T2_EENSG_IT1_SI_EESI_T_, .Lfunc_end55-_ZN2at4cuda12_GLOBAL__N_121kernelPointwiseApply2IZNS_6native9templates4cuda28bernoulli_tensor_cuda_kernelIsfEEvRKNS_10TensorBaseES9_NS_15PhiloxCudaStateEEUliRsSB_SB_SB_RKfSD_SD_SD_E_sSC_jLi1ELi1ELi4ELi512ELi2EEEvNS0_6detail10TensorInfoIT0_T2_EENSG_IT1_SI_EESI_T_
                                        ; -- End function
	.section	.AMDGPU.csdata,"",@progbits
; Kernel info:
; codeLenInByte = 3232
; NumSgprs: 40
; NumVgprs: 44
; ScratchSize: 0
; MemoryBound: 0
; FloatMode: 240
; IeeeMode: 1
; LDSByteSize: 0 bytes/workgroup (compile time only)
; SGPRBlocks: 4
; VGPRBlocks: 5
; NumSGPRsForWavesPerEU: 40
; NumVGPRsForWavesPerEU: 44
; Occupancy: 16
; WaveLimiterHint : 1
; COMPUTE_PGM_RSRC2:SCRATCH_EN: 0
; COMPUTE_PGM_RSRC2:USER_SGPR: 15
; COMPUTE_PGM_RSRC2:TRAP_HANDLER: 0
; COMPUTE_PGM_RSRC2:TGID_X_EN: 1
; COMPUTE_PGM_RSRC2:TGID_Y_EN: 0
; COMPUTE_PGM_RSRC2:TGID_Z_EN: 0
; COMPUTE_PGM_RSRC2:TIDIG_COMP_CNT: 0
	.section	.text._ZN2at4cuda12_GLOBAL__N_121kernelPointwiseApply2IZNS_6native9templates4cuda28bernoulli_tensor_cuda_kernelIsfEEvRKNS_10TensorBaseES9_NS_15PhiloxCudaStateEEUliRsSB_SB_SB_RKfSD_SD_SD_E_sSC_jLi1ELi2ELi4ELi512ELi2EEEvNS0_6detail10TensorInfoIT0_T2_EENSG_IT1_SI_EESI_T_,"axG",@progbits,_ZN2at4cuda12_GLOBAL__N_121kernelPointwiseApply2IZNS_6native9templates4cuda28bernoulli_tensor_cuda_kernelIsfEEvRKNS_10TensorBaseES9_NS_15PhiloxCudaStateEEUliRsSB_SB_SB_RKfSD_SD_SD_E_sSC_jLi1ELi2ELi4ELi512ELi2EEEvNS0_6detail10TensorInfoIT0_T2_EENSG_IT1_SI_EESI_T_,comdat
	.globl	_ZN2at4cuda12_GLOBAL__N_121kernelPointwiseApply2IZNS_6native9templates4cuda28bernoulli_tensor_cuda_kernelIsfEEvRKNS_10TensorBaseES9_NS_15PhiloxCudaStateEEUliRsSB_SB_SB_RKfSD_SD_SD_E_sSC_jLi1ELi2ELi4ELi512ELi2EEEvNS0_6detail10TensorInfoIT0_T2_EENSG_IT1_SI_EESI_T_ ; -- Begin function _ZN2at4cuda12_GLOBAL__N_121kernelPointwiseApply2IZNS_6native9templates4cuda28bernoulli_tensor_cuda_kernelIsfEEvRKNS_10TensorBaseES9_NS_15PhiloxCudaStateEEUliRsSB_SB_SB_RKfSD_SD_SD_E_sSC_jLi1ELi2ELi4ELi512ELi2EEEvNS0_6detail10TensorInfoIT0_T2_EENSG_IT1_SI_EESI_T_
	.p2align	8
	.type	_ZN2at4cuda12_GLOBAL__N_121kernelPointwiseApply2IZNS_6native9templates4cuda28bernoulli_tensor_cuda_kernelIsfEEvRKNS_10TensorBaseES9_NS_15PhiloxCudaStateEEUliRsSB_SB_SB_RKfSD_SD_SD_E_sSC_jLi1ELi2ELi4ELi512ELi2EEEvNS0_6detail10TensorInfoIT0_T2_EENSG_IT1_SI_EESI_T_,@function
_ZN2at4cuda12_GLOBAL__N_121kernelPointwiseApply2IZNS_6native9templates4cuda28bernoulli_tensor_cuda_kernelIsfEEvRKNS_10TensorBaseES9_NS_15PhiloxCudaStateEEUliRsSB_SB_SB_RKfSD_SD_SD_E_sSC_jLi1ELi2ELi4ELi512ELi2EEEvNS0_6detail10TensorInfoIT0_T2_EENSG_IT1_SI_EESI_T_: ; @_ZN2at4cuda12_GLOBAL__N_121kernelPointwiseApply2IZNS_6native9templates4cuda28bernoulli_tensor_cuda_kernelIsfEEvRKNS_10TensorBaseES9_NS_15PhiloxCudaStateEEUliRsSB_SB_SB_RKfSD_SD_SD_E_sSC_jLi1ELi2ELi4ELi512ELi2EEEvNS0_6detail10TensorInfoIT0_T2_EENSG_IT1_SI_EESI_T_
; %bb.0:
	s_clause 0x1
	s_load_b32 s4, s[0:1], 0x1e4
	s_load_b32 s16, s[0:1], 0x1b0
	s_add_u32 s2, s0, 0x1d8
	s_addc_u32 s3, s1, 0
	s_waitcnt lgkmcnt(0)
	s_and_b32 s20, s4, 0xffff
	s_mov_b32 s4, exec_lo
	v_mad_u64_u32 v[1:2], null, s15, s20, v[0:1]
	s_delay_alu instid0(VALU_DEP_1) | instskip(NEXT) | instid1(VALU_DEP_1)
	v_lshlrev_b32_e32 v0, 2, v1
	v_cmpx_gt_u32_e64 s16, v0
	s_cbranch_execz .LBB56_59
; %bb.1:
	s_clause 0x3
	s_load_b32 s17, s[0:1], 0xe4
	s_load_b32 s4, s[0:1], 0x1d0
	;; [unrolled: 1-line block ×3, first 2 shown]
	s_load_b64 s[8:9], s[0:1], 0x0
	s_load_b32 s2, s[2:3], 0x0
	s_clause 0x1
	s_load_b64 s[10:11], s[0:1], 0xd8
	s_load_b64 s[12:13], s[0:1], 0x1c8
	v_add_nc_u32_e32 v8, 3, v0
	v_sub_nc_u32_e32 v25, s16, v0
	s_mov_b32 s22, 0
	s_mov_b32 s25, 0
                                        ; implicit-def: $sgpr24
                                        ; implicit-def: $sgpr27
                                        ; implicit-def: $sgpr26
                                        ; implicit-def: $sgpr28
                                        ; implicit-def: $sgpr30
                                        ; implicit-def: $sgpr29
                                        ; implicit-def: $sgpr31
	v_add_nc_u32_e32 v7, 2, v0
	s_waitcnt lgkmcnt(0)
	v_cvt_f32_u32_e32 v2, s17
	s_bitcmp1_b32 s4, 0
	s_clause 0x1
	s_load_b64 s[14:15], s[0:1], 0x144
	s_load_b128 s[4:7], s[0:1], 0x1b8
	s_cselect_b32 s18, -1, 0
	s_sub_i32 s19, 0, s17
	v_rcp_iflag_f32_e32 v2, v2
	v_mul_lo_u32 v24, v0, s23
	v_mul_lo_u32 v28, s23, v8
	s_mul_i32 s2, s2, s20
	v_mov_b32_e32 v4, 0
	s_lshl_b32 s21, s2, 2
                                        ; implicit-def: $sgpr20
	v_mul_lo_u32 v27, s23, v7
	s_waitcnt_depctr 0xfff
	v_dual_mul_f32 v2, 0x4f7ffffe, v2 :: v_dual_add_nc_u32 v29, s23, v24
	s_mul_i32 s23, s21, s23
	s_delay_alu instid0(VALU_DEP_1) | instskip(SKIP_1) | instid1(VALU_DEP_2)
	v_cvt_u32_f32_e32 v5, v2
	v_mad_u64_u32 v[2:3], null, 0xcd9e8d57, v1, 0
	v_mul_lo_u32 v6, s19, v5
	s_delay_alu instid0(VALU_DEP_2) | instskip(NEXT) | instid1(VALU_DEP_2)
	v_mov_b32_e32 v26, v3
	v_mul_hi_u32 v6, v5, v6
	s_delay_alu instid0(VALU_DEP_1)
	v_add_nc_u32_e32 v30, v5, v6
	s_branch .LBB56_3
.LBB56_2:                               ;   in Loop: Header=BB56_3 Depth=1
	s_or_b32 exec_lo, exec_lo, s1
	s_delay_alu instid0(SALU_CYCLE_1) | instskip(NEXT) | instid1(SALU_CYCLE_1)
	s_and_b32 s0, exec_lo, s0
	s_or_b32 s22, s0, s22
	s_and_not1_b32 s0, s20, exec_lo
	s_and_b32 s1, s31, exec_lo
	s_and_not1_b32 s2, s26, exec_lo
	s_and_b32 s3, s29, exec_lo
	s_or_b32 s20, s0, s1
	s_or_b32 s26, s2, s3
	s_and_not1_b32 s0, s27, exec_lo
	s_and_b32 s1, s30, exec_lo
	s_and_not1_b32 s2, s24, exec_lo
	s_and_b32 s3, s28, exec_lo
	s_or_b32 s27, s0, s1
	s_or_b32 s24, s2, s3
	s_and_not1_b32 exec_lo, exec_lo, s22
	s_cbranch_execz .LBB56_47
.LBB56_3:                               ; =>This Inner Loop Header: Depth=1
	v_mov_b32_e32 v7, 0
	v_mov_b32_e32 v8, 0
	v_cmp_lt_i32_e64 s0, 0, v25
	s_delay_alu instid0(VALU_DEP_2) | instskip(NEXT) | instid1(VALU_DEP_2)
	v_dual_mov_b32 v10, v8 :: v_dual_mov_b32 v9, v7
	s_and_saveexec_b32 s1, s0
	s_cbranch_execz .LBB56_5
; %bb.4:                                ;   in Loop: Header=BB56_3 Depth=1
	v_mul_hi_u32 v3, v30, v0
	s_delay_alu instid0(VALU_DEP_1) | instskip(SKIP_1) | instid1(VALU_DEP_2)
	v_not_b32_e32 v11, v3
	v_mad_u64_u32 v[5:6], null, s19, v3, v[0:1]
	v_mad_u64_u32 v[9:10], null, s17, v11, v[0:1]
	s_delay_alu instid0(VALU_DEP_2) | instskip(NEXT) | instid1(VALU_DEP_2)
	v_cmp_le_u32_e32 vcc_lo, s17, v5
	v_dual_cndmask_b32 v5, v5, v9 :: v_dual_add_nc_u32 v6, 1, v3
	s_delay_alu instid0(VALU_DEP_1) | instskip(NEXT) | instid1(VALU_DEP_2)
	v_cndmask_b32_e32 v3, v3, v6, vcc_lo
	v_cmp_le_u32_e32 vcc_lo, s17, v5
	s_delay_alu instid0(VALU_DEP_2) | instskip(NEXT) | instid1(VALU_DEP_1)
	v_add_nc_u32_e32 v6, 1, v3
	v_cndmask_b32_e32 v11, v3, v6, vcc_lo
	s_delay_alu instid0(VALU_DEP_1) | instskip(SKIP_1) | instid1(VALU_DEP_1)
	v_mad_u64_u32 v[5:6], null, s19, v11, v[0:1]
	s_waitcnt lgkmcnt(0)
	v_mul_lo_u32 v3, v5, s15
	s_delay_alu instid0(VALU_DEP_1)
	v_mad_u64_u32 v[9:10], null, v11, s14, v[3:4]
	v_mov_b32_e32 v10, v4
.LBB56_5:                               ;   in Loop: Header=BB56_3 Depth=1
	s_or_b32 exec_lo, exec_lo, s1
	v_cmp_lt_i32_e64 s1, 1, v25
	s_delay_alu instid0(VALU_DEP_1)
	s_and_saveexec_b32 s2, s1
	s_cbranch_execz .LBB56_7
; %bb.6:                                ;   in Loop: Header=BB56_3 Depth=1
	v_add_nc_u32_e32 v3, 1, v0
	s_delay_alu instid0(VALU_DEP_1) | instskip(NEXT) | instid1(VALU_DEP_1)
	v_mul_hi_u32 v5, v3, v30
	v_mul_lo_u32 v6, v5, s17
	s_delay_alu instid0(VALU_DEP_1) | instskip(NEXT) | instid1(VALU_DEP_1)
	v_sub_nc_u32_e32 v6, v3, v6
	v_subrev_nc_u32_e32 v8, s17, v6
	v_cmp_le_u32_e32 vcc_lo, s17, v6
	s_delay_alu instid0(VALU_DEP_2) | instskip(NEXT) | instid1(VALU_DEP_1)
	v_dual_cndmask_b32 v6, v6, v8 :: v_dual_add_nc_u32 v7, 1, v5
	v_cndmask_b32_e32 v5, v5, v7, vcc_lo
	s_delay_alu instid0(VALU_DEP_2) | instskip(NEXT) | instid1(VALU_DEP_2)
	v_cmp_le_u32_e32 vcc_lo, s17, v6
	v_add_nc_u32_e32 v7, 1, v5
	s_delay_alu instid0(VALU_DEP_1) | instskip(NEXT) | instid1(VALU_DEP_1)
	v_cndmask_b32_e32 v5, v5, v7, vcc_lo
	v_mul_lo_u32 v6, v5, s17
	s_delay_alu instid0(VALU_DEP_1) | instskip(SKIP_1) | instid1(VALU_DEP_1)
	v_sub_nc_u32_e32 v3, v3, v6
	s_waitcnt lgkmcnt(0)
	v_mul_lo_u32 v3, v3, s15
	s_delay_alu instid0(VALU_DEP_1)
	v_mad_u64_u32 v[7:8], null, v5, s14, v[3:4]
	v_mov_b32_e32 v8, v4
.LBB56_7:                               ;   in Loop: Header=BB56_3 Depth=1
	s_or_b32 exec_lo, exec_lo, s2
	v_mov_b32_e32 v5, 0
	v_mov_b32_e32 v6, 0
	v_cmp_lt_i32_e64 s2, 2, v25
	s_delay_alu instid0(VALU_DEP_2) | instskip(NEXT) | instid1(VALU_DEP_2)
	v_dual_mov_b32 v12, v6 :: v_dual_mov_b32 v11, v5
	s_and_saveexec_b32 s3, s2
	s_cbranch_execz .LBB56_9
; %bb.8:                                ;   in Loop: Header=BB56_3 Depth=1
	v_add_nc_u32_e32 v3, 2, v0
	s_delay_alu instid0(VALU_DEP_1) | instskip(NEXT) | instid1(VALU_DEP_1)
	v_mul_hi_u32 v11, v3, v30
	v_mul_lo_u32 v12, v11, s17
	v_add_nc_u32_e32 v13, 1, v11
	s_delay_alu instid0(VALU_DEP_2) | instskip(NEXT) | instid1(VALU_DEP_1)
	v_sub_nc_u32_e32 v12, v3, v12
	v_subrev_nc_u32_e32 v14, s17, v12
	v_cmp_le_u32_e32 vcc_lo, s17, v12
	s_delay_alu instid0(VALU_DEP_2) | instskip(NEXT) | instid1(VALU_DEP_1)
	v_dual_cndmask_b32 v11, v11, v13 :: v_dual_cndmask_b32 v12, v12, v14
	v_add_nc_u32_e32 v13, 1, v11
	s_delay_alu instid0(VALU_DEP_2) | instskip(NEXT) | instid1(VALU_DEP_2)
	v_cmp_le_u32_e32 vcc_lo, s17, v12
	v_cndmask_b32_e32 v13, v11, v13, vcc_lo
	s_delay_alu instid0(VALU_DEP_1) | instskip(NEXT) | instid1(VALU_DEP_1)
	v_mul_lo_u32 v11, v13, s17
	v_sub_nc_u32_e32 v3, v3, v11
	s_waitcnt lgkmcnt(0)
	s_delay_alu instid0(VALU_DEP_1) | instskip(NEXT) | instid1(VALU_DEP_1)
	v_mul_lo_u32 v3, v3, s15
	v_mad_u64_u32 v[11:12], null, v13, s14, v[3:4]
	v_mov_b32_e32 v12, v4
.LBB56_9:                               ;   in Loop: Header=BB56_3 Depth=1
	s_or_b32 exec_lo, exec_lo, s3
	v_dual_mov_b32 v14, v6 :: v_dual_mov_b32 v13, v5
	s_mov_b32 s3, exec_lo
	v_cmpx_lt_i32_e32 3, v25
	s_cbranch_execz .LBB56_11
; %bb.10:                               ;   in Loop: Header=BB56_3 Depth=1
	v_add_nc_u32_e32 v3, 3, v0
	s_delay_alu instid0(VALU_DEP_1) | instskip(NEXT) | instid1(VALU_DEP_1)
	v_mul_hi_u32 v5, v3, v30
	v_mul_lo_u32 v6, v5, s17
	v_add_nc_u32_e32 v13, 1, v5
	s_delay_alu instid0(VALU_DEP_2) | instskip(NEXT) | instid1(VALU_DEP_1)
	v_sub_nc_u32_e32 v6, v3, v6
	v_subrev_nc_u32_e32 v14, s17, v6
	v_cmp_le_u32_e32 vcc_lo, s17, v6
	s_delay_alu instid0(VALU_DEP_2) | instskip(NEXT) | instid1(VALU_DEP_1)
	v_dual_cndmask_b32 v5, v5, v13 :: v_dual_cndmask_b32 v6, v6, v14
	v_add_nc_u32_e32 v13, 1, v5
	s_delay_alu instid0(VALU_DEP_2) | instskip(NEXT) | instid1(VALU_DEP_2)
	v_cmp_le_u32_e32 vcc_lo, s17, v6
	v_cndmask_b32_e32 v6, v5, v13, vcc_lo
	s_delay_alu instid0(VALU_DEP_1) | instskip(NEXT) | instid1(VALU_DEP_1)
	v_mul_lo_u32 v5, v6, s17
	v_sub_nc_u32_e32 v3, v3, v5
	s_waitcnt lgkmcnt(0)
	s_delay_alu instid0(VALU_DEP_1) | instskip(SKIP_1) | instid1(VALU_DEP_2)
	v_mul_lo_u32 v5, v3, s15
	v_add_nc_u32_e32 v3, s25, v28
	v_mad_u64_u32 v[13:14], null, v6, s14, v[5:6]
	v_mov_b32_e32 v6, v4
	s_delay_alu instid0(VALU_DEP_3)
	v_dual_mov_b32 v14, v4 :: v_dual_mov_b32 v5, v3
.LBB56_11:                              ;   in Loop: Header=BB56_3 Depth=1
	s_or_b32 exec_lo, exec_lo, s3
	v_lshlrev_b64 v[9:10], 2, v[9:10]
	v_lshlrev_b64 v[7:8], 2, v[7:8]
	;; [unrolled: 1-line block ×4, first 2 shown]
	s_delay_alu instid0(VALU_DEP_4)
	v_add_co_u32 v9, vcc_lo, s10, v9
	v_add_co_ci_u32_e32 v10, vcc_lo, s11, v10, vcc_lo
	v_add_co_u32 v7, vcc_lo, s10, v7
	v_add_co_ci_u32_e32 v8, vcc_lo, s11, v8, vcc_lo
	v_add_co_u32 v11, vcc_lo, s10, v11
	v_add_co_ci_u32_e32 v12, vcc_lo, s11, v12, vcc_lo
	v_add_co_u32 v13, vcc_lo, s10, v13
	v_add_co_ci_u32_e32 v14, vcc_lo, s11, v14, vcc_lo
	s_clause 0x3
	global_load_b32 v31, v[9:10], off
	global_load_b32 v32, v[7:8], off
	;; [unrolled: 1-line block ×4, first 2 shown]
	s_waitcnt lgkmcnt(0)
	v_dual_mov_b32 v12, s7 :: v_dual_mov_b32 v11, s6
	v_dual_mov_b32 v14, s5 :: v_dual_mov_b32 v13, s4
	s_and_not1_b32 vcc_lo, exec_lo, s18
	s_cbranch_vccnz .LBB56_13
; %bb.12:                               ;   in Loop: Header=BB56_3 Depth=1
	v_dual_mov_b32 v8, s7 :: v_dual_mov_b32 v7, s6
	v_dual_mov_b32 v10, s5 :: v_dual_mov_b32 v9, s4
	flat_load_b64 v[7:8], v[7:8]
	flat_load_b64 v[13:14], v[9:10]
	s_waitcnt vmcnt(1) lgkmcnt(1)
	v_add_co_u32 v11, vcc_lo, v7, s12
	v_add_co_ci_u32_e32 v12, vcc_lo, s13, v8, vcc_lo
.LBB56_13:                              ;   in Loop: Header=BB56_3 Depth=1
	s_delay_alu instid0(VALU_DEP_1)
	v_alignbit_b32 v10, v12, v11, 2
	v_lshrrev_b32_e32 v9, 2, v12
	s_waitcnt vmcnt(0) lgkmcnt(0)
	v_add_nc_u32_e32 v35, 0xbb67ae85, v14
	v_add_nc_u32_e32 v36, 0x76cf5d0a, v14
	;; [unrolled: 1-line block ×3, first 2 shown]
	v_add_co_u32 v12, vcc_lo, v10, 1
	s_delay_alu instid0(VALU_DEP_1) | instskip(SKIP_4) | instid1(VALU_DEP_4)
	v_cndmask_b32_e64 v7, 0, 1, vcc_lo
	v_add_co_ci_u32_e32 v21, vcc_lo, 0, v9, vcc_lo
	v_xor3_b32 v17, v26, v13, v9
	v_add_nc_u32_e32 v38, 0x32370b8f, v14
	v_add_nc_u32_e32 v39, 0xed9eba14, v14
	v_cmp_eq_u32_e32 vcc_lo, 0, v21
	v_add_nc_u32_e32 v40, 0x1715609d, v13
	v_add_nc_u32_e32 v41, 0xa9066899, v14
	s_mov_b32 s3, exec_lo
	v_dual_cndmask_b32 v15, 0, v7 :: v_dual_add_nc_u32 v34, 0x9e3779b9, v13
	v_mad_u64_u32 v[7:8], null, 0xd2511f53, v12, 0
	s_delay_alu instid0(VALU_DEP_2) | instskip(NEXT) | instid1(VALU_DEP_2)
	v_add_nc_u32_e32 v12, v15, v1
	v_xor_b32_e32 v16, v8, v14
	s_delay_alu instid0(VALU_DEP_2) | instskip(SKIP_2) | instid1(VALU_DEP_1)
	v_cmp_eq_u32_e32 vcc_lo, 0, v12
	v_mad_u64_u32 v[8:9], null, 0xd2511f53, v10, 0
	v_cndmask_b32_e32 v15, 0, v15, vcc_lo
	v_xor_b32_e32 v10, v15, v16
	v_mad_u64_u32 v[15:16], null, 0xd2511f53, v17, 0
	v_mad_u64_u32 v[17:18], null, 0xcd9e8d57, v12, 0
	s_delay_alu instid0(VALU_DEP_3) | instskip(SKIP_3) | instid1(VALU_DEP_3)
	v_mad_u64_u32 v[19:20], null, 0xcd9e8d57, v10, 0
	v_xor_b32_e32 v10, v9, v14
	v_add_nc_u32_e32 v12, 0x3c6ef372, v13
	v_xor3_b32 v22, v35, v16, v8
	v_mad_u64_u32 v[8:9], null, 0xcd9e8d57, v10, 0
	v_xor3_b32 v10, v18, v13, v21
	v_xor3_b32 v18, v34, v20, v17
	s_delay_alu instid0(VALU_DEP_4) | instskip(NEXT) | instid1(VALU_DEP_3)
	v_mad_u64_u32 v[16:17], null, 0xcd9e8d57, v22, 0
	v_mad_u64_u32 v[20:21], null, 0xd2511f53, v10, 0
	s_delay_alu instid0(VALU_DEP_3) | instskip(SKIP_1) | instid1(VALU_DEP_4)
	v_mad_u64_u32 v[22:23], null, 0xd2511f53, v18, 0
	v_xor3_b32 v10, v2, v9, v34
	v_xor3_b32 v34, v12, v17, v8
	s_delay_alu instid0(VALU_DEP_4) | instskip(NEXT) | instid1(VALU_DEP_3)
	v_xor3_b32 v7, v35, v21, v7
	v_mad_u64_u32 v[8:9], null, 0xd2511f53, v10, 0
	v_xor3_b32 v10, v36, v23, v20
	s_delay_alu instid0(VALU_DEP_4) | instskip(NEXT) | instid1(VALU_DEP_4)
	v_mad_u64_u32 v[17:18], null, 0xd2511f53, v34, 0
	v_mad_u64_u32 v[20:21], null, 0xcd9e8d57, v7, 0
	s_delay_alu instid0(VALU_DEP_3) | instskip(SKIP_4) | instid1(VALU_DEP_4)
	v_mad_u64_u32 v[34:35], null, 0xcd9e8d57, v10, 0
	v_xor3_b32 v9, v36, v9, v15
	v_add_nc_u32_e32 v23, 0x78dde6e4, v13
	v_xor3_b32 v15, v38, v18, v8
	v_xor3_b32 v12, v12, v21, v19
	v_mad_u64_u32 v[7:8], null, 0xcd9e8d57, v9, 0
	v_xor3_b32 v35, v37, v35, v20
	s_delay_alu instid0(VALU_DEP_4) | instskip(NEXT) | instid1(VALU_DEP_4)
	v_mad_u64_u32 v[9:10], null, 0xcd9e8d57, v15, 0
	v_mad_u64_u32 v[18:19], null, 0xd2511f53, v12, 0
	s_delay_alu instid0(VALU_DEP_3) | instskip(SKIP_1) | instid1(VALU_DEP_4)
	v_mad_u64_u32 v[20:21], null, 0xd2511f53, v35, 0
	v_xor3_b32 v12, v37, v8, v16
	v_xor3_b32 v10, v23, v10, v7
	s_delay_alu instid0(VALU_DEP_2) | instskip(SKIP_2) | instid1(VALU_DEP_4)
	v_mad_u64_u32 v[7:8], null, 0xd2511f53, v12, 0
	v_xor3_b32 v12, v38, v19, v22
	v_xor3_b32 v18, v39, v21, v18
	v_mad_u64_u32 v[21:22], null, 0xd2511f53, v10, 0
	s_delay_alu instid0(VALU_DEP_3) | instskip(NEXT) | instid1(VALU_DEP_3)
	v_mad_u64_u32 v[15:16], null, 0xcd9e8d57, v12, 0
	v_mad_u64_u32 v[35:36], null, 0xcd9e8d57, v18, 0
	v_xor3_b32 v10, v39, v8, v17
	s_delay_alu instid0(VALU_DEP_4) | instskip(SKIP_2) | instid1(VALU_DEP_4)
	v_xor3_b32 v18, v41, v22, v7
	v_add_nc_u32_e32 v12, 0xb54cda56, v13
	v_add_nc_u32_e32 v17, 0x646e171e, v14
	v_mad_u64_u32 v[7:8], null, 0xcd9e8d57, v10, 0
	v_xor3_b32 v10, v23, v16, v34
	v_xor3_b32 v19, v40, v36, v15
	v_mad_u64_u32 v[36:37], null, 0xcd9e8d57, v18, 0
	v_add_nc_u32_e32 v23, 0x5384540f, v13
	s_delay_alu instid0(VALU_DEP_4) | instskip(NEXT) | instid1(VALU_DEP_4)
	v_mad_u64_u32 v[15:16], null, 0xd2511f53, v10, 0
	v_mad_u64_u32 v[38:39], null, 0xd2511f53, v19, 0
	v_xor3_b32 v9, v40, v8, v9
	v_xor3_b32 v10, v12, v37, v7
	v_add_nc_u32_e32 v40, 0x1fd5c5a3, v14
	v_add_co_u32 v34, null, 0xf1bbcdc8, v13
	v_xor3_b32 v18, v41, v16, v20
	v_xor3_b32 v20, v17, v39, v15
	v_mad_u64_u32 v[7:8], null, 0xd2511f53, v9, 0
	v_mad_u64_u32 v[15:16], null, 0xd2511f53, v10, 0
	s_delay_alu instid0(VALU_DEP_4) | instskip(NEXT) | instid1(VALU_DEP_4)
	v_mad_u64_u32 v[9:10], null, 0xcd9e8d57, v18, 0
	v_mad_u64_u32 v[18:19], null, 0xcd9e8d57, v20, 0
	s_delay_alu instid0(VALU_DEP_4) | instskip(NEXT) | instid1(VALU_DEP_4)
	v_xor3_b32 v17, v17, v8, v21
	v_xor3_b32 v20, v40, v16, v7
	s_delay_alu instid0(VALU_DEP_4) | instskip(NEXT) | instid1(VALU_DEP_3)
	v_xor3_b32 v12, v12, v10, v35
	v_mad_u64_u32 v[7:8], null, 0xcd9e8d57, v17, 0
	v_xor3_b32 v19, v23, v19, v9
	s_delay_alu instid0(VALU_DEP_4) | instskip(NEXT) | instid1(VALU_DEP_4)
	v_mad_u64_u32 v[16:17], null, 0xcd9e8d57, v20, 0
	v_mad_u64_u32 v[9:10], null, 0xd2511f53, v12, 0
	s_delay_alu instid0(VALU_DEP_3)
	v_mad_u64_u32 v[21:22], null, 0xd2511f53, v19, 0
	v_add_nc_u32_e32 v35, 0xdb3d7428, v14
	v_xor3_b32 v8, v23, v8, v36
	v_xor3_b32 v12, v34, v17, v7
	v_add_nc_u32_e32 v36, 0x96a522ad, v14
	v_xor3_b32 v10, v40, v10, v38
	v_and_b32_e32 v14, 3, v11
	v_xor3_b32 v17, v35, v22, v9
	v_mad_u64_u32 v[19:20], null, 0xd2511f53, v8, 0
	v_mad_u64_u32 v[7:8], null, 0xd2511f53, v12, 0
	;; [unrolled: 1-line block ×3, first 2 shown]
	s_delay_alu instid0(VALU_DEP_4) | instskip(SKIP_1) | instid1(VALU_DEP_4)
	v_mad_u64_u32 v[9:10], null, 0xcd9e8d57, v17, 0
	v_add_nc_u32_e32 v17, 0x8ff34781, v13
                                        ; implicit-def: $vgpr12
	v_xor3_b32 v13, v8, v19, v36
	s_delay_alu instid0(VALU_DEP_2)
	v_xor3_b32 v8, v10, v22, v17
	v_cmpx_lt_i32_e32 1, v14
	s_xor_b32 s3, exec_lo, s3
	s_cbranch_execz .LBB56_19
; %bb.14:                               ;   in Loop: Header=BB56_3 Depth=1
	s_mov_b32 s33, exec_lo
                                        ; implicit-def: $vgpr12
	v_cmpx_lt_i32_e32 2, v14
	s_xor_b32 s33, exec_lo, s33
; %bb.15:                               ;   in Loop: Header=BB56_3 Depth=1
	v_xor3_b32 v10, v34, v23, v18
                                        ; implicit-def: $vgpr13
	s_delay_alu instid0(VALU_DEP_1) | instskip(NEXT) | instid1(VALU_DEP_1)
	v_mul_hi_u32 v10, 0xd2511f53, v10
	v_xor3_b32 v12, v10, v21, v36
; %bb.16:                               ;   in Loop: Header=BB56_3 Depth=1
	s_and_not1_saveexec_b32 s33, s33
; %bb.17:                               ;   in Loop: Header=BB56_3 Depth=1
	v_dual_mov_b32 v12, v9 :: v_dual_mov_b32 v9, v8
	v_dual_mov_b32 v8, v7 :: v_dual_mov_b32 v7, v13
; %bb.18:                               ;   in Loop: Header=BB56_3 Depth=1
	s_or_b32 exec_lo, exec_lo, s33
                                        ; implicit-def: $vgpr15_vgpr16
                                        ; implicit-def: $vgpr14
                                        ; implicit-def: $vgpr13
                                        ; implicit-def: $vgpr35
                                        ; implicit-def: $vgpr19_vgpr20
                                        ; implicit-def: $vgpr16_vgpr17
                                        ; implicit-def: $vgpr17
.LBB56_19:                              ;   in Loop: Header=BB56_3 Depth=1
	s_and_not1_saveexec_b32 s3, s3
	s_cbranch_execz .LBB56_23
; %bb.20:                               ;   in Loop: Header=BB56_3 Depth=1
	v_xor3_b32 v9, v35, v20, v15
	v_cmp_eq_u32_e32 vcc_lo, 1, v14
	v_mov_b32_e32 v12, v7
	s_delay_alu instid0(VALU_DEP_3) | instskip(SKIP_1) | instid1(VALU_DEP_2)
	v_mad_u64_u32 v[10:11], null, 0xcd9e8d57, v9, 0
	v_mov_b32_e32 v9, v13
	v_xor3_b32 v14, v11, v16, v17
	s_delay_alu instid0(VALU_DEP_3)
	v_mov_b32_e32 v11, v10
	s_and_saveexec_b32 s33, vcc_lo
; %bb.21:                               ;   in Loop: Header=BB56_3 Depth=1
	v_dual_mov_b32 v12, v8 :: v_dual_mov_b32 v9, v7
	v_dual_mov_b32 v11, v13 :: v_dual_mov_b32 v14, v10
; %bb.22:                               ;   in Loop: Header=BB56_3 Depth=1
	s_or_b32 exec_lo, exec_lo, s33
	s_delay_alu instid0(VALU_DEP_1)
	v_dual_mov_b32 v7, v14 :: v_dual_mov_b32 v8, v11
.LBB56_23:                              ;   in Loop: Header=BB56_3 Depth=1
	s_or_b32 exec_lo, exec_lo, s3
	v_min_i32_e32 v10, 4, v25
	s_mov_b32 s33, 0
	s_mov_b32 s38, 0
	s_mov_b32 s36, exec_lo
                                        ; implicit-def: $sgpr3
                                        ; implicit-def: $sgpr34
                                        ; implicit-def: $sgpr35
	s_delay_alu instid0(VALU_DEP_1)
	v_cmpx_lt_i32_e32 2, v10
	s_xor_b32 s36, exec_lo, s36
	s_cbranch_execz .LBB56_33
; %bb.24:                               ;   in Loop: Header=BB56_3 Depth=1
	s_mov_b32 s3, -1
	s_mov_b32 s35, exec_lo
                                        ; implicit-def: $sgpr34
                                        ; implicit-def: $sgpr37
	v_cmpx_lt_i32_e32 3, v10
	s_cbranch_execz .LBB56_28
; %bb.25:                               ;   in Loop: Header=BB56_3 Depth=1
	v_cmp_le_f32_e32 vcc_lo, 0, v3
	v_cmp_ge_f32_e64 s3, 1.0, v3
	s_mov_b32 s34, 0
	s_delay_alu instid0(VALU_DEP_1)
	s_and_b32 s38, vcc_lo, s3
	s_mov_b32 s3, 0
	s_and_saveexec_b32 s37, s38
	s_cbranch_execz .LBB56_27
; %bb.26:                               ;   in Loop: Header=BB56_3 Depth=1
	v_cvt_f32_u32_e32 v11, v12
	v_lshlrev_b64 v[5:6], 1, v[5:6]
	s_mov_b32 s3, exec_lo
	s_delay_alu instid0(VALU_DEP_2) | instskip(NEXT) | instid1(VALU_DEP_2)
	v_fmaak_f32 v11, 0x2f800000, v11, 0x2f800000
	v_add_co_u32 v5, vcc_lo, s8, v5
	s_delay_alu instid0(VALU_DEP_3) | instskip(NEXT) | instid1(VALU_DEP_3)
	v_add_co_ci_u32_e32 v6, vcc_lo, s9, v6, vcc_lo
	v_cmp_le_f32_e32 vcc_lo, v11, v3
	v_cndmask_b32_e64 v3, 0, 1, vcc_lo
	global_store_b16 v[5:6], v3, off
.LBB56_27:                              ;   in Loop: Header=BB56_3 Depth=1
	s_or_b32 exec_lo, exec_lo, s37
	s_mov_b32 s37, -1
	s_or_not1_b32 s3, s3, exec_lo
.LBB56_28:                              ;   in Loop: Header=BB56_3 Depth=1
	s_or_b32 exec_lo, exec_lo, s35
	s_mov_b32 s38, 0
	s_mov_b32 s39, s34
	s_and_saveexec_b32 s35, s3
	s_cbranch_execz .LBB56_32
; %bb.29:                               ;   in Loop: Header=BB56_3 Depth=1
	v_cmp_le_f32_e32 vcc_lo, 0, v33
	v_cmp_ge_f32_e64 s3, 1.0, v33
	s_delay_alu instid0(VALU_DEP_1) | instskip(SKIP_2) | instid1(SALU_CYCLE_1)
	s_and_b32 s38, vcc_lo, s3
	s_mov_b32 s3, 0
	s_and_saveexec_b32 s39, s38
	s_xor_b32 s38, exec_lo, s39
	s_cbranch_execz .LBB56_31
; %bb.30:                               ;   in Loop: Header=BB56_3 Depth=1
	v_add_nc_u32_e32 v3, s25, v27
	v_cvt_f32_u32_e32 v9, v9
	s_mov_b32 s3, exec_lo
	s_delay_alu instid0(VALU_DEP_2) | instskip(NEXT) | instid1(VALU_DEP_1)
	v_cndmask_b32_e64 v3, 0, v3, s2
	v_lshlrev_b64 v[5:6], 1, v[3:4]
	s_delay_alu instid0(VALU_DEP_3) | instskip(NEXT) | instid1(VALU_DEP_2)
	v_fmaak_f32 v3, 0x2f800000, v9, 0x2f800000
	v_add_co_u32 v5, vcc_lo, s8, v5
	s_delay_alu instid0(VALU_DEP_3) | instskip(NEXT) | instid1(VALU_DEP_3)
	v_add_co_ci_u32_e32 v6, vcc_lo, s9, v6, vcc_lo
	v_cmp_le_f32_e32 vcc_lo, v3, v33
	v_cndmask_b32_e64 v3, 0, 1, vcc_lo
	global_store_b16 v[5:6], v3, off
.LBB56_31:                              ;   in Loop: Header=BB56_3 Depth=1
	s_or_b32 exec_lo, exec_lo, s38
	s_delay_alu instid0(SALU_CYCLE_1)
	s_and_not1_b32 s39, s34, exec_lo
	s_or_b32 s34, s34, exec_lo
	s_and_not1_b32 s37, s37, exec_lo
	s_and_b32 s38, s3, exec_lo
.LBB56_32:                              ;   in Loop: Header=BB56_3 Depth=1
	s_or_b32 exec_lo, exec_lo, s35
	s_delay_alu instid0(SALU_CYCLE_1)
	s_and_b32 s35, s39, exec_lo
	s_and_b32 s34, s34, exec_lo
	;; [unrolled: 1-line block ×4, first 2 shown]
.LBB56_33:                              ;   in Loop: Header=BB56_3 Depth=1
	s_and_not1_saveexec_b32 s2, s36
; %bb.34:                               ;   in Loop: Header=BB56_3 Depth=1
	v_cmp_lt_i32_e32 vcc_lo, 1, v10
	s_and_not1_b32 s36, s38, exec_lo
	s_mov_b32 s33, exec_lo
	s_and_not1_b32 s35, s35, exec_lo
	s_and_not1_b32 s34, s34, exec_lo
	s_and_b32 s37, vcc_lo, exec_lo
	s_and_not1_b32 s3, s3, exec_lo
	s_or_b32 s38, s36, s37
; %bb.35:                               ;   in Loop: Header=BB56_3 Depth=1
	s_or_b32 exec_lo, exec_lo, s2
	s_mov_b32 s36, 0
	s_mov_b32 s37, 0
	;; [unrolled: 1-line block ×3, first 2 shown]
	s_and_saveexec_b32 s39, s38
	s_cbranch_execnz .LBB56_38
; %bb.36:                               ;   in Loop: Header=BB56_3 Depth=1
	s_or_b32 exec_lo, exec_lo, s39
	s_and_saveexec_b32 s1, s33
	s_cbranch_execnz .LBB56_41
.LBB56_37:                              ;   in Loop: Header=BB56_3 Depth=1
	s_or_b32 exec_lo, exec_lo, s1
	s_and_saveexec_b32 s33, s37
	s_cbranch_execnz .LBB56_42
	s_branch .LBB56_45
.LBB56_38:                              ;   in Loop: Header=BB56_3 Depth=1
	v_cmp_le_f32_e32 vcc_lo, 0, v32
	v_cmp_ge_f32_e64 s2, 1.0, v32
	s_delay_alu instid0(VALU_DEP_1) | instskip(NEXT) | instid1(SALU_CYCLE_1)
	s_and_b32 s2, vcc_lo, s2
	s_and_saveexec_b32 s38, s2
	s_delay_alu instid0(SALU_CYCLE_1)
	s_xor_b32 s2, exec_lo, s38
	s_cbranch_execz .LBB56_40
; %bb.39:                               ;   in Loop: Header=BB56_3 Depth=1
	v_add_nc_u32_e32 v3, s25, v29
	v_cvt_f32_u32_e32 v8, v8
	s_mov_b32 s37, exec_lo
	s_delay_alu instid0(VALU_DEP_2) | instskip(NEXT) | instid1(VALU_DEP_1)
	v_cndmask_b32_e64 v3, 0, v3, s1
	v_lshlrev_b64 v[5:6], 1, v[3:4]
	s_delay_alu instid0(VALU_DEP_3) | instskip(NEXT) | instid1(VALU_DEP_2)
	v_fmaak_f32 v3, 0x2f800000, v8, 0x2f800000
	v_add_co_u32 v5, vcc_lo, s8, v5
	s_delay_alu instid0(VALU_DEP_3) | instskip(NEXT) | instid1(VALU_DEP_3)
	v_add_co_ci_u32_e32 v6, vcc_lo, s9, v6, vcc_lo
	v_cmp_le_f32_e32 vcc_lo, v3, v32
	v_cndmask_b32_e64 v3, 0, 1, vcc_lo
	global_store_b16 v[5:6], v3, off
.LBB56_40:                              ;   in Loop: Header=BB56_3 Depth=1
	s_or_b32 exec_lo, exec_lo, s2
	s_delay_alu instid0(SALU_CYCLE_1)
	s_and_not1_b32 s2, s35, exec_lo
	s_or_b32 s35, s35, exec_lo
	s_and_not1_b32 s34, s34, exec_lo
	s_and_not1_b32 s3, s3, exec_lo
	s_and_b32 s37, s37, exec_lo
	s_and_not1_b32 s33, s33, exec_lo
	s_or_b32 exec_lo, exec_lo, s39
	s_and_saveexec_b32 s1, s33
	s_cbranch_execz .LBB56_37
.LBB56_41:                              ;   in Loop: Header=BB56_3 Depth=1
	v_cmp_eq_u32_e32 vcc_lo, 1, v10
	s_and_not1_b32 s33, s37, exec_lo
	s_mov_b32 s36, exec_lo
	s_and_not1_b32 s2, s2, exec_lo
	s_and_not1_b32 s35, s35, exec_lo
	s_and_b32 s37, vcc_lo, exec_lo
	s_and_not1_b32 s34, s34, exec_lo
	s_and_not1_b32 s3, s3, exec_lo
	s_or_b32 s37, s33, s37
	s_or_b32 exec_lo, exec_lo, s1
	s_and_saveexec_b32 s33, s37
	s_cbranch_execz .LBB56_45
.LBB56_42:                              ;   in Loop: Header=BB56_3 Depth=1
	v_cmp_le_f32_e32 vcc_lo, 0, v31
	v_cmp_ge_f32_e64 s1, 1.0, v31
	s_delay_alu instid0(VALU_DEP_1)
	s_and_b32 s38, vcc_lo, s1
	s_mov_b32 s1, 0
	s_and_saveexec_b32 s37, s38
	s_cbranch_execz .LBB56_44
; %bb.43:                               ;   in Loop: Header=BB56_3 Depth=1
	v_add_nc_u32_e32 v3, s25, v24
	v_cvt_f32_u32_e32 v7, v7
	s_mov_b32 s1, exec_lo
	s_delay_alu instid0(VALU_DEP_2) | instskip(NEXT) | instid1(VALU_DEP_1)
	v_cndmask_b32_e64 v3, 0, v3, s0
	v_lshlrev_b64 v[5:6], 1, v[3:4]
	s_delay_alu instid0(VALU_DEP_3) | instskip(NEXT) | instid1(VALU_DEP_2)
	v_fmaak_f32 v3, 0x2f800000, v7, 0x2f800000
	v_add_co_u32 v5, vcc_lo, s8, v5
	s_delay_alu instid0(VALU_DEP_3) | instskip(NEXT) | instid1(VALU_DEP_3)
	v_add_co_ci_u32_e32 v6, vcc_lo, s9, v6, vcc_lo
	v_cmp_le_f32_e32 vcc_lo, v3, v31
	v_cndmask_b32_e64 v3, 0, 1, vcc_lo
	global_store_b16 v[5:6], v3, off
.LBB56_44:                              ;   in Loop: Header=BB56_3 Depth=1
	s_or_b32 exec_lo, exec_lo, s37
	s_delay_alu instid0(SALU_CYCLE_1)
	s_and_not1_b32 s0, s36, exec_lo
	s_and_b32 s1, s1, exec_lo
	s_or_b32 s2, s2, exec_lo
	s_and_not1_b32 s35, s35, exec_lo
	s_and_not1_b32 s34, s34, exec_lo
	;; [unrolled: 1-line block ×3, first 2 shown]
	s_or_b32 s36, s0, s1
.LBB56_45:                              ;   in Loop: Header=BB56_3 Depth=1
	s_or_b32 exec_lo, exec_lo, s33
	s_delay_alu instid0(SALU_CYCLE_1)
	s_and_not1_b32 s1, s31, exec_lo
	s_and_b32 s2, s2, exec_lo
	s_and_not1_b32 s29, s29, exec_lo
	s_and_b32 s33, s35, exec_lo
	s_or_b32 s31, s1, s2
	s_and_not1_b32 s1, s30, exec_lo
	s_and_b32 s2, s34, exec_lo
	s_and_not1_b32 s28, s28, exec_lo
	s_and_b32 s3, s3, exec_lo
	s_mov_b32 s0, -1
	s_or_b32 s29, s29, s33
	s_or_b32 s30, s1, s2
	;; [unrolled: 1-line block ×3, first 2 shown]
	s_and_saveexec_b32 s1, s36
	s_cbranch_execz .LBB56_2
; %bb.46:                               ;   in Loop: Header=BB56_3 Depth=1
	v_add_nc_u32_e32 v0, s21, v0
	v_subrev_nc_u32_e32 v25, s21, v25
	s_add_i32 s25, s25, s23
	s_and_not1_b32 s31, s31, exec_lo
	s_and_not1_b32 s29, s29, exec_lo
	v_cmp_le_u32_e32 vcc_lo, s16, v0
	s_and_not1_b32 s30, s30, exec_lo
	s_and_not1_b32 s28, s28, exec_lo
	s_or_not1_b32 s0, vcc_lo, exec_lo
	s_branch .LBB56_2
.LBB56_47:
	s_or_b32 exec_lo, exec_lo, s22
	s_xor_b32 s3, s26, -1
	s_xor_b32 s4, s27, -1
	;; [unrolled: 1-line block ×3, first 2 shown]
	s_mov_b32 s1, 0
	s_and_saveexec_b32 s2, s0
	s_delay_alu instid0(SALU_CYCLE_1)
	s_xor_b32 s0, exec_lo, s2
	s_cbranch_execz .LBB56_56
; %bb.48:
	s_mov_b32 s2, 0
	s_and_saveexec_b32 s1, s4
	s_delay_alu instid0(SALU_CYCLE_1)
	s_xor_b32 s1, exec_lo, s1
	s_cbranch_execz .LBB56_54
; %bb.49:
	s_and_saveexec_b32 s4, s3
	s_delay_alu instid0(SALU_CYCLE_1)
	s_xor_b32 s3, exec_lo, s4
	s_cbranch_execz .LBB56_52
; %bb.50:
	s_and_saveexec_b32 s4, s20
	s_delay_alu instid0(SALU_CYCLE_1)
	s_xor_b32 s4, exec_lo, s4
	s_cbranch_execnz .LBB56_70
.LBB56_51:
	s_or_b32 exec_lo, exec_lo, s4
	s_delay_alu instid0(SALU_CYCLE_1)
	s_and_b32 s2, s2, exec_lo
.LBB56_52:
	s_and_not1_saveexec_b32 s3, s3
	s_cbranch_execnz .LBB56_66
.LBB56_53:
	s_or_b32 exec_lo, exec_lo, s3
	s_delay_alu instid0(SALU_CYCLE_1)
	s_and_b32 s2, s2, exec_lo
.LBB56_54:
	s_and_not1_saveexec_b32 s1, s1
	s_cbranch_execnz .LBB56_62
.LBB56_55:
	s_or_b32 exec_lo, exec_lo, s1
	s_delay_alu instid0(SALU_CYCLE_1)
	s_and_b32 s1, s2, exec_lo
.LBB56_56:
	s_and_not1_saveexec_b32 s0, s0
	s_cbranch_execnz .LBB56_60
; %bb.57:
	s_or_b32 exec_lo, exec_lo, s0
	s_delay_alu instid0(SALU_CYCLE_1)
	s_and_b32 exec_lo, exec_lo, s1
.LBB56_58:
	; divergent unreachable
.LBB56_59:
	s_nop 0
	s_sendmsg sendmsg(MSG_DEALLOC_VGPRS)
	s_endpgm
.LBB56_60:
	s_cbranch_execnz .LBB56_64
; %bb.61:
	s_or_b32 s1, s1, exec_lo
	s_or_b32 exec_lo, exec_lo, s0
	s_delay_alu instid0(SALU_CYCLE_1)
	s_and_b32 exec_lo, exec_lo, s1
	s_cbranch_execnz .LBB56_58
	s_branch .LBB56_59
.LBB56_62:
	s_cbranch_execnz .LBB56_68
; %bb.63:
	s_or_b32 s2, s2, exec_lo
	s_branch .LBB56_55
.LBB56_64:
	s_trap 2
	s_sendmsg_rtn_b32 s0, sendmsg(MSG_RTN_GET_DOORBELL)
	s_mov_b32 ttmp2, m0
	s_waitcnt lgkmcnt(0)
	s_and_b32 s0, s0, 0x3ff
	s_delay_alu instid0(SALU_CYCLE_1) | instskip(NEXT) | instid1(SALU_CYCLE_1)
	s_bitset1_b32 s0, 10
	s_mov_b32 m0, s0
	s_sendmsg sendmsg(MSG_INTERRUPT)
	s_mov_b32 m0, ttmp2
.LBB56_65:                              ; =>This Inner Loop Header: Depth=1
	s_sethalt 5
	s_branch .LBB56_65
.LBB56_66:
	s_cbranch_execnz .LBB56_72
; %bb.67:
	s_or_b32 s2, s2, exec_lo
	s_branch .LBB56_53
.LBB56_68:
	s_trap 2
	s_sendmsg_rtn_b32 s0, sendmsg(MSG_RTN_GET_DOORBELL)
	s_mov_b32 ttmp2, m0
	s_waitcnt lgkmcnt(0)
	s_and_b32 s0, s0, 0x3ff
	s_delay_alu instid0(SALU_CYCLE_1) | instskip(NEXT) | instid1(SALU_CYCLE_1)
	s_bitset1_b32 s0, 10
	s_mov_b32 m0, s0
	s_sendmsg sendmsg(MSG_INTERRUPT)
	s_mov_b32 m0, ttmp2
.LBB56_69:                              ; =>This Inner Loop Header: Depth=1
	s_sethalt 5
	s_branch .LBB56_69
.LBB56_70:
	s_cbranch_execnz .LBB56_74
; %bb.71:
	s_mov_b32 s2, exec_lo
	s_branch .LBB56_51
.LBB56_72:
	s_trap 2
	s_sendmsg_rtn_b32 s0, sendmsg(MSG_RTN_GET_DOORBELL)
	s_mov_b32 ttmp2, m0
	s_waitcnt lgkmcnt(0)
	s_and_b32 s0, s0, 0x3ff
	s_delay_alu instid0(SALU_CYCLE_1) | instskip(NEXT) | instid1(SALU_CYCLE_1)
	s_bitset1_b32 s0, 10
	s_mov_b32 m0, s0
	s_sendmsg sendmsg(MSG_INTERRUPT)
	s_mov_b32 m0, ttmp2
.LBB56_73:                              ; =>This Inner Loop Header: Depth=1
	s_sethalt 5
	s_branch .LBB56_73
.LBB56_74:
	s_trap 2
	s_sendmsg_rtn_b32 s0, sendmsg(MSG_RTN_GET_DOORBELL)
	s_mov_b32 ttmp2, m0
	s_waitcnt lgkmcnt(0)
	s_and_b32 s0, s0, 0x3ff
	s_delay_alu instid0(SALU_CYCLE_1) | instskip(NEXT) | instid1(SALU_CYCLE_1)
	s_bitset1_b32 s0, 10
	s_mov_b32 m0, s0
	s_sendmsg sendmsg(MSG_INTERRUPT)
	s_mov_b32 m0, ttmp2
.LBB56_75:                              ; =>This Inner Loop Header: Depth=1
	s_sethalt 5
	s_branch .LBB56_75
	.section	.rodata,"a",@progbits
	.p2align	6, 0x0
	.amdhsa_kernel _ZN2at4cuda12_GLOBAL__N_121kernelPointwiseApply2IZNS_6native9templates4cuda28bernoulli_tensor_cuda_kernelIsfEEvRKNS_10TensorBaseES9_NS_15PhiloxCudaStateEEUliRsSB_SB_SB_RKfSD_SD_SD_E_sSC_jLi1ELi2ELi4ELi512ELi2EEEvNS0_6detail10TensorInfoIT0_T2_EENSG_IT1_SI_EESI_T_
		.amdhsa_group_segment_fixed_size 0
		.amdhsa_private_segment_fixed_size 0
		.amdhsa_kernarg_size 728
		.amdhsa_user_sgpr_count 15
		.amdhsa_user_sgpr_dispatch_ptr 0
		.amdhsa_user_sgpr_queue_ptr 0
		.amdhsa_user_sgpr_kernarg_segment_ptr 1
		.amdhsa_user_sgpr_dispatch_id 0
		.amdhsa_user_sgpr_private_segment_size 0
		.amdhsa_wavefront_size32 1
		.amdhsa_uses_dynamic_stack 0
		.amdhsa_enable_private_segment 0
		.amdhsa_system_sgpr_workgroup_id_x 1
		.amdhsa_system_sgpr_workgroup_id_y 0
		.amdhsa_system_sgpr_workgroup_id_z 0
		.amdhsa_system_sgpr_workgroup_info 0
		.amdhsa_system_vgpr_workitem_id 0
		.amdhsa_next_free_vgpr 42
		.amdhsa_next_free_sgpr 40
		.amdhsa_reserve_vcc 1
		.amdhsa_float_round_mode_32 0
		.amdhsa_float_round_mode_16_64 0
		.amdhsa_float_denorm_mode_32 3
		.amdhsa_float_denorm_mode_16_64 3
		.amdhsa_dx10_clamp 1
		.amdhsa_ieee_mode 1
		.amdhsa_fp16_overflow 0
		.amdhsa_workgroup_processor_mode 1
		.amdhsa_memory_ordered 1
		.amdhsa_forward_progress 0
		.amdhsa_shared_vgpr_count 0
		.amdhsa_exception_fp_ieee_invalid_op 0
		.amdhsa_exception_fp_denorm_src 0
		.amdhsa_exception_fp_ieee_div_zero 0
		.amdhsa_exception_fp_ieee_overflow 0
		.amdhsa_exception_fp_ieee_underflow 0
		.amdhsa_exception_fp_ieee_inexact 0
		.amdhsa_exception_int_div_zero 0
	.end_amdhsa_kernel
	.section	.text._ZN2at4cuda12_GLOBAL__N_121kernelPointwiseApply2IZNS_6native9templates4cuda28bernoulli_tensor_cuda_kernelIsfEEvRKNS_10TensorBaseES9_NS_15PhiloxCudaStateEEUliRsSB_SB_SB_RKfSD_SD_SD_E_sSC_jLi1ELi2ELi4ELi512ELi2EEEvNS0_6detail10TensorInfoIT0_T2_EENSG_IT1_SI_EESI_T_,"axG",@progbits,_ZN2at4cuda12_GLOBAL__N_121kernelPointwiseApply2IZNS_6native9templates4cuda28bernoulli_tensor_cuda_kernelIsfEEvRKNS_10TensorBaseES9_NS_15PhiloxCudaStateEEUliRsSB_SB_SB_RKfSD_SD_SD_E_sSC_jLi1ELi2ELi4ELi512ELi2EEEvNS0_6detail10TensorInfoIT0_T2_EENSG_IT1_SI_EESI_T_,comdat
.Lfunc_end56:
	.size	_ZN2at4cuda12_GLOBAL__N_121kernelPointwiseApply2IZNS_6native9templates4cuda28bernoulli_tensor_cuda_kernelIsfEEvRKNS_10TensorBaseES9_NS_15PhiloxCudaStateEEUliRsSB_SB_SB_RKfSD_SD_SD_E_sSC_jLi1ELi2ELi4ELi512ELi2EEEvNS0_6detail10TensorInfoIT0_T2_EENSG_IT1_SI_EESI_T_, .Lfunc_end56-_ZN2at4cuda12_GLOBAL__N_121kernelPointwiseApply2IZNS_6native9templates4cuda28bernoulli_tensor_cuda_kernelIsfEEvRKNS_10TensorBaseES9_NS_15PhiloxCudaStateEEUliRsSB_SB_SB_RKfSD_SD_SD_E_sSC_jLi1ELi2ELi4ELi512ELi2EEEvNS0_6detail10TensorInfoIT0_T2_EENSG_IT1_SI_EESI_T_
                                        ; -- End function
	.section	.AMDGPU.csdata,"",@progbits
; Kernel info:
; codeLenInByte = 3744
; NumSgprs: 42
; NumVgprs: 42
; ScratchSize: 0
; MemoryBound: 0
; FloatMode: 240
; IeeeMode: 1
; LDSByteSize: 0 bytes/workgroup (compile time only)
; SGPRBlocks: 5
; VGPRBlocks: 5
; NumSGPRsForWavesPerEU: 42
; NumVGPRsForWavesPerEU: 42
; Occupancy: 16
; WaveLimiterHint : 1
; COMPUTE_PGM_RSRC2:SCRATCH_EN: 0
; COMPUTE_PGM_RSRC2:USER_SGPR: 15
; COMPUTE_PGM_RSRC2:TRAP_HANDLER: 0
; COMPUTE_PGM_RSRC2:TGID_X_EN: 1
; COMPUTE_PGM_RSRC2:TGID_Y_EN: 0
; COMPUTE_PGM_RSRC2:TGID_Z_EN: 0
; COMPUTE_PGM_RSRC2:TIDIG_COMP_CNT: 0
	.section	.text._ZN2at4cuda12_GLOBAL__N_121kernelPointwiseApply2IZNS_6native9templates4cuda28bernoulli_tensor_cuda_kernelIsfEEvRKNS_10TensorBaseES9_NS_15PhiloxCudaStateEEUliRsSB_SB_SB_RKfSD_SD_SD_E_sSC_jLi1ELin1ELi4ELi512ELi2EEEvNS0_6detail10TensorInfoIT0_T2_EENSG_IT1_SI_EESI_T_,"axG",@progbits,_ZN2at4cuda12_GLOBAL__N_121kernelPointwiseApply2IZNS_6native9templates4cuda28bernoulli_tensor_cuda_kernelIsfEEvRKNS_10TensorBaseES9_NS_15PhiloxCudaStateEEUliRsSB_SB_SB_RKfSD_SD_SD_E_sSC_jLi1ELin1ELi4ELi512ELi2EEEvNS0_6detail10TensorInfoIT0_T2_EENSG_IT1_SI_EESI_T_,comdat
	.globl	_ZN2at4cuda12_GLOBAL__N_121kernelPointwiseApply2IZNS_6native9templates4cuda28bernoulli_tensor_cuda_kernelIsfEEvRKNS_10TensorBaseES9_NS_15PhiloxCudaStateEEUliRsSB_SB_SB_RKfSD_SD_SD_E_sSC_jLi1ELin1ELi4ELi512ELi2EEEvNS0_6detail10TensorInfoIT0_T2_EENSG_IT1_SI_EESI_T_ ; -- Begin function _ZN2at4cuda12_GLOBAL__N_121kernelPointwiseApply2IZNS_6native9templates4cuda28bernoulli_tensor_cuda_kernelIsfEEvRKNS_10TensorBaseES9_NS_15PhiloxCudaStateEEUliRsSB_SB_SB_RKfSD_SD_SD_E_sSC_jLi1ELin1ELi4ELi512ELi2EEEvNS0_6detail10TensorInfoIT0_T2_EENSG_IT1_SI_EESI_T_
	.p2align	8
	.type	_ZN2at4cuda12_GLOBAL__N_121kernelPointwiseApply2IZNS_6native9templates4cuda28bernoulli_tensor_cuda_kernelIsfEEvRKNS_10TensorBaseES9_NS_15PhiloxCudaStateEEUliRsSB_SB_SB_RKfSD_SD_SD_E_sSC_jLi1ELin1ELi4ELi512ELi2EEEvNS0_6detail10TensorInfoIT0_T2_EENSG_IT1_SI_EESI_T_,@function
_ZN2at4cuda12_GLOBAL__N_121kernelPointwiseApply2IZNS_6native9templates4cuda28bernoulli_tensor_cuda_kernelIsfEEvRKNS_10TensorBaseES9_NS_15PhiloxCudaStateEEUliRsSB_SB_SB_RKfSD_SD_SD_E_sSC_jLi1ELin1ELi4ELi512ELi2EEEvNS0_6detail10TensorInfoIT0_T2_EENSG_IT1_SI_EESI_T_: ; @_ZN2at4cuda12_GLOBAL__N_121kernelPointwiseApply2IZNS_6native9templates4cuda28bernoulli_tensor_cuda_kernelIsfEEvRKNS_10TensorBaseES9_NS_15PhiloxCudaStateEEUliRsSB_SB_SB_RKfSD_SD_SD_E_sSC_jLi1ELin1ELi4ELi512ELi2EEEvNS0_6detail10TensorInfoIT0_T2_EENSG_IT1_SI_EESI_T_
; %bb.0:
	s_clause 0x1
	s_load_b32 s4, s[0:1], 0x1e4
	s_load_b32 s20, s[0:1], 0x1b0
	s_add_u32 s2, s0, 0x1d8
	s_addc_u32 s3, s1, 0
	s_waitcnt lgkmcnt(0)
	s_and_b32 s14, s4, 0xffff
	s_mov_b32 s4, exec_lo
	v_mad_u64_u32 v[1:2], null, s15, s14, v[0:1]
	s_delay_alu instid0(VALU_DEP_1) | instskip(NEXT) | instid1(VALU_DEP_1)
	v_lshlrev_b32_e32 v24, 2, v1
	v_cmpx_gt_u32_e64 s20, v24
	s_cbranch_execz .LBB57_73
; %bb.1:
	s_load_b32 s16, s[0:1], 0x1a8
	s_load_b32 s2, s[2:3], 0x0
	s_clause 0x6
	s_load_b32 s3, s[0:1], 0x1d0
	s_load_b128 s[4:7], s[0:1], 0x1b8
	s_load_b64 s[8:9], s[0:1], 0x1c8
	s_load_b64 s[10:11], s[0:1], 0x0
	s_load_b32 s21, s[0:1], 0x6c
	s_load_b32 s22, s[0:1], 0x144
	s_load_b64 s[12:13], s[0:1], 0xd8
	s_add_u32 s17, s0, 0xd8
	s_addc_u32 s18, s1, 0
	v_mad_u64_u32 v[2:3], null, 0xcd9e8d57, v1, 0
	s_mov_b32 s15, 0
	v_mov_b32_e32 v4, 0
                                        ; implicit-def: $sgpr27
                                        ; implicit-def: $sgpr29
                                        ; implicit-def: $sgpr28
                                        ; implicit-def: $sgpr30
                                        ; implicit-def: $sgpr33
                                        ; implicit-def: $sgpr31
                                        ; implicit-def: $sgpr34
	s_delay_alu instid0(VALU_DEP_2)
	v_mov_b32_e32 v25, v3
	s_waitcnt lgkmcnt(0)
	s_cmp_gt_i32 s16, 1
	s_mul_i32 s2, s2, s14
	s_cselect_b32 s23, -1, 0
	s_bitcmp1_b32 s3, 0
	s_cselect_b32 s24, -1, 0
	s_add_i32 s14, s16, -1
	s_lshl_b32 s25, s2, 2
	s_lshl_b64 s[0:1], s[14:15], 2
	s_add_i32 s26, s16, 1
	s_add_u32 s0, s0, s17
	s_addc_u32 s1, s1, s18
	s_add_u32 s16, s0, 8
	s_addc_u32 s17, s1, 0
                                        ; implicit-def: $sgpr14
	s_branch .LBB57_3
.LBB57_2:                               ;   in Loop: Header=BB57_3 Depth=1
	s_or_b32 exec_lo, exec_lo, s1
	s_delay_alu instid0(SALU_CYCLE_1) | instskip(NEXT) | instid1(SALU_CYCLE_1)
	s_and_b32 s0, exec_lo, s0
	s_or_b32 s15, s0, s15
	s_and_not1_b32 s0, s14, exec_lo
	s_and_b32 s1, s34, exec_lo
	s_and_not1_b32 s2, s28, exec_lo
	s_and_b32 s3, s31, exec_lo
	s_or_b32 s14, s0, s1
	s_or_b32 s28, s2, s3
	s_and_not1_b32 s0, s29, exec_lo
	s_and_b32 s1, s33, exec_lo
	s_and_not1_b32 s2, s27, exec_lo
	s_and_b32 s3, s30, exec_lo
	s_or_b32 s29, s0, s1
	s_or_b32 s27, s2, s3
	s_and_not1_b32 exec_lo, exec_lo, s15
	s_cbranch_execz .LBB57_61
.LBB57_3:                               ; =>This Loop Header: Depth=1
                                        ;     Child Loop BB57_6 Depth 2
                                        ;     Child Loop BB57_11 Depth 2
	;; [unrolled: 1-line block ×4, first 2 shown]
	v_sub_nc_u32_e32 v27, s20, v24
	v_mov_b32_e32 v3, 0
	s_delay_alu instid0(VALU_DEP_2) | instskip(NEXT) | instid1(VALU_DEP_1)
	v_cmp_lt_i32_e64 s0, 0, v27
	s_and_saveexec_b32 s1, s0
	s_cbranch_execz .LBB57_8
; %bb.4:                                ;   in Loop: Header=BB57_3 Depth=1
	v_dual_mov_b32 v0, 0 :: v_dual_mov_b32 v3, v24
	s_and_not1_b32 vcc_lo, exec_lo, s23
	s_cbranch_vccnz .LBB57_7
; %bb.5:                                ;   in Loop: Header=BB57_3 Depth=1
	v_dual_mov_b32 v0, 0 :: v_dual_mov_b32 v3, v24
	s_mov_b64 s[2:3], s[16:17]
	s_mov_b32 s18, s26
	s_set_inst_prefetch_distance 0x1
	.p2align	6
.LBB57_6:                               ;   Parent Loop BB57_3 Depth=1
                                        ; =>  This Inner Loop Header: Depth=2
	s_clause 0x1
	s_load_b32 s19, s[2:3], 0x0
	s_load_b32 s35, s[2:3], 0x64
	v_mov_b32_e32 v7, v3
	s_add_i32 s18, s18, -1
	s_waitcnt lgkmcnt(0)
	v_cvt_f32_u32_e32 v5, s19
	s_sub_i32 s36, 0, s19
	s_add_u32 s2, s2, -4
	s_addc_u32 s3, s3, -1
	s_cmp_gt_u32 s18, 2
	v_rcp_iflag_f32_e32 v5, v5
	s_waitcnt_depctr 0xfff
	v_mul_f32_e32 v5, 0x4f7ffffe, v5
	s_delay_alu instid0(VALU_DEP_1) | instskip(NEXT) | instid1(VALU_DEP_1)
	v_cvt_u32_f32_e32 v5, v5
	v_mul_lo_u32 v6, s36, v5
	s_delay_alu instid0(VALU_DEP_1) | instskip(NEXT) | instid1(VALU_DEP_1)
	v_mul_hi_u32 v6, v5, v6
	v_add_nc_u32_e32 v3, v5, v6
	s_delay_alu instid0(VALU_DEP_1) | instskip(NEXT) | instid1(VALU_DEP_1)
	v_mul_hi_u32 v3, v7, v3
	v_add_nc_u32_e32 v6, 1, v3
	v_mul_lo_u32 v5, v3, s19
	s_delay_alu instid0(VALU_DEP_1) | instskip(NEXT) | instid1(VALU_DEP_1)
	v_sub_nc_u32_e32 v5, v7, v5
	v_subrev_nc_u32_e32 v8, s19, v5
	v_cmp_le_u32_e32 vcc_lo, s19, v5
	v_cndmask_b32_e32 v3, v3, v6, vcc_lo
	s_delay_alu instid0(VALU_DEP_1) | instskip(NEXT) | instid1(VALU_DEP_1)
	v_dual_cndmask_b32 v5, v5, v8 :: v_dual_add_nc_u32 v6, 1, v3
	v_cmp_le_u32_e32 vcc_lo, s19, v5
	s_delay_alu instid0(VALU_DEP_2) | instskip(NEXT) | instid1(VALU_DEP_1)
	v_cndmask_b32_e32 v3, v3, v6, vcc_lo
	v_mul_lo_u32 v5, v3, s19
	s_delay_alu instid0(VALU_DEP_1) | instskip(NEXT) | instid1(VALU_DEP_1)
	v_sub_nc_u32_e32 v7, v7, v5
	v_mad_u64_u32 v[5:6], null, s35, v7, v[0:1]
	s_delay_alu instid0(VALU_DEP_1)
	v_mov_b32_e32 v0, v5
	s_cbranch_scc1 .LBB57_6
.LBB57_7:                               ;   in Loop: Header=BB57_3 Depth=1
	s_set_inst_prefetch_distance 0x2
	s_delay_alu instid0(VALU_DEP_1) | instskip(NEXT) | instid1(VALU_DEP_1)
	v_mad_u64_u32 v[5:6], null, s22, v3, v[0:1]
	v_mov_b32_e32 v3, v5
.LBB57_8:                               ;   in Loop: Header=BB57_3 Depth=1
	s_or_b32 exec_lo, exec_lo, s1
	v_mov_b32_e32 v5, 0
	v_mov_b32_e32 v6, 0
	v_cmp_lt_i32_e64 s1, 1, v27
	s_delay_alu instid0(VALU_DEP_1)
	s_and_saveexec_b32 s18, s1
	s_cbranch_execz .LBB57_13
; %bb.9:                                ;   in Loop: Header=BB57_3 Depth=1
	v_or_b32_e32 v7, 1, v24
	v_mov_b32_e32 v0, 0
	s_and_not1_b32 vcc_lo, exec_lo, s23
	s_cbranch_vccnz .LBB57_12
; %bb.10:                               ;   in Loop: Header=BB57_3 Depth=1
	v_mov_b32_e32 v0, 0
	s_mov_b64 s[2:3], s[16:17]
	s_mov_b32 s19, s26
	s_set_inst_prefetch_distance 0x1
	.p2align	6
.LBB57_11:                              ;   Parent Loop BB57_3 Depth=1
                                        ; =>  This Inner Loop Header: Depth=2
	s_clause 0x1
	s_load_b32 s35, s[2:3], 0x0
	s_load_b32 s36, s[2:3], 0x64
	s_add_i32 s19, s19, -1
	v_mov_b32_e32 v8, v7
	s_waitcnt lgkmcnt(0)
	v_cvt_f32_u32_e32 v5, s35
	s_sub_i32 s37, 0, s35
	s_add_u32 s2, s2, -4
	s_addc_u32 s3, s3, -1
	s_cmp_gt_u32 s19, 2
	v_rcp_iflag_f32_e32 v5, v5
	s_waitcnt_depctr 0xfff
	v_mul_f32_e32 v5, 0x4f7ffffe, v5
	s_delay_alu instid0(VALU_DEP_1) | instskip(NEXT) | instid1(VALU_DEP_1)
	v_cvt_u32_f32_e32 v5, v5
	v_mul_lo_u32 v6, s37, v5
	s_delay_alu instid0(VALU_DEP_1) | instskip(NEXT) | instid1(VALU_DEP_1)
	v_mul_hi_u32 v6, v5, v6
	v_add_nc_u32_e32 v5, v5, v6
	s_delay_alu instid0(VALU_DEP_1) | instskip(NEXT) | instid1(VALU_DEP_1)
	v_mul_hi_u32 v5, v8, v5
	v_mul_lo_u32 v6, v5, s35
	v_add_nc_u32_e32 v7, 1, v5
	s_delay_alu instid0(VALU_DEP_2) | instskip(NEXT) | instid1(VALU_DEP_1)
	v_sub_nc_u32_e32 v6, v8, v6
	v_subrev_nc_u32_e32 v9, s35, v6
	v_cmp_le_u32_e32 vcc_lo, s35, v6
	s_delay_alu instid0(VALU_DEP_2) | instskip(NEXT) | instid1(VALU_DEP_1)
	v_dual_cndmask_b32 v5, v5, v7 :: v_dual_cndmask_b32 v6, v6, v9
	v_add_nc_u32_e32 v7, 1, v5
	s_delay_alu instid0(VALU_DEP_2) | instskip(NEXT) | instid1(VALU_DEP_2)
	v_cmp_le_u32_e32 vcc_lo, s35, v6
	v_cndmask_b32_e32 v7, v5, v7, vcc_lo
	s_delay_alu instid0(VALU_DEP_1) | instskip(NEXT) | instid1(VALU_DEP_1)
	v_mul_lo_u32 v5, v7, s35
	v_sub_nc_u32_e32 v8, v8, v5
	s_delay_alu instid0(VALU_DEP_1) | instskip(NEXT) | instid1(VALU_DEP_1)
	v_mad_u64_u32 v[5:6], null, s36, v8, v[0:1]
	v_mov_b32_e32 v0, v5
	s_cbranch_scc1 .LBB57_11
.LBB57_12:                              ;   in Loop: Header=BB57_3 Depth=1
	s_set_inst_prefetch_distance 0x2
	s_delay_alu instid0(VALU_DEP_1)
	v_mad_u64_u32 v[5:6], null, s22, v7, v[0:1]
	v_mov_b32_e32 v6, v4
.LBB57_13:                              ;   in Loop: Header=BB57_3 Depth=1
	s_or_b32 exec_lo, exec_lo, s18
	v_mov_b32_e32 v9, 0
	v_mov_b32_e32 v10, 0
	v_cmp_lt_i32_e64 s2, 2, v27
	s_delay_alu instid0(VALU_DEP_1)
	s_and_saveexec_b32 s3, s2
	s_cbranch_execz .LBB57_18
; %bb.14:                               ;   in Loop: Header=BB57_3 Depth=1
	v_or_b32_e32 v7, 2, v24
	v_mov_b32_e32 v0, 0
	s_and_not1_b32 vcc_lo, exec_lo, s23
	s_cbranch_vccnz .LBB57_17
; %bb.15:                               ;   in Loop: Header=BB57_3 Depth=1
	v_mov_b32_e32 v0, 0
	s_mov_b64 s[18:19], s[16:17]
	s_mov_b32 s35, s26
	s_set_inst_prefetch_distance 0x1
	.p2align	6
.LBB57_16:                              ;   Parent Loop BB57_3 Depth=1
                                        ; =>  This Inner Loop Header: Depth=2
	s_clause 0x1
	s_load_b32 s36, s[18:19], 0x0
	s_load_b32 s37, s[18:19], 0x64
	s_add_i32 s35, s35, -1
	s_waitcnt lgkmcnt(0)
	v_cvt_f32_u32_e32 v8, s36
	s_sub_i32 s38, 0, s36
	s_add_u32 s18, s18, -4
	s_addc_u32 s19, s19, -1
	s_cmp_gt_u32 s35, 2
	v_rcp_iflag_f32_e32 v8, v8
	s_waitcnt_depctr 0xfff
	v_mul_f32_e32 v8, 0x4f7ffffe, v8
	s_delay_alu instid0(VALU_DEP_1) | instskip(NEXT) | instid1(VALU_DEP_1)
	v_cvt_u32_f32_e32 v8, v8
	v_mul_lo_u32 v9, s38, v8
	s_delay_alu instid0(VALU_DEP_1) | instskip(NEXT) | instid1(VALU_DEP_1)
	v_mul_hi_u32 v9, v8, v9
	v_dual_mov_b32 v10, v7 :: v_dual_add_nc_u32 v7, v8, v9
	s_delay_alu instid0(VALU_DEP_1) | instskip(NEXT) | instid1(VALU_DEP_1)
	v_mul_hi_u32 v7, v10, v7
	v_mul_lo_u32 v8, v7, s36
	v_add_nc_u32_e32 v9, 1, v7
	s_delay_alu instid0(VALU_DEP_2) | instskip(NEXT) | instid1(VALU_DEP_1)
	v_sub_nc_u32_e32 v8, v10, v8
	v_subrev_nc_u32_e32 v11, s36, v8
	v_cmp_le_u32_e32 vcc_lo, s36, v8
	s_delay_alu instid0(VALU_DEP_2) | instskip(NEXT) | instid1(VALU_DEP_1)
	v_dual_cndmask_b32 v7, v7, v9 :: v_dual_cndmask_b32 v8, v8, v11
	v_add_nc_u32_e32 v9, 1, v7
	s_delay_alu instid0(VALU_DEP_2) | instskip(NEXT) | instid1(VALU_DEP_2)
	v_cmp_le_u32_e32 vcc_lo, s36, v8
	v_cndmask_b32_e32 v7, v7, v9, vcc_lo
	s_delay_alu instid0(VALU_DEP_1) | instskip(NEXT) | instid1(VALU_DEP_1)
	v_mul_lo_u32 v8, v7, s36
	v_sub_nc_u32_e32 v10, v10, v8
	s_delay_alu instid0(VALU_DEP_1) | instskip(NEXT) | instid1(VALU_DEP_1)
	v_mad_u64_u32 v[8:9], null, s37, v10, v[0:1]
	v_mov_b32_e32 v0, v8
	s_cbranch_scc1 .LBB57_16
.LBB57_17:                              ;   in Loop: Header=BB57_3 Depth=1
	s_set_inst_prefetch_distance 0x2
	s_delay_alu instid0(VALU_DEP_1)
	v_mad_u64_u32 v[9:10], null, s22, v7, v[0:1]
	v_mov_b32_e32 v10, v4
.LBB57_18:                              ;   in Loop: Header=BB57_3 Depth=1
	s_or_b32 exec_lo, exec_lo, s3
	v_mul_lo_u32 v26, v24, s21
	v_mov_b32_e32 v11, 0
	s_mov_b32 s3, exec_lo
	s_delay_alu instid0(VALU_DEP_2) | instskip(NEXT) | instid1(VALU_DEP_1)
	v_add_nc_u32_e32 v28, s21, v26
	v_dual_mov_b32 v12, 0 :: v_dual_add_nc_u32 v29, s21, v28
	s_delay_alu instid0(VALU_DEP_1)
	v_dual_mov_b32 v7, v11 :: v_dual_mov_b32 v8, v12
	v_cmpx_lt_i32_e32 3, v27
	s_cbranch_execz .LBB57_23
; %bb.19:                               ;   in Loop: Header=BB57_3 Depth=1
	v_or_b32_e32 v7, 3, v24
	v_mov_b32_e32 v0, 0
	s_and_not1_b32 vcc_lo, exec_lo, s23
	s_cbranch_vccnz .LBB57_22
; %bb.20:                               ;   in Loop: Header=BB57_3 Depth=1
	v_mov_b32_e32 v0, 0
	s_mov_b64 s[18:19], s[16:17]
	s_mov_b32 s35, s26
	s_set_inst_prefetch_distance 0x1
	.p2align	6
.LBB57_21:                              ;   Parent Loop BB57_3 Depth=1
                                        ; =>  This Inner Loop Header: Depth=2
	s_clause 0x1
	s_load_b32 s36, s[18:19], 0x0
	s_load_b32 s37, s[18:19], 0x64
	s_add_i32 s35, s35, -1
	s_waitcnt lgkmcnt(0)
	v_cvt_f32_u32_e32 v8, s36
	s_sub_i32 s38, 0, s36
	s_add_u32 s18, s18, -4
	s_addc_u32 s19, s19, -1
	s_cmp_gt_u32 s35, 2
	v_rcp_iflag_f32_e32 v8, v8
	s_waitcnt_depctr 0xfff
	v_mul_f32_e32 v8, 0x4f7ffffe, v8
	s_delay_alu instid0(VALU_DEP_1) | instskip(NEXT) | instid1(VALU_DEP_1)
	v_cvt_u32_f32_e32 v8, v8
	v_mul_lo_u32 v11, s38, v8
	s_delay_alu instid0(VALU_DEP_1) | instskip(NEXT) | instid1(VALU_DEP_1)
	v_mul_hi_u32 v11, v8, v11
	v_dual_mov_b32 v12, v7 :: v_dual_add_nc_u32 v7, v8, v11
	s_delay_alu instid0(VALU_DEP_1) | instskip(NEXT) | instid1(VALU_DEP_1)
	v_mul_hi_u32 v7, v12, v7
	v_mul_lo_u32 v8, v7, s36
	v_add_nc_u32_e32 v11, 1, v7
	s_delay_alu instid0(VALU_DEP_2) | instskip(NEXT) | instid1(VALU_DEP_1)
	v_sub_nc_u32_e32 v8, v12, v8
	v_subrev_nc_u32_e32 v13, s36, v8
	v_cmp_le_u32_e32 vcc_lo, s36, v8
	s_delay_alu instid0(VALU_DEP_2) | instskip(NEXT) | instid1(VALU_DEP_1)
	v_dual_cndmask_b32 v7, v7, v11 :: v_dual_cndmask_b32 v8, v8, v13
	v_add_nc_u32_e32 v11, 1, v7
	s_delay_alu instid0(VALU_DEP_2) | instskip(NEXT) | instid1(VALU_DEP_2)
	v_cmp_le_u32_e32 vcc_lo, s36, v8
	v_cndmask_b32_e32 v7, v7, v11, vcc_lo
	s_delay_alu instid0(VALU_DEP_1) | instskip(NEXT) | instid1(VALU_DEP_1)
	v_mul_lo_u32 v8, v7, s36
	v_sub_nc_u32_e32 v8, v12, v8
	s_delay_alu instid0(VALU_DEP_1) | instskip(NEXT) | instid1(VALU_DEP_1)
	v_mad_u64_u32 v[11:12], null, s37, v8, v[0:1]
	v_mov_b32_e32 v0, v11
	s_cbranch_scc1 .LBB57_21
.LBB57_22:                              ;   in Loop: Header=BB57_3 Depth=1
	s_set_inst_prefetch_distance 0x2
	s_delay_alu instid0(VALU_DEP_1)
	v_mad_u64_u32 v[11:12], null, s22, v7, v[0:1]
	v_dual_mov_b32 v8, v4 :: v_dual_add_nc_u32 v7, s21, v29
	v_mov_b32_e32 v12, v4
.LBB57_23:                              ;   in Loop: Header=BB57_3 Depth=1
	s_or_b32 exec_lo, exec_lo, s3
	v_lshlrev_b64 v[13:14], 2, v[3:4]
	v_lshlrev_b64 v[5:6], 2, v[5:6]
	;; [unrolled: 1-line block ×4, first 2 shown]
	s_delay_alu instid0(VALU_DEP_4)
	v_add_co_u32 v13, vcc_lo, s12, v13
	v_add_co_ci_u32_e32 v14, vcc_lo, s13, v14, vcc_lo
	v_add_co_u32 v5, vcc_lo, s12, v5
	v_add_co_ci_u32_e32 v6, vcc_lo, s13, v6, vcc_lo
	;; [unrolled: 2-line block ×4, first 2 shown]
	s_clause 0x3
	global_load_b32 v0, v[13:14], off
	global_load_b32 v30, v[5:6], off
	;; [unrolled: 1-line block ×4, first 2 shown]
	v_dual_mov_b32 v12, s7 :: v_dual_mov_b32 v11, s6
	v_dual_mov_b32 v14, s5 :: v_dual_mov_b32 v13, s4
	s_and_not1_b32 vcc_lo, exec_lo, s24
	s_cbranch_vccnz .LBB57_25
; %bb.24:                               ;   in Loop: Header=BB57_3 Depth=1
	v_dual_mov_b32 v5, s6 :: v_dual_mov_b32 v6, s7
	v_dual_mov_b32 v10, s5 :: v_dual_mov_b32 v9, s4
	flat_load_b64 v[5:6], v[5:6]
	flat_load_b64 v[13:14], v[9:10]
	s_waitcnt vmcnt(1) lgkmcnt(1)
	v_add_co_u32 v11, vcc_lo, v5, s8
	v_add_co_ci_u32_e32 v12, vcc_lo, s9, v6, vcc_lo
.LBB57_25:                              ;   in Loop: Header=BB57_3 Depth=1
	s_delay_alu instid0(VALU_DEP_1)
	v_alignbit_b32 v15, v12, v11, 2
	v_lshrrev_b32_e32 v9, 2, v12
	s_waitcnt vmcnt(0) lgkmcnt(0)
	v_add_nc_u32_e32 v32, 0x9e3779b9, v13
	v_add_nc_u32_e32 v34, 0x3c6ef372, v13
	;; [unrolled: 1-line block ×3, first 2 shown]
	v_add_co_u32 v10, vcc_lo, v15, 1
	s_delay_alu instid0(VALU_DEP_1) | instskip(SKIP_4) | instid1(VALU_DEP_4)
	v_cndmask_b32_e64 v5, 0, 1, vcc_lo
	v_add_co_ci_u32_e32 v12, vcc_lo, 0, v9, vcc_lo
	v_xor3_b32 v17, v25, v13, v9
	v_add_nc_u32_e32 v36, 0x32370b8f, v14
	v_add_nc_u32_e32 v37, 0xed9eba14, v14
	v_cmp_eq_u32_e32 vcc_lo, 0, v12
	v_add_nc_u32_e32 v38, 0x1fd5c5a3, v14
	s_mov_b32 s3, exec_lo
	v_dual_cndmask_b32 v16, 0, v5 :: v_dual_add_nc_u32 v33, 0xbb67ae85, v14
	v_mad_u64_u32 v[5:6], null, 0xd2511f53, v10, 0
	v_mad_u64_u32 v[9:10], null, 0xd2511f53, v15, 0
	s_delay_alu instid0(VALU_DEP_3) | instskip(NEXT) | instid1(VALU_DEP_3)
	v_add_nc_u32_e32 v19, v16, v1
	v_xor_b32_e32 v6, v6, v14
	s_delay_alu instid0(VALU_DEP_2) | instskip(SKIP_1) | instid1(VALU_DEP_1)
	v_cmp_eq_u32_e32 vcc_lo, 0, v19
	v_cndmask_b32_e32 v16, 0, v16, vcc_lo
	v_xor_b32_e32 v6, v16, v6
	v_mad_u64_u32 v[15:16], null, 0xd2511f53, v17, 0
	v_mad_u64_u32 v[17:18], null, 0xcd9e8d57, v19, 0
	s_delay_alu instid0(VALU_DEP_3) | instskip(SKIP_1) | instid1(VALU_DEP_4)
	v_mad_u64_u32 v[19:20], null, 0xcd9e8d57, v6, 0
	v_xor_b32_e32 v6, v10, v14
	v_xor3_b32 v21, v33, v16, v9
	s_delay_alu instid0(VALU_DEP_2) | instskip(SKIP_2) | instid1(VALU_DEP_4)
	v_mad_u64_u32 v[9:10], null, 0xcd9e8d57, v6, 0
	v_xor3_b32 v6, v18, v13, v12
	v_xor3_b32 v12, v32, v20, v17
	v_mad_u64_u32 v[16:17], null, 0xcd9e8d57, v21, 0
	s_delay_alu instid0(VALU_DEP_3) | instskip(NEXT) | instid1(VALU_DEP_3)
	v_mad_u64_u32 v[20:21], null, 0xd2511f53, v6, 0
	v_mad_u64_u32 v[22:23], null, 0xd2511f53, v12, 0
	v_xor3_b32 v6, v2, v10, v32
	s_delay_alu instid0(VALU_DEP_4) | instskip(SKIP_2) | instid1(VALU_DEP_4)
	v_xor3_b32 v17, v34, v17, v9
	v_add_nc_u32_e32 v12, 0xdaa66d2b, v13
	v_xor3_b32 v21, v33, v21, v5
	v_mad_u64_u32 v[9:10], null, 0xd2511f53, v6, 0
	v_xor3_b32 v23, v35, v23, v20
	v_mad_u64_u32 v[5:6], null, 0xd2511f53, v17, 0
	s_delay_alu instid0(VALU_DEP_4) | instskip(NEXT) | instid1(VALU_DEP_3)
	v_mad_u64_u32 v[17:18], null, 0xcd9e8d57, v21, 0
	v_mad_u64_u32 v[20:21], null, 0xcd9e8d57, v23, 0
	v_xor3_b32 v15, v35, v10, v15
	v_add_nc_u32_e32 v23, 0x78dde6e4, v13
	v_xor3_b32 v6, v36, v6, v9
	s_delay_alu instid0(VALU_DEP_3) | instskip(SKIP_2) | instid1(VALU_DEP_4)
	v_mad_u64_u32 v[9:10], null, 0xcd9e8d57, v15, 0
	v_xor3_b32 v15, v34, v18, v19
	v_xor3_b32 v19, v12, v21, v17
	v_mad_u64_u32 v[17:18], null, 0xcd9e8d57, v6, 0
	s_delay_alu instid0(VALU_DEP_3) | instskip(NEXT) | instid1(VALU_DEP_3)
	v_mad_u64_u32 v[32:33], null, 0xd2511f53, v15, 0
	v_mad_u64_u32 v[34:35], null, 0xd2511f53, v19, 0
	v_xor3_b32 v6, v12, v10, v16
	s_delay_alu instid0(VALU_DEP_4) | instskip(SKIP_2) | instid1(VALU_DEP_4)
	v_xor3_b32 v15, v23, v18, v9
	v_add_nc_u32_e32 v12, 0x1715609d, v13
	v_add_nc_u32_e32 v19, 0xa9066899, v14
	v_mad_u64_u32 v[9:10], null, 0xd2511f53, v6, 0
	v_xor3_b32 v6, v36, v33, v22
	v_xor3_b32 v18, v37, v35, v32
	v_mad_u64_u32 v[21:22], null, 0xd2511f53, v15, 0
	v_add_nc_u32_e32 v33, 0xb54cda56, v13
	s_delay_alu instid0(VALU_DEP_4) | instskip(NEXT) | instid1(VALU_DEP_4)
	v_mad_u64_u32 v[15:16], null, 0xcd9e8d57, v6, 0
	v_mad_u64_u32 v[35:36], null, 0xcd9e8d57, v18, 0
	v_xor3_b32 v10, v37, v10, v5
	v_xor3_b32 v18, v19, v22, v9
	v_add_nc_u32_e32 v32, 0x646e171e, v14
	v_xor3_b32 v20, v23, v16, v20
	s_delay_alu instid0(VALU_DEP_4) | instskip(SKIP_2) | instid1(VALU_DEP_4)
	v_mad_u64_u32 v[5:6], null, 0xcd9e8d57, v10, 0
	v_xor3_b32 v22, v12, v36, v15
	v_mad_u64_u32 v[9:10], null, 0xcd9e8d57, v18, 0
	v_mad_u64_u32 v[15:16], null, 0xd2511f53, v20, 0
	s_delay_alu instid0(VALU_DEP_3) | instskip(SKIP_3) | instid1(VALU_DEP_3)
	v_mad_u64_u32 v[36:37], null, 0xd2511f53, v22, 0
	v_xor3_b32 v12, v12, v6, v17
	v_add_nc_u32_e32 v20, 0x5384540f, v13
	v_xor3_b32 v10, v33, v10, v5
	v_mad_u64_u32 v[5:6], null, 0xd2511f53, v12, 0
	v_xor3_b32 v12, v19, v16, v34
	v_xor3_b32 v17, v32, v37, v15
	s_delay_alu instid0(VALU_DEP_4) | instskip(NEXT) | instid1(VALU_DEP_3)
	v_mad_u64_u32 v[15:16], null, 0xd2511f53, v10, 0
	v_mad_u64_u32 v[22:23], null, 0xcd9e8d57, v12, 0
	s_delay_alu instid0(VALU_DEP_3) | instskip(SKIP_1) | instid1(VALU_DEP_4)
	v_mad_u64_u32 v[18:19], null, 0xcd9e8d57, v17, 0
	v_xor3_b32 v10, v32, v6, v21
	v_xor3_b32 v12, v38, v16, v5
	v_add_co_u32 v32, null, 0xf1bbcdc8, v13
	s_delay_alu instid0(VALU_DEP_3) | instskip(SKIP_4) | instid1(VALU_DEP_4)
	v_mad_u64_u32 v[5:6], null, 0xcd9e8d57, v10, 0
	v_xor3_b32 v10, v33, v23, v35
	v_xor3_b32 v19, v20, v19, v22
	v_mad_u64_u32 v[16:17], null, 0xcd9e8d57, v12, 0
	v_add_nc_u32_e32 v33, 0xdb3d7428, v14
	v_mad_u64_u32 v[34:35], null, 0xd2511f53, v10, 0
	s_delay_alu instid0(VALU_DEP_4) | instskip(SKIP_4) | instid1(VALU_DEP_4)
	v_mad_u64_u32 v[21:22], null, 0xd2511f53, v19, 0
	v_xor3_b32 v6, v20, v6, v9
	v_xor3_b32 v9, v32, v17, v5
	v_add_nc_u32_e32 v17, 0x8ff34781, v13
	v_xor3_b32 v10, v38, v35, v36
	v_mad_u64_u32 v[19:20], null, 0xd2511f53, v6, 0
	v_xor3_b32 v12, v33, v22, v34
	v_mad_u64_u32 v[5:6], null, 0xd2511f53, v9, 0
	s_delay_alu instid0(VALU_DEP_4) | instskip(NEXT) | instid1(VALU_DEP_3)
	v_mad_u64_u32 v[22:23], null, 0xcd9e8d57, v10, 0
	v_mad_u64_u32 v[9:10], null, 0xcd9e8d57, v12, 0
	v_add_nc_u32_e32 v34, 0x96a522ad, v14
	v_and_b32_e32 v14, 3, v11
                                        ; implicit-def: $vgpr12
	s_delay_alu instid0(VALU_DEP_2) | instskip(NEXT) | instid1(VALU_DEP_4)
	v_xor3_b32 v13, v6, v19, v34
	v_xor3_b32 v6, v10, v22, v17
	s_delay_alu instid0(VALU_DEP_3)
	v_cmpx_lt_i32_e32 1, v14
	s_xor_b32 s3, exec_lo, s3
	s_cbranch_execz .LBB57_31
; %bb.26:                               ;   in Loop: Header=BB57_3 Depth=1
	s_mov_b32 s18, exec_lo
                                        ; implicit-def: $vgpr12
	v_cmpx_lt_i32_e32 2, v14
	s_xor_b32 s18, exec_lo, s18
; %bb.27:                               ;   in Loop: Header=BB57_3 Depth=1
	v_xor3_b32 v10, v32, v23, v18
                                        ; implicit-def: $vgpr13
	s_delay_alu instid0(VALU_DEP_1) | instskip(NEXT) | instid1(VALU_DEP_1)
	v_mul_hi_u32 v10, 0xd2511f53, v10
	v_xor3_b32 v12, v10, v21, v34
; %bb.28:                               ;   in Loop: Header=BB57_3 Depth=1
	s_and_not1_saveexec_b32 s18, s18
; %bb.29:                               ;   in Loop: Header=BB57_3 Depth=1
	v_dual_mov_b32 v12, v9 :: v_dual_mov_b32 v9, v6
	v_mov_b32_e32 v6, v5
	v_mov_b32_e32 v5, v13
; %bb.30:                               ;   in Loop: Header=BB57_3 Depth=1
	s_or_b32 exec_lo, exec_lo, s18
                                        ; implicit-def: $vgpr15_vgpr16
                                        ; implicit-def: $vgpr14
                                        ; implicit-def: $vgpr13
                                        ; implicit-def: $vgpr33
                                        ; implicit-def: $vgpr19_vgpr20
                                        ; implicit-def: $vgpr16_vgpr17
                                        ; implicit-def: $vgpr17
.LBB57_31:                              ;   in Loop: Header=BB57_3 Depth=1
	s_and_not1_saveexec_b32 s3, s3
	s_cbranch_execz .LBB57_35
; %bb.32:                               ;   in Loop: Header=BB57_3 Depth=1
	v_xor3_b32 v9, v33, v20, v15
	v_cmp_eq_u32_e32 vcc_lo, 1, v14
	s_delay_alu instid0(VALU_DEP_2) | instskip(SKIP_2) | instid1(VALU_DEP_3)
	v_mad_u64_u32 v[10:11], null, 0xcd9e8d57, v9, 0
	v_mov_b32_e32 v12, v5
	v_mov_b32_e32 v9, v13
	v_xor3_b32 v14, v11, v16, v17
	s_delay_alu instid0(VALU_DEP_4)
	v_mov_b32_e32 v11, v10
	s_and_saveexec_b32 s18, vcc_lo
; %bb.33:                               ;   in Loop: Header=BB57_3 Depth=1
	v_dual_mov_b32 v12, v6 :: v_dual_mov_b32 v9, v5
	v_dual_mov_b32 v11, v13 :: v_dual_mov_b32 v14, v10
; %bb.34:                               ;   in Loop: Header=BB57_3 Depth=1
	s_or_b32 exec_lo, exec_lo, s18
	s_delay_alu instid0(VALU_DEP_1)
	v_dual_mov_b32 v5, v14 :: v_dual_mov_b32 v6, v11
.LBB57_35:                              ;   in Loop: Header=BB57_3 Depth=1
	s_or_b32 exec_lo, exec_lo, s3
	v_min_i32_e32 v10, 4, v27
	s_mov_b32 s18, 0
	s_mov_b32 s38, 0
	;; [unrolled: 1-line block ×3, first 2 shown]
	s_mov_b32 s37, exec_lo
                                        ; implicit-def: $sgpr19
                                        ; implicit-def: $sgpr35
                                        ; implicit-def: $sgpr36
	v_cmpx_lt_i32_e32 2, v10
	s_xor_b32 s37, exec_lo, s37
	s_cbranch_execz .LBB57_47
; %bb.36:                               ;   in Loop: Header=BB57_3 Depth=1
	s_mov_b32 s3, -1
	s_mov_b32 s40, 0
	s_mov_b32 s35, exec_lo
                                        ; implicit-def: $sgpr19
                                        ; implicit-def: $sgpr39
	v_cmpx_lt_i32_e32 3, v10
	s_cbranch_execz .LBB57_42
; %bb.37:                               ;   in Loop: Header=BB57_3 Depth=1
	s_mov_b32 s3, 0
	s_mov_b32 s40, -1
	s_mov_b32 s36, exec_lo
                                        ; implicit-def: $sgpr19
                                        ; implicit-def: $sgpr39
	v_cmpx_eq_u32_e32 4, v10
	s_cbranch_execz .LBB57_41
; %bb.38:                               ;   in Loop: Header=BB57_3 Depth=1
	v_cmp_le_f32_e32 vcc_lo, 0, v3
	v_cmp_ge_f32_e64 s3, 1.0, v3
	s_mov_b32 s19, 0
	s_delay_alu instid0(VALU_DEP_1)
	s_and_b32 s40, vcc_lo, s3
	s_mov_b32 s3, 0
	s_and_saveexec_b32 s39, s40
	s_cbranch_execz .LBB57_40
; %bb.39:                               ;   in Loop: Header=BB57_3 Depth=1
	v_cvt_f32_u32_e32 v11, v12
	v_lshlrev_b64 v[7:8], 1, v[7:8]
	s_mov_b32 s3, exec_lo
	s_delay_alu instid0(VALU_DEP_2) | instskip(NEXT) | instid1(VALU_DEP_2)
	v_fmaak_f32 v11, 0x2f800000, v11, 0x2f800000
	v_add_co_u32 v7, vcc_lo, s10, v7
	s_delay_alu instid0(VALU_DEP_3) | instskip(NEXT) | instid1(VALU_DEP_3)
	v_add_co_ci_u32_e32 v8, vcc_lo, s11, v8, vcc_lo
	v_cmp_le_f32_e32 vcc_lo, v11, v3
	v_cndmask_b32_e64 v3, 0, 1, vcc_lo
	global_store_b16 v[7:8], v3, off
.LBB57_40:                              ;   in Loop: Header=BB57_3 Depth=1
	s_or_b32 exec_lo, exec_lo, s39
	s_mov_b32 s39, -1
	s_xor_b32 s40, exec_lo, -1
	s_and_b32 s3, s3, exec_lo
.LBB57_41:                              ;   in Loop: Header=BB57_3 Depth=1
	s_or_b32 exec_lo, exec_lo, s36
	s_delay_alu instid0(SALU_CYCLE_1)
	s_and_b32 s40, s40, exec_lo
	s_or_not1_b32 s3, s3, exec_lo
.LBB57_42:                              ;   in Loop: Header=BB57_3 Depth=1
	s_or_b32 exec_lo, exec_lo, s35
	s_mov_b32 s36, s19
	s_and_saveexec_b32 s35, s3
	s_cbranch_execz .LBB57_46
; %bb.43:                               ;   in Loop: Header=BB57_3 Depth=1
	v_cmp_le_f32_e32 vcc_lo, 0, v31
	v_cmp_ge_f32_e64 s3, 1.0, v31
	s_delay_alu instid0(VALU_DEP_1) | instskip(SKIP_2) | instid1(SALU_CYCLE_1)
	s_and_b32 s36, vcc_lo, s3
	s_mov_b32 s3, 0
	s_and_saveexec_b32 s38, s36
	s_xor_b32 s36, exec_lo, s38
	s_cbranch_execz .LBB57_45
; %bb.44:                               ;   in Loop: Header=BB57_3 Depth=1
	v_cndmask_b32_e64 v3, 0, v29, s2
	v_cvt_f32_u32_e32 v9, v9
	s_mov_b32 s3, exec_lo
	s_delay_alu instid0(VALU_DEP_2) | instskip(NEXT) | instid1(VALU_DEP_2)
	v_lshlrev_b64 v[7:8], 1, v[3:4]
	v_fmaak_f32 v3, 0x2f800000, v9, 0x2f800000
	s_delay_alu instid0(VALU_DEP_2) | instskip(NEXT) | instid1(VALU_DEP_3)
	v_add_co_u32 v7, vcc_lo, s10, v7
	v_add_co_ci_u32_e32 v8, vcc_lo, s11, v8, vcc_lo
	s_delay_alu instid0(VALU_DEP_3)
	v_cmp_le_f32_e32 vcc_lo, v3, v31
	v_cndmask_b32_e64 v3, 0, 1, vcc_lo
	global_store_b16 v[7:8], v3, off
.LBB57_45:                              ;   in Loop: Header=BB57_3 Depth=1
	s_or_b32 exec_lo, exec_lo, s36
	s_delay_alu instid0(SALU_CYCLE_1)
	s_and_not1_b32 s36, s19, exec_lo
	s_or_b32 s19, s19, exec_lo
	s_and_not1_b32 s39, s39, exec_lo
	s_and_b32 s38, s3, exec_lo
.LBB57_46:                              ;   in Loop: Header=BB57_3 Depth=1
	s_or_b32 exec_lo, exec_lo, s35
	s_delay_alu instid0(SALU_CYCLE_1)
	s_and_b32 s36, s36, exec_lo
	s_and_b32 s35, s19, exec_lo
	;; [unrolled: 1-line block ×5, first 2 shown]
.LBB57_47:                              ;   in Loop: Header=BB57_3 Depth=1
	s_and_not1_saveexec_b32 s2, s37
; %bb.48:                               ;   in Loop: Header=BB57_3 Depth=1
	v_cmp_lt_i32_e32 vcc_lo, 1, v10
	s_and_not1_b32 s37, s38, exec_lo
	s_mov_b32 s18, exec_lo
	s_and_not1_b32 s36, s36, exec_lo
	s_and_not1_b32 s35, s35, exec_lo
	s_and_b32 s38, vcc_lo, exec_lo
	s_and_not1_b32 s19, s19, exec_lo
	s_or_b32 s38, s37, s38
; %bb.49:                               ;   in Loop: Header=BB57_3 Depth=1
	s_or_b32 exec_lo, exec_lo, s2
	s_mov_b32 s37, 0
	s_mov_b32 s2, s36
	s_and_saveexec_b32 s39, s38
	s_cbranch_execnz .LBB57_52
; %bb.50:                               ;   in Loop: Header=BB57_3 Depth=1
	s_or_b32 exec_lo, exec_lo, s39
	s_and_saveexec_b32 s1, s18
	s_cbranch_execnz .LBB57_55
.LBB57_51:                              ;   in Loop: Header=BB57_3 Depth=1
	s_or_b32 exec_lo, exec_lo, s1
	s_and_saveexec_b32 s18, s37
	s_cbranch_execnz .LBB57_56
	s_branch .LBB57_59
.LBB57_52:                              ;   in Loop: Header=BB57_3 Depth=1
	v_cmp_le_f32_e32 vcc_lo, 0, v30
	v_cmp_ge_f32_e64 s2, 1.0, v30
	s_delay_alu instid0(VALU_DEP_1) | instskip(NEXT) | instid1(SALU_CYCLE_1)
	s_and_b32 s2, vcc_lo, s2
	s_and_saveexec_b32 s38, s2
	s_delay_alu instid0(SALU_CYCLE_1)
	s_xor_b32 s2, exec_lo, s38
	s_cbranch_execz .LBB57_54
; %bb.53:                               ;   in Loop: Header=BB57_3 Depth=1
	v_cndmask_b32_e64 v3, 0, v28, s1
	v_cvt_f32_u32_e32 v8, v6
	s_mov_b32 s37, exec_lo
	s_delay_alu instid0(VALU_DEP_2) | instskip(NEXT) | instid1(VALU_DEP_2)
	v_lshlrev_b64 v[6:7], 1, v[3:4]
	v_fmaak_f32 v3, 0x2f800000, v8, 0x2f800000
	s_delay_alu instid0(VALU_DEP_2) | instskip(NEXT) | instid1(VALU_DEP_3)
	v_add_co_u32 v6, vcc_lo, s10, v6
	v_add_co_ci_u32_e32 v7, vcc_lo, s11, v7, vcc_lo
	s_delay_alu instid0(VALU_DEP_3)
	v_cmp_le_f32_e32 vcc_lo, v3, v30
	v_cndmask_b32_e64 v3, 0, 1, vcc_lo
	global_store_b16 v[6:7], v3, off
.LBB57_54:                              ;   in Loop: Header=BB57_3 Depth=1
	s_or_b32 exec_lo, exec_lo, s2
	s_delay_alu instid0(SALU_CYCLE_1)
	s_and_not1_b32 s2, s36, exec_lo
	s_or_b32 s36, s36, exec_lo
	s_and_not1_b32 s35, s35, exec_lo
	s_and_not1_b32 s19, s19, exec_lo
	s_and_b32 s37, s37, exec_lo
	s_and_not1_b32 s18, s18, exec_lo
	s_or_b32 exec_lo, exec_lo, s39
	s_and_saveexec_b32 s1, s18
	s_cbranch_execz .LBB57_51
.LBB57_55:                              ;   in Loop: Header=BB57_3 Depth=1
	v_cmp_eq_u32_e32 vcc_lo, 1, v10
	s_and_not1_b32 s18, s37, exec_lo
	s_and_not1_b32 s2, s2, exec_lo
	;; [unrolled: 1-line block ×4, first 2 shown]
	s_and_b32 s37, vcc_lo, exec_lo
	s_and_not1_b32 s19, s19, exec_lo
	s_or_b32 s3, s3, exec_lo
	s_or_b32 s37, s18, s37
	s_or_b32 exec_lo, exec_lo, s1
	s_and_saveexec_b32 s18, s37
	s_cbranch_execz .LBB57_59
.LBB57_56:                              ;   in Loop: Header=BB57_3 Depth=1
	v_cmp_le_f32_e32 vcc_lo, 0, v0
	v_cmp_ge_f32_e64 s1, 1.0, v0
	s_delay_alu instid0(VALU_DEP_1)
	s_and_b32 s38, vcc_lo, s1
	s_mov_b32 s1, 0
	s_and_saveexec_b32 s37, s38
	s_cbranch_execz .LBB57_58
; %bb.57:                               ;   in Loop: Header=BB57_3 Depth=1
	v_cndmask_b32_e64 v3, 0, v26, s0
	v_cvt_f32_u32_e32 v7, v5
	s_mov_b32 s1, exec_lo
	s_delay_alu instid0(VALU_DEP_2) | instskip(NEXT) | instid1(VALU_DEP_2)
	v_lshlrev_b64 v[5:6], 1, v[3:4]
	v_fmaak_f32 v3, 0x2f800000, v7, 0x2f800000
	s_delay_alu instid0(VALU_DEP_2) | instskip(NEXT) | instid1(VALU_DEP_3)
	v_add_co_u32 v5, vcc_lo, s10, v5
	v_add_co_ci_u32_e32 v6, vcc_lo, s11, v6, vcc_lo
	s_delay_alu instid0(VALU_DEP_3)
	v_cmp_le_f32_e32 vcc_lo, v3, v0
	v_cndmask_b32_e64 v0, 0, 1, vcc_lo
	global_store_b16 v[5:6], v0, off
.LBB57_58:                              ;   in Loop: Header=BB57_3 Depth=1
	s_or_b32 exec_lo, exec_lo, s37
	s_delay_alu instid0(SALU_CYCLE_1)
	s_and_not1_b32 s0, s3, exec_lo
	s_and_b32 s1, s1, exec_lo
	s_or_b32 s2, s2, exec_lo
	s_and_not1_b32 s36, s36, exec_lo
	s_and_not1_b32 s35, s35, exec_lo
	s_and_not1_b32 s19, s19, exec_lo
	s_or_b32 s3, s0, s1
.LBB57_59:                              ;   in Loop: Header=BB57_3 Depth=1
	s_or_b32 exec_lo, exec_lo, s18
	s_delay_alu instid0(SALU_CYCLE_1)
	s_and_not1_b32 s1, s34, exec_lo
	s_and_b32 s2, s2, exec_lo
	s_and_not1_b32 s18, s31, exec_lo
	s_and_b32 s31, s36, exec_lo
	s_or_b32 s34, s1, s2
	s_or_b32 s31, s18, s31
	s_and_not1_b32 s1, s33, exec_lo
	s_and_b32 s2, s35, exec_lo
	s_and_not1_b32 s18, s30, exec_lo
	s_and_b32 s19, s19, exec_lo
	s_mov_b32 s0, -1
	s_or_b32 s33, s1, s2
	s_or_b32 s30, s18, s19
	s_and_saveexec_b32 s1, s3
	s_cbranch_execz .LBB57_2
; %bb.60:                               ;   in Loop: Header=BB57_3 Depth=1
	v_add_nc_u32_e32 v24, s25, v24
	s_and_not1_b32 s34, s34, exec_lo
	s_and_not1_b32 s31, s31, exec_lo
	;; [unrolled: 1-line block ×4, first 2 shown]
	v_cmp_le_u32_e32 vcc_lo, s20, v24
	s_or_not1_b32 s0, vcc_lo, exec_lo
	s_branch .LBB57_2
.LBB57_61:
	s_or_b32 exec_lo, exec_lo, s15
	s_xor_b32 s3, s28, -1
	s_xor_b32 s4, s29, -1
	;; [unrolled: 1-line block ×3, first 2 shown]
	s_mov_b32 s1, 0
	s_and_saveexec_b32 s2, s0
	s_delay_alu instid0(SALU_CYCLE_1)
	s_xor_b32 s0, exec_lo, s2
	s_cbranch_execz .LBB57_70
; %bb.62:
	s_mov_b32 s2, 0
	s_and_saveexec_b32 s1, s4
	s_delay_alu instid0(SALU_CYCLE_1)
	s_xor_b32 s1, exec_lo, s1
	s_cbranch_execz .LBB57_68
; %bb.63:
	s_and_saveexec_b32 s4, s3
	s_delay_alu instid0(SALU_CYCLE_1)
	s_xor_b32 s3, exec_lo, s4
	s_cbranch_execz .LBB57_66
; %bb.64:
	s_and_saveexec_b32 s4, s14
	s_delay_alu instid0(SALU_CYCLE_1)
	s_xor_b32 s4, exec_lo, s4
	s_cbranch_execnz .LBB57_84
.LBB57_65:
	s_or_b32 exec_lo, exec_lo, s4
	s_delay_alu instid0(SALU_CYCLE_1)
	s_and_b32 s2, s2, exec_lo
.LBB57_66:
	s_and_not1_saveexec_b32 s3, s3
	s_cbranch_execnz .LBB57_80
.LBB57_67:
	s_or_b32 exec_lo, exec_lo, s3
	s_delay_alu instid0(SALU_CYCLE_1)
	s_and_b32 s2, s2, exec_lo
.LBB57_68:
	s_and_not1_saveexec_b32 s1, s1
	s_cbranch_execnz .LBB57_76
.LBB57_69:
	s_or_b32 exec_lo, exec_lo, s1
	s_delay_alu instid0(SALU_CYCLE_1)
	s_and_b32 s1, s2, exec_lo
.LBB57_70:
	s_and_not1_saveexec_b32 s0, s0
	s_cbranch_execnz .LBB57_74
; %bb.71:
	s_or_b32 exec_lo, exec_lo, s0
	s_delay_alu instid0(SALU_CYCLE_1)
	s_and_b32 exec_lo, exec_lo, s1
.LBB57_72:
	; divergent unreachable
.LBB57_73:
	s_nop 0
	s_sendmsg sendmsg(MSG_DEALLOC_VGPRS)
	s_endpgm
.LBB57_74:
	s_cbranch_execnz .LBB57_78
; %bb.75:
	s_or_b32 s1, s1, exec_lo
	s_or_b32 exec_lo, exec_lo, s0
	s_delay_alu instid0(SALU_CYCLE_1)
	s_and_b32 exec_lo, exec_lo, s1
	s_cbranch_execnz .LBB57_72
	s_branch .LBB57_73
.LBB57_76:
	s_cbranch_execnz .LBB57_82
; %bb.77:
	s_or_b32 s2, s2, exec_lo
	s_branch .LBB57_69
.LBB57_78:
	s_trap 2
	s_sendmsg_rtn_b32 s0, sendmsg(MSG_RTN_GET_DOORBELL)
	s_mov_b32 ttmp2, m0
	s_waitcnt lgkmcnt(0)
	s_and_b32 s0, s0, 0x3ff
	s_delay_alu instid0(SALU_CYCLE_1) | instskip(NEXT) | instid1(SALU_CYCLE_1)
	s_bitset1_b32 s0, 10
	s_mov_b32 m0, s0
	s_sendmsg sendmsg(MSG_INTERRUPT)
	s_mov_b32 m0, ttmp2
.LBB57_79:                              ; =>This Inner Loop Header: Depth=1
	s_sethalt 5
	s_branch .LBB57_79
.LBB57_80:
	s_cbranch_execnz .LBB57_86
; %bb.81:
	s_or_b32 s2, s2, exec_lo
	s_branch .LBB57_67
.LBB57_82:
	s_trap 2
	s_sendmsg_rtn_b32 s0, sendmsg(MSG_RTN_GET_DOORBELL)
	s_mov_b32 ttmp2, m0
	s_waitcnt lgkmcnt(0)
	s_and_b32 s0, s0, 0x3ff
	s_delay_alu instid0(SALU_CYCLE_1) | instskip(NEXT) | instid1(SALU_CYCLE_1)
	s_bitset1_b32 s0, 10
	s_mov_b32 m0, s0
	s_sendmsg sendmsg(MSG_INTERRUPT)
	s_mov_b32 m0, ttmp2
.LBB57_83:                              ; =>This Inner Loop Header: Depth=1
	s_sethalt 5
	s_branch .LBB57_83
.LBB57_84:
	s_cbranch_execnz .LBB57_88
; %bb.85:
	s_mov_b32 s2, exec_lo
	s_branch .LBB57_65
.LBB57_86:
	s_trap 2
	s_sendmsg_rtn_b32 s0, sendmsg(MSG_RTN_GET_DOORBELL)
	s_mov_b32 ttmp2, m0
	s_waitcnt lgkmcnt(0)
	s_and_b32 s0, s0, 0x3ff
	s_delay_alu instid0(SALU_CYCLE_1) | instskip(NEXT) | instid1(SALU_CYCLE_1)
	s_bitset1_b32 s0, 10
	s_mov_b32 m0, s0
	s_sendmsg sendmsg(MSG_INTERRUPT)
	s_mov_b32 m0, ttmp2
.LBB57_87:                              ; =>This Inner Loop Header: Depth=1
	s_sethalt 5
	s_branch .LBB57_87
.LBB57_88:
	s_trap 2
	s_sendmsg_rtn_b32 s0, sendmsg(MSG_RTN_GET_DOORBELL)
	s_mov_b32 ttmp2, m0
	s_waitcnt lgkmcnt(0)
	s_and_b32 s0, s0, 0x3ff
	s_delay_alu instid0(SALU_CYCLE_1) | instskip(NEXT) | instid1(SALU_CYCLE_1)
	s_bitset1_b32 s0, 10
	s_mov_b32 m0, s0
	s_sendmsg sendmsg(MSG_INTERRUPT)
	s_mov_b32 m0, ttmp2
.LBB57_89:                              ; =>This Inner Loop Header: Depth=1
	s_sethalt 5
	s_branch .LBB57_89
	.section	.rodata,"a",@progbits
	.p2align	6, 0x0
	.amdhsa_kernel _ZN2at4cuda12_GLOBAL__N_121kernelPointwiseApply2IZNS_6native9templates4cuda28bernoulli_tensor_cuda_kernelIsfEEvRKNS_10TensorBaseES9_NS_15PhiloxCudaStateEEUliRsSB_SB_SB_RKfSD_SD_SD_E_sSC_jLi1ELin1ELi4ELi512ELi2EEEvNS0_6detail10TensorInfoIT0_T2_EENSG_IT1_SI_EESI_T_
		.amdhsa_group_segment_fixed_size 0
		.amdhsa_private_segment_fixed_size 0
		.amdhsa_kernarg_size 728
		.amdhsa_user_sgpr_count 15
		.amdhsa_user_sgpr_dispatch_ptr 0
		.amdhsa_user_sgpr_queue_ptr 0
		.amdhsa_user_sgpr_kernarg_segment_ptr 1
		.amdhsa_user_sgpr_dispatch_id 0
		.amdhsa_user_sgpr_private_segment_size 0
		.amdhsa_wavefront_size32 1
		.amdhsa_uses_dynamic_stack 0
		.amdhsa_enable_private_segment 0
		.amdhsa_system_sgpr_workgroup_id_x 1
		.amdhsa_system_sgpr_workgroup_id_y 0
		.amdhsa_system_sgpr_workgroup_id_z 0
		.amdhsa_system_sgpr_workgroup_info 0
		.amdhsa_system_vgpr_workitem_id 0
		.amdhsa_next_free_vgpr 39
		.amdhsa_next_free_sgpr 41
		.amdhsa_reserve_vcc 1
		.amdhsa_float_round_mode_32 0
		.amdhsa_float_round_mode_16_64 0
		.amdhsa_float_denorm_mode_32 3
		.amdhsa_float_denorm_mode_16_64 3
		.amdhsa_dx10_clamp 1
		.amdhsa_ieee_mode 1
		.amdhsa_fp16_overflow 0
		.amdhsa_workgroup_processor_mode 1
		.amdhsa_memory_ordered 1
		.amdhsa_forward_progress 0
		.amdhsa_shared_vgpr_count 0
		.amdhsa_exception_fp_ieee_invalid_op 0
		.amdhsa_exception_fp_denorm_src 0
		.amdhsa_exception_fp_ieee_div_zero 0
		.amdhsa_exception_fp_ieee_overflow 0
		.amdhsa_exception_fp_ieee_underflow 0
		.amdhsa_exception_fp_ieee_inexact 0
		.amdhsa_exception_int_div_zero 0
	.end_amdhsa_kernel
	.section	.text._ZN2at4cuda12_GLOBAL__N_121kernelPointwiseApply2IZNS_6native9templates4cuda28bernoulli_tensor_cuda_kernelIsfEEvRKNS_10TensorBaseES9_NS_15PhiloxCudaStateEEUliRsSB_SB_SB_RKfSD_SD_SD_E_sSC_jLi1ELin1ELi4ELi512ELi2EEEvNS0_6detail10TensorInfoIT0_T2_EENSG_IT1_SI_EESI_T_,"axG",@progbits,_ZN2at4cuda12_GLOBAL__N_121kernelPointwiseApply2IZNS_6native9templates4cuda28bernoulli_tensor_cuda_kernelIsfEEvRKNS_10TensorBaseES9_NS_15PhiloxCudaStateEEUliRsSB_SB_SB_RKfSD_SD_SD_E_sSC_jLi1ELin1ELi4ELi512ELi2EEEvNS0_6detail10TensorInfoIT0_T2_EENSG_IT1_SI_EESI_T_,comdat
.Lfunc_end57:
	.size	_ZN2at4cuda12_GLOBAL__N_121kernelPointwiseApply2IZNS_6native9templates4cuda28bernoulli_tensor_cuda_kernelIsfEEvRKNS_10TensorBaseES9_NS_15PhiloxCudaStateEEUliRsSB_SB_SB_RKfSD_SD_SD_E_sSC_jLi1ELin1ELi4ELi512ELi2EEEvNS0_6detail10TensorInfoIT0_T2_EENSG_IT1_SI_EESI_T_, .Lfunc_end57-_ZN2at4cuda12_GLOBAL__N_121kernelPointwiseApply2IZNS_6native9templates4cuda28bernoulli_tensor_cuda_kernelIsfEEvRKNS_10TensorBaseES9_NS_15PhiloxCudaStateEEUliRsSB_SB_SB_RKfSD_SD_SD_E_sSC_jLi1ELin1ELi4ELi512ELi2EEEvNS0_6detail10TensorInfoIT0_T2_EENSG_IT1_SI_EESI_T_
                                        ; -- End function
	.section	.AMDGPU.csdata,"",@progbits
; Kernel info:
; codeLenInByte = 4272
; NumSgprs: 43
; NumVgprs: 39
; ScratchSize: 0
; MemoryBound: 0
; FloatMode: 240
; IeeeMode: 1
; LDSByteSize: 0 bytes/workgroup (compile time only)
; SGPRBlocks: 5
; VGPRBlocks: 4
; NumSGPRsForWavesPerEU: 43
; NumVGPRsForWavesPerEU: 39
; Occupancy: 16
; WaveLimiterHint : 1
; COMPUTE_PGM_RSRC2:SCRATCH_EN: 0
; COMPUTE_PGM_RSRC2:USER_SGPR: 15
; COMPUTE_PGM_RSRC2:TRAP_HANDLER: 0
; COMPUTE_PGM_RSRC2:TGID_X_EN: 1
; COMPUTE_PGM_RSRC2:TGID_Y_EN: 0
; COMPUTE_PGM_RSRC2:TGID_Z_EN: 0
; COMPUTE_PGM_RSRC2:TIDIG_COMP_CNT: 0
	.section	.text._ZN2at4cuda12_GLOBAL__N_121kernelPointwiseApply2IZNS_6native9templates4cuda28bernoulli_tensor_cuda_kernelIsfEEvRKNS_10TensorBaseES9_NS_15PhiloxCudaStateEEUliRsSB_SB_SB_RKfSD_SD_SD_E_sSC_jLi2ELi1ELi4ELi512ELi2EEEvNS0_6detail10TensorInfoIT0_T2_EENSG_IT1_SI_EESI_T_,"axG",@progbits,_ZN2at4cuda12_GLOBAL__N_121kernelPointwiseApply2IZNS_6native9templates4cuda28bernoulli_tensor_cuda_kernelIsfEEvRKNS_10TensorBaseES9_NS_15PhiloxCudaStateEEUliRsSB_SB_SB_RKfSD_SD_SD_E_sSC_jLi2ELi1ELi4ELi512ELi2EEEvNS0_6detail10TensorInfoIT0_T2_EENSG_IT1_SI_EESI_T_,comdat
	.globl	_ZN2at4cuda12_GLOBAL__N_121kernelPointwiseApply2IZNS_6native9templates4cuda28bernoulli_tensor_cuda_kernelIsfEEvRKNS_10TensorBaseES9_NS_15PhiloxCudaStateEEUliRsSB_SB_SB_RKfSD_SD_SD_E_sSC_jLi2ELi1ELi4ELi512ELi2EEEvNS0_6detail10TensorInfoIT0_T2_EENSG_IT1_SI_EESI_T_ ; -- Begin function _ZN2at4cuda12_GLOBAL__N_121kernelPointwiseApply2IZNS_6native9templates4cuda28bernoulli_tensor_cuda_kernelIsfEEvRKNS_10TensorBaseES9_NS_15PhiloxCudaStateEEUliRsSB_SB_SB_RKfSD_SD_SD_E_sSC_jLi2ELi1ELi4ELi512ELi2EEEvNS0_6detail10TensorInfoIT0_T2_EENSG_IT1_SI_EESI_T_
	.p2align	8
	.type	_ZN2at4cuda12_GLOBAL__N_121kernelPointwiseApply2IZNS_6native9templates4cuda28bernoulli_tensor_cuda_kernelIsfEEvRKNS_10TensorBaseES9_NS_15PhiloxCudaStateEEUliRsSB_SB_SB_RKfSD_SD_SD_E_sSC_jLi2ELi1ELi4ELi512ELi2EEEvNS0_6detail10TensorInfoIT0_T2_EENSG_IT1_SI_EESI_T_,@function
_ZN2at4cuda12_GLOBAL__N_121kernelPointwiseApply2IZNS_6native9templates4cuda28bernoulli_tensor_cuda_kernelIsfEEvRKNS_10TensorBaseES9_NS_15PhiloxCudaStateEEUliRsSB_SB_SB_RKfSD_SD_SD_E_sSC_jLi2ELi1ELi4ELi512ELi2EEEvNS0_6detail10TensorInfoIT0_T2_EENSG_IT1_SI_EESI_T_: ; @_ZN2at4cuda12_GLOBAL__N_121kernelPointwiseApply2IZNS_6native9templates4cuda28bernoulli_tensor_cuda_kernelIsfEEvRKNS_10TensorBaseES9_NS_15PhiloxCudaStateEEUliRsSB_SB_SB_RKfSD_SD_SD_E_sSC_jLi2ELi1ELi4ELi512ELi2EEEvNS0_6detail10TensorInfoIT0_T2_EENSG_IT1_SI_EESI_T_
; %bb.0:
	s_clause 0x1
	s_load_b32 s4, s[0:1], 0x1e4
	s_load_b32 s16, s[0:1], 0x1b0
	s_add_u32 s2, s0, 0x1d8
	s_addc_u32 s3, s1, 0
	s_waitcnt lgkmcnt(0)
	s_and_b32 s20, s4, 0xffff
	s_mov_b32 s4, exec_lo
	v_mad_u64_u32 v[1:2], null, s15, s20, v[0:1]
	s_delay_alu instid0(VALU_DEP_1) | instskip(NEXT) | instid1(VALU_DEP_1)
	v_lshlrev_b32_e32 v0, 2, v1
	v_cmpx_gt_u32_e64 s16, v0
	s_cbranch_execz .LBB58_59
; %bb.1:
	s_clause 0x4
	s_load_b32 s17, s[0:1], 0xc
	s_load_b64 s[8:9], s[0:1], 0x6c
	s_load_b64 s[10:11], s[0:1], 0xd8
	s_load_b32 s4, s[0:1], 0x1d0
	s_load_b32 s23, s[0:1], 0x144
	;; [unrolled: 1-line block ×3, first 2 shown]
	s_clause 0x1
	s_load_b64 s[12:13], s[0:1], 0x0
	s_load_b64 s[14:15], s[0:1], 0x1c8
	v_add_nc_u32_e32 v8, 3, v0
	v_sub_nc_u32_e32 v31, s16, v0
	s_mov_b32 s22, 0
	s_mov_b32 s25, 0
                                        ; implicit-def: $sgpr24
                                        ; implicit-def: $sgpr27
                                        ; implicit-def: $sgpr26
                                        ; implicit-def: $sgpr28
                                        ; implicit-def: $sgpr30
                                        ; implicit-def: $sgpr29
                                        ; implicit-def: $sgpr31
	v_add_nc_u32_e32 v7, 2, v0
	s_waitcnt lgkmcnt(0)
	v_cvt_f32_u32_e32 v2, s17
	s_bitcmp1_b32 s4, 0
	s_load_b128 s[4:7], s[0:1], 0x1b8
	s_delay_alu instid0(VALU_DEP_1)
	v_rcp_iflag_f32_e32 v2, v2
	s_cselect_b32 s18, -1, 0
	s_sub_i32 s19, 0, s17
	v_mul_lo_u32 v30, v0, s23
	v_mul_lo_u32 v34, s23, v8
	s_mul_i32 s2, s2, s20
	v_mov_b32_e32 v4, 0
	s_lshl_b32 s21, s2, 2
                                        ; implicit-def: $sgpr20
	v_mul_lo_u32 v33, s23, v7
	s_waitcnt_depctr 0xfff
	v_mul_f32_e32 v2, 0x4f7ffffe, v2
	v_add_nc_u32_e32 v35, s23, v30
	s_mul_i32 s23, s21, s23
	s_delay_alu instid0(VALU_DEP_2) | instskip(SKIP_1) | instid1(VALU_DEP_2)
	v_cvt_u32_f32_e32 v5, v2
	v_mad_u64_u32 v[2:3], null, 0xcd9e8d57, v1, 0
	v_mul_lo_u32 v6, s19, v5
	s_delay_alu instid0(VALU_DEP_2) | instskip(NEXT) | instid1(VALU_DEP_2)
	v_mov_b32_e32 v32, v3
	v_mul_hi_u32 v6, v5, v6
	s_delay_alu instid0(VALU_DEP_1)
	v_add_nc_u32_e32 v36, v5, v6
	s_branch .LBB58_3
.LBB58_2:                               ;   in Loop: Header=BB58_3 Depth=1
	s_or_b32 exec_lo, exec_lo, s1
	s_delay_alu instid0(SALU_CYCLE_1) | instskip(NEXT) | instid1(SALU_CYCLE_1)
	s_and_b32 s0, exec_lo, s0
	s_or_b32 s22, s0, s22
	s_and_not1_b32 s0, s20, exec_lo
	s_and_b32 s1, s31, exec_lo
	s_and_not1_b32 s2, s26, exec_lo
	s_and_b32 s3, s29, exec_lo
	s_or_b32 s20, s0, s1
	s_or_b32 s26, s2, s3
	s_and_not1_b32 s0, s27, exec_lo
	s_and_b32 s1, s30, exec_lo
	s_and_not1_b32 s2, s24, exec_lo
	s_and_b32 s3, s28, exec_lo
	s_or_b32 s27, s0, s1
	s_or_b32 s24, s2, s3
	s_and_not1_b32 exec_lo, exec_lo, s22
	s_cbranch_execz .LBB58_47
.LBB58_3:                               ; =>This Inner Loop Header: Depth=1
	v_mov_b32_e32 v7, 0
	v_mov_b32_e32 v8, 0
	v_cmp_lt_i32_e32 vcc_lo, 0, v31
	s_delay_alu instid0(VALU_DEP_2)
	v_dual_mov_b32 v5, v7 :: v_dual_mov_b32 v6, v8
	s_and_saveexec_b32 s1, vcc_lo
	s_cbranch_execz .LBB58_5
; %bb.4:                                ;   in Loop: Header=BB58_3 Depth=1
	v_mul_hi_u32 v3, v36, v0
	s_delay_alu instid0(VALU_DEP_1) | instskip(SKIP_2) | instid1(VALU_DEP_3)
	v_not_b32_e32 v11, v3
	v_mad_u64_u32 v[5:6], null, s19, v3, v[0:1]
	v_add_nc_u32_e32 v6, 1, v3
	v_mad_u64_u32 v[9:10], null, s17, v11, v[0:1]
	s_delay_alu instid0(VALU_DEP_3) | instskip(NEXT) | instid1(VALU_DEP_1)
	v_cmp_le_u32_e64 s0, s17, v5
	v_cndmask_b32_e64 v3, v3, v6, s0
	s_delay_alu instid0(VALU_DEP_3) | instskip(NEXT) | instid1(VALU_DEP_2)
	v_cndmask_b32_e64 v5, v5, v9, s0
	v_add_nc_u32_e32 v6, 1, v3
	s_delay_alu instid0(VALU_DEP_2) | instskip(NEXT) | instid1(VALU_DEP_1)
	v_cmp_le_u32_e64 s0, s17, v5
	v_cndmask_b32_e64 v9, v3, v6, s0
	s_delay_alu instid0(VALU_DEP_1) | instskip(NEXT) | instid1(VALU_DEP_1)
	v_mad_u64_u32 v[5:6], null, s19, v9, v[0:1]
	v_mul_lo_u32 v3, v5, s9
	s_delay_alu instid0(VALU_DEP_1)
	v_mad_u64_u32 v[5:6], null, v9, s8, v[3:4]
	v_mov_b32_e32 v6, v4
.LBB58_5:                               ;   in Loop: Header=BB58_3 Depth=1
	s_or_b32 exec_lo, exec_lo, s1
	v_cmp_lt_i32_e64 s0, 1, v31
	s_delay_alu instid0(VALU_DEP_1)
	s_and_saveexec_b32 s2, s0
	s_cbranch_execz .LBB58_7
; %bb.6:                                ;   in Loop: Header=BB58_3 Depth=1
	v_add_nc_u32_e32 v3, 1, v0
	s_delay_alu instid0(VALU_DEP_1) | instskip(NEXT) | instid1(VALU_DEP_1)
	v_mul_hi_u32 v7, v3, v36
	v_mul_lo_u32 v8, v7, s17
	v_add_nc_u32_e32 v9, 1, v7
	s_delay_alu instid0(VALU_DEP_2) | instskip(NEXT) | instid1(VALU_DEP_1)
	v_sub_nc_u32_e32 v8, v3, v8
	v_subrev_nc_u32_e32 v10, s17, v8
	v_cmp_le_u32_e64 s1, s17, v8
	s_delay_alu instid0(VALU_DEP_1) | instskip(NEXT) | instid1(VALU_DEP_3)
	v_cndmask_b32_e64 v7, v7, v9, s1
	v_cndmask_b32_e64 v8, v8, v10, s1
	s_delay_alu instid0(VALU_DEP_2) | instskip(NEXT) | instid1(VALU_DEP_2)
	v_add_nc_u32_e32 v9, 1, v7
	v_cmp_le_u32_e64 s1, s17, v8
	s_delay_alu instid0(VALU_DEP_1) | instskip(NEXT) | instid1(VALU_DEP_1)
	v_cndmask_b32_e64 v9, v7, v9, s1
	v_mul_lo_u32 v7, v9, s17
	s_delay_alu instid0(VALU_DEP_1) | instskip(NEXT) | instid1(VALU_DEP_1)
	v_sub_nc_u32_e32 v3, v3, v7
	v_mul_lo_u32 v3, v3, s9
	s_delay_alu instid0(VALU_DEP_1)
	v_mad_u64_u32 v[7:8], null, v9, s8, v[3:4]
	v_mov_b32_e32 v8, v4
.LBB58_7:                               ;   in Loop: Header=BB58_3 Depth=1
	s_or_b32 exec_lo, exec_lo, s2
	v_mov_b32_e32 v11, 0
	v_mov_b32_e32 v12, 0
	v_cmp_lt_i32_e64 s1, 2, v31
	s_delay_alu instid0(VALU_DEP_2) | instskip(NEXT) | instid1(VALU_DEP_2)
	v_dual_mov_b32 v9, v11 :: v_dual_mov_b32 v10, v12
	s_and_saveexec_b32 s3, s1
	s_cbranch_execz .LBB58_9
; %bb.8:                                ;   in Loop: Header=BB58_3 Depth=1
	v_add_nc_u32_e32 v3, 2, v0
	s_delay_alu instid0(VALU_DEP_1) | instskip(NEXT) | instid1(VALU_DEP_1)
	v_mul_hi_u32 v9, v3, v36
	v_mul_lo_u32 v10, v9, s17
	v_add_nc_u32_e32 v13, 1, v9
	s_delay_alu instid0(VALU_DEP_2) | instskip(NEXT) | instid1(VALU_DEP_1)
	v_sub_nc_u32_e32 v10, v3, v10
	v_subrev_nc_u32_e32 v14, s17, v10
	v_cmp_le_u32_e64 s2, s17, v10
	s_delay_alu instid0(VALU_DEP_1) | instskip(NEXT) | instid1(VALU_DEP_3)
	v_cndmask_b32_e64 v9, v9, v13, s2
	v_cndmask_b32_e64 v10, v10, v14, s2
	s_delay_alu instid0(VALU_DEP_2) | instskip(NEXT) | instid1(VALU_DEP_2)
	v_add_nc_u32_e32 v13, 1, v9
	v_cmp_le_u32_e64 s2, s17, v10
	s_delay_alu instid0(VALU_DEP_1) | instskip(NEXT) | instid1(VALU_DEP_1)
	v_cndmask_b32_e64 v13, v9, v13, s2
	v_mul_lo_u32 v9, v13, s17
	s_delay_alu instid0(VALU_DEP_1) | instskip(NEXT) | instid1(VALU_DEP_1)
	v_sub_nc_u32_e32 v3, v3, v9
	v_mul_lo_u32 v3, v3, s9
	s_delay_alu instid0(VALU_DEP_1)
	v_mad_u64_u32 v[9:10], null, v13, s8, v[3:4]
	v_mov_b32_e32 v10, v4
.LBB58_9:                               ;   in Loop: Header=BB58_3 Depth=1
	s_or_b32 exec_lo, exec_lo, s3
	v_cmp_lt_i32_e64 s2, 3, v31
	s_delay_alu instid0(VALU_DEP_1)
	s_and_saveexec_b32 s33, s2
	s_cbranch_execz .LBB58_11
; %bb.10:                               ;   in Loop: Header=BB58_3 Depth=1
	v_add_nc_u32_e32 v3, 3, v0
	s_delay_alu instid0(VALU_DEP_1) | instskip(NEXT) | instid1(VALU_DEP_1)
	v_mul_hi_u32 v11, v3, v36
	v_mul_lo_u32 v12, v11, s17
	v_add_nc_u32_e32 v13, 1, v11
	s_delay_alu instid0(VALU_DEP_2) | instskip(NEXT) | instid1(VALU_DEP_1)
	v_sub_nc_u32_e32 v12, v3, v12
	v_subrev_nc_u32_e32 v14, s17, v12
	v_cmp_le_u32_e64 s3, s17, v12
	s_delay_alu instid0(VALU_DEP_1) | instskip(NEXT) | instid1(VALU_DEP_3)
	v_cndmask_b32_e64 v11, v11, v13, s3
	v_cndmask_b32_e64 v12, v12, v14, s3
	s_delay_alu instid0(VALU_DEP_2) | instskip(NEXT) | instid1(VALU_DEP_2)
	v_add_nc_u32_e32 v13, 1, v11
	v_cmp_le_u32_e64 s3, s17, v12
	s_delay_alu instid0(VALU_DEP_1) | instskip(NEXT) | instid1(VALU_DEP_1)
	v_cndmask_b32_e64 v13, v11, v13, s3
	v_mul_lo_u32 v11, v13, s17
	s_delay_alu instid0(VALU_DEP_1) | instskip(NEXT) | instid1(VALU_DEP_1)
	v_sub_nc_u32_e32 v3, v3, v11
	v_mul_lo_u32 v3, v3, s9
	s_delay_alu instid0(VALU_DEP_1)
	v_mad_u64_u32 v[11:12], null, v13, s8, v[3:4]
	v_mov_b32_e32 v12, v4
.LBB58_11:                              ;   in Loop: Header=BB58_3 Depth=1
	s_or_b32 exec_lo, exec_lo, s33
	v_add_nc_u32_e32 v3, s25, v30
	v_add_nc_u32_e32 v15, s25, v35
	;; [unrolled: 1-line block ×4, first 2 shown]
	s_delay_alu instid0(VALU_DEP_4) | instskip(NEXT) | instid1(VALU_DEP_1)
	v_cndmask_b32_e32 v3, 0, v3, vcc_lo
	v_lshlrev_b64 v[13:14], 2, v[3:4]
	v_cndmask_b32_e64 v3, 0, v15, s0
	s_delay_alu instid0(VALU_DEP_1) | instskip(SKIP_1) | instid1(VALU_DEP_4)
	v_lshlrev_b64 v[15:16], 2, v[3:4]
	v_cndmask_b32_e64 v3, 0, v17, s1
	v_add_co_u32 v13, vcc_lo, s10, v13
	v_add_co_ci_u32_e32 v14, vcc_lo, s11, v14, vcc_lo
	s_delay_alu instid0(VALU_DEP_3) | instskip(SKIP_3) | instid1(VALU_DEP_3)
	v_lshlrev_b64 v[17:18], 2, v[3:4]
	v_cndmask_b32_e64 v3, 0, v19, s2
	v_add_co_u32 v15, vcc_lo, s10, v15
	v_add_co_ci_u32_e32 v16, vcc_lo, s11, v16, vcc_lo
	v_lshlrev_b64 v[19:20], 2, v[3:4]
	v_add_co_u32 v17, vcc_lo, s10, v17
	v_add_co_ci_u32_e32 v18, vcc_lo, s11, v18, vcc_lo
	s_delay_alu instid0(VALU_DEP_3) | instskip(NEXT) | instid1(VALU_DEP_4)
	v_add_co_u32 v19, vcc_lo, s10, v19
	v_add_co_ci_u32_e32 v20, vcc_lo, s11, v20, vcc_lo
	s_clause 0x3
	global_load_b32 v3, v[13:14], off
	global_load_b32 v37, v[15:16], off
	;; [unrolled: 1-line block ×4, first 2 shown]
	s_waitcnt lgkmcnt(0)
	v_mov_b32_e32 v20, s5
	v_dual_mov_b32 v18, s7 :: v_dual_mov_b32 v17, s6
	v_mov_b32_e32 v19, s4
	s_and_not1_b32 vcc_lo, exec_lo, s18
	s_cbranch_vccnz .LBB58_13
; %bb.12:                               ;   in Loop: Header=BB58_3 Depth=1
	v_dual_mov_b32 v14, s7 :: v_dual_mov_b32 v13, s6
	v_dual_mov_b32 v16, s5 :: v_dual_mov_b32 v15, s4
	flat_load_b64 v[13:14], v[13:14]
	flat_load_b64 v[19:20], v[15:16]
	s_waitcnt vmcnt(1) lgkmcnt(1)
	v_add_co_u32 v17, vcc_lo, v13, s14
	v_add_co_ci_u32_e32 v18, vcc_lo, s15, v14, vcc_lo
.LBB58_13:                              ;   in Loop: Header=BB58_3 Depth=1
	s_delay_alu instid0(VALU_DEP_1)
	v_alignbit_b32 v16, v18, v17, 2
	v_lshrrev_b32_e32 v15, 2, v18
	s_waitcnt vmcnt(0) lgkmcnt(0)
	v_add_nc_u32_e32 v41, 0xbb67ae85, v20
	v_add_nc_u32_e32 v42, 0x76cf5d0a, v20
	;; [unrolled: 1-line block ×3, first 2 shown]
	v_add_co_u32 v18, vcc_lo, v16, 1
	s_delay_alu instid0(VALU_DEP_1) | instskip(SKIP_4) | instid1(VALU_DEP_4)
	v_cndmask_b32_e64 v13, 0, 1, vcc_lo
	v_add_co_ci_u32_e32 v27, vcc_lo, 0, v15, vcc_lo
	v_xor3_b32 v23, v32, v19, v15
	v_add_nc_u32_e32 v44, 0x32370b8f, v20
	v_add_nc_u32_e32 v45, 0xed9eba14, v20
	v_cmp_eq_u32_e32 vcc_lo, 0, v27
	v_add_nc_u32_e32 v46, 0x1715609d, v19
	v_add_nc_u32_e32 v47, 0xa9066899, v20
	s_mov_b32 s0, exec_lo
	v_dual_cndmask_b32 v21, 0, v13 :: v_dual_add_nc_u32 v40, 0x9e3779b9, v19
	v_mad_u64_u32 v[13:14], null, 0xd2511f53, v18, 0
	s_delay_alu instid0(VALU_DEP_2) | instskip(NEXT) | instid1(VALU_DEP_2)
	v_add_nc_u32_e32 v18, v21, v1
	v_xor_b32_e32 v22, v14, v20
	s_delay_alu instid0(VALU_DEP_2) | instskip(SKIP_2) | instid1(VALU_DEP_1)
	v_cmp_eq_u32_e32 vcc_lo, 0, v18
	v_mad_u64_u32 v[14:15], null, 0xd2511f53, v16, 0
	v_cndmask_b32_e32 v21, 0, v21, vcc_lo
	v_xor_b32_e32 v16, v21, v22
	v_mad_u64_u32 v[21:22], null, 0xd2511f53, v23, 0
	v_mad_u64_u32 v[23:24], null, 0xcd9e8d57, v18, 0
	v_add_nc_u32_e32 v18, 0x3c6ef372, v19
	s_delay_alu instid0(VALU_DEP_4) | instskip(SKIP_2) | instid1(VALU_DEP_2)
	v_mad_u64_u32 v[25:26], null, 0xcd9e8d57, v16, 0
	v_xor_b32_e32 v16, v15, v20
	v_xor3_b32 v28, v41, v22, v14
	v_mad_u64_u32 v[14:15], null, 0xcd9e8d57, v16, 0
	v_xor3_b32 v16, v24, v19, v27
	v_xor3_b32 v24, v40, v26, v23
	s_delay_alu instid0(VALU_DEP_4) | instskip(NEXT) | instid1(VALU_DEP_3)
	v_mad_u64_u32 v[22:23], null, 0xcd9e8d57, v28, 0
	v_mad_u64_u32 v[26:27], null, 0xd2511f53, v16, 0
	s_delay_alu instid0(VALU_DEP_3) | instskip(SKIP_1) | instid1(VALU_DEP_4)
	v_mad_u64_u32 v[28:29], null, 0xd2511f53, v24, 0
	v_xor3_b32 v16, v2, v15, v40
	v_xor3_b32 v40, v18, v23, v14
	s_delay_alu instid0(VALU_DEP_4) | instskip(NEXT) | instid1(VALU_DEP_3)
	v_xor3_b32 v13, v41, v27, v13
	v_mad_u64_u32 v[14:15], null, 0xd2511f53, v16, 0
	v_xor3_b32 v16, v42, v29, v26
	s_delay_alu instid0(VALU_DEP_4) | instskip(NEXT) | instid1(VALU_DEP_4)
	v_mad_u64_u32 v[23:24], null, 0xd2511f53, v40, 0
	v_mad_u64_u32 v[26:27], null, 0xcd9e8d57, v13, 0
	s_delay_alu instid0(VALU_DEP_3) | instskip(SKIP_4) | instid1(VALU_DEP_4)
	v_mad_u64_u32 v[40:41], null, 0xcd9e8d57, v16, 0
	v_xor3_b32 v15, v42, v15, v21
	v_add_nc_u32_e32 v29, 0x78dde6e4, v19
	v_xor3_b32 v21, v44, v24, v14
	v_xor3_b32 v18, v18, v27, v25
	v_mad_u64_u32 v[13:14], null, 0xcd9e8d57, v15, 0
	v_xor3_b32 v41, v43, v41, v26
	s_delay_alu instid0(VALU_DEP_4) | instskip(NEXT) | instid1(VALU_DEP_4)
	v_mad_u64_u32 v[15:16], null, 0xcd9e8d57, v21, 0
	v_mad_u64_u32 v[24:25], null, 0xd2511f53, v18, 0
	s_delay_alu instid0(VALU_DEP_3) | instskip(SKIP_1) | instid1(VALU_DEP_4)
	v_mad_u64_u32 v[26:27], null, 0xd2511f53, v41, 0
	v_xor3_b32 v18, v43, v14, v22
	v_xor3_b32 v16, v29, v16, v13
	s_delay_alu instid0(VALU_DEP_2) | instskip(SKIP_2) | instid1(VALU_DEP_4)
	v_mad_u64_u32 v[13:14], null, 0xd2511f53, v18, 0
	v_xor3_b32 v18, v44, v25, v28
	v_xor3_b32 v24, v45, v27, v24
	v_mad_u64_u32 v[27:28], null, 0xd2511f53, v16, 0
	s_delay_alu instid0(VALU_DEP_3) | instskip(NEXT) | instid1(VALU_DEP_3)
	v_mad_u64_u32 v[21:22], null, 0xcd9e8d57, v18, 0
	v_mad_u64_u32 v[41:42], null, 0xcd9e8d57, v24, 0
	v_xor3_b32 v16, v45, v14, v23
	s_delay_alu instid0(VALU_DEP_4) | instskip(SKIP_2) | instid1(VALU_DEP_4)
	v_xor3_b32 v24, v47, v28, v13
	v_add_nc_u32_e32 v18, 0xb54cda56, v19
	v_add_nc_u32_e32 v23, 0x646e171e, v20
	v_mad_u64_u32 v[13:14], null, 0xcd9e8d57, v16, 0
	v_xor3_b32 v16, v29, v22, v40
	v_xor3_b32 v25, v46, v42, v21
	v_mad_u64_u32 v[42:43], null, 0xcd9e8d57, v24, 0
	v_add_nc_u32_e32 v29, 0x5384540f, v19
	s_delay_alu instid0(VALU_DEP_4) | instskip(NEXT) | instid1(VALU_DEP_4)
	v_mad_u64_u32 v[21:22], null, 0xd2511f53, v16, 0
	v_mad_u64_u32 v[44:45], null, 0xd2511f53, v25, 0
	v_xor3_b32 v15, v46, v14, v15
	v_xor3_b32 v16, v18, v43, v13
	v_add_nc_u32_e32 v46, 0x1fd5c5a3, v20
	v_add_co_u32 v40, null, 0xf1bbcdc8, v19
	v_xor3_b32 v24, v47, v22, v26
	v_xor3_b32 v26, v23, v45, v21
	v_mad_u64_u32 v[13:14], null, 0xd2511f53, v15, 0
	v_mad_u64_u32 v[21:22], null, 0xd2511f53, v16, 0
	s_delay_alu instid0(VALU_DEP_4) | instskip(NEXT) | instid1(VALU_DEP_4)
	v_mad_u64_u32 v[15:16], null, 0xcd9e8d57, v24, 0
	v_mad_u64_u32 v[24:25], null, 0xcd9e8d57, v26, 0
	s_delay_alu instid0(VALU_DEP_4) | instskip(NEXT) | instid1(VALU_DEP_4)
	v_xor3_b32 v23, v23, v14, v27
	v_xor3_b32 v26, v46, v22, v13
	s_delay_alu instid0(VALU_DEP_4) | instskip(NEXT) | instid1(VALU_DEP_3)
	v_xor3_b32 v18, v18, v16, v41
	v_mad_u64_u32 v[13:14], null, 0xcd9e8d57, v23, 0
	v_xor3_b32 v25, v29, v25, v15
	s_delay_alu instid0(VALU_DEP_4) | instskip(NEXT) | instid1(VALU_DEP_4)
	v_mad_u64_u32 v[22:23], null, 0xcd9e8d57, v26, 0
	v_mad_u64_u32 v[15:16], null, 0xd2511f53, v18, 0
	s_delay_alu instid0(VALU_DEP_3)
	v_mad_u64_u32 v[27:28], null, 0xd2511f53, v25, 0
	v_add_nc_u32_e32 v41, 0xdb3d7428, v20
	v_xor3_b32 v14, v29, v14, v42
	v_xor3_b32 v18, v40, v23, v13
	v_add_nc_u32_e32 v42, 0x96a522ad, v20
	v_xor3_b32 v16, v46, v16, v44
	v_and_b32_e32 v20, 3, v17
	v_xor3_b32 v23, v41, v28, v15
	v_mad_u64_u32 v[25:26], null, 0xd2511f53, v14, 0
	v_mad_u64_u32 v[13:14], null, 0xd2511f53, v18, 0
	;; [unrolled: 1-line block ×3, first 2 shown]
	s_delay_alu instid0(VALU_DEP_4) | instskip(SKIP_1) | instid1(VALU_DEP_4)
	v_mad_u64_u32 v[15:16], null, 0xcd9e8d57, v23, 0
	v_add_nc_u32_e32 v23, 0x8ff34781, v19
                                        ; implicit-def: $vgpr18
	v_xor3_b32 v19, v14, v25, v42
	s_delay_alu instid0(VALU_DEP_2)
	v_xor3_b32 v14, v16, v28, v23
	v_cmpx_lt_i32_e32 1, v20
	s_xor_b32 s0, exec_lo, s0
	s_cbranch_execz .LBB58_19
; %bb.14:                               ;   in Loop: Header=BB58_3 Depth=1
	s_mov_b32 s1, exec_lo
                                        ; implicit-def: $vgpr18
	v_cmpx_lt_i32_e32 2, v20
	s_xor_b32 s1, exec_lo, s1
; %bb.15:                               ;   in Loop: Header=BB58_3 Depth=1
	v_xor3_b32 v16, v40, v29, v24
                                        ; implicit-def: $vgpr19
	s_delay_alu instid0(VALU_DEP_1) | instskip(NEXT) | instid1(VALU_DEP_1)
	v_mul_hi_u32 v16, 0xd2511f53, v16
	v_xor3_b32 v18, v16, v27, v42
; %bb.16:                               ;   in Loop: Header=BB58_3 Depth=1
	s_and_not1_saveexec_b32 s1, s1
; %bb.17:                               ;   in Loop: Header=BB58_3 Depth=1
	v_dual_mov_b32 v18, v15 :: v_dual_mov_b32 v15, v14
	v_dual_mov_b32 v14, v13 :: v_dual_mov_b32 v13, v19
; %bb.18:                               ;   in Loop: Header=BB58_3 Depth=1
	s_or_b32 exec_lo, exec_lo, s1
                                        ; implicit-def: $vgpr21_vgpr22
                                        ; implicit-def: $vgpr20
                                        ; implicit-def: $vgpr19
                                        ; implicit-def: $vgpr41
                                        ; implicit-def: $vgpr25_vgpr26
                                        ; implicit-def: $vgpr22_vgpr23
                                        ; implicit-def: $vgpr23
.LBB58_19:                              ;   in Loop: Header=BB58_3 Depth=1
	s_and_not1_saveexec_b32 s0, s0
	s_cbranch_execz .LBB58_23
; %bb.20:                               ;   in Loop: Header=BB58_3 Depth=1
	v_xor3_b32 v15, v41, v26, v21
	v_cmp_eq_u32_e32 vcc_lo, 1, v20
	v_mov_b32_e32 v18, v13
	s_delay_alu instid0(VALU_DEP_3) | instskip(SKIP_1) | instid1(VALU_DEP_2)
	v_mad_u64_u32 v[16:17], null, 0xcd9e8d57, v15, 0
	v_mov_b32_e32 v15, v19
	v_xor3_b32 v20, v17, v22, v23
	s_delay_alu instid0(VALU_DEP_3)
	v_mov_b32_e32 v17, v16
	s_and_saveexec_b32 s1, vcc_lo
; %bb.21:                               ;   in Loop: Header=BB58_3 Depth=1
	v_dual_mov_b32 v18, v14 :: v_dual_mov_b32 v15, v13
	v_dual_mov_b32 v17, v19 :: v_dual_mov_b32 v20, v16
; %bb.22:                               ;   in Loop: Header=BB58_3 Depth=1
	s_or_b32 exec_lo, exec_lo, s1
	s_delay_alu instid0(VALU_DEP_1)
	v_dual_mov_b32 v13, v20 :: v_dual_mov_b32 v14, v17
.LBB58_23:                              ;   in Loop: Header=BB58_3 Depth=1
	s_or_b32 exec_lo, exec_lo, s0
	v_min_i32_e32 v16, 4, v31
	s_mov_b32 s1, 0
	s_mov_b32 s36, 0
                                        ; implicit-def: $sgpr2
                                        ; implicit-def: $sgpr3
                                        ; implicit-def: $sgpr33
	s_mov_b32 s0, exec_lo
	s_delay_alu instid0(VALU_DEP_1)
	v_cmpx_lt_i32_e32 2, v16
	s_xor_b32 s34, exec_lo, s0
	s_cbranch_execz .LBB58_33
; %bb.24:                               ;   in Loop: Header=BB58_3 Depth=1
	s_mov_b32 s33, -1
	s_mov_b32 s3, exec_lo
                                        ; implicit-def: $sgpr2
                                        ; implicit-def: $sgpr35
	v_cmpx_lt_i32_e32 3, v16
	s_cbranch_execz .LBB58_28
; %bb.25:                               ;   in Loop: Header=BB58_3 Depth=1
	v_cmp_le_f32_e32 vcc_lo, 0, v39
	v_cmp_ge_f32_e64 s0, 1.0, v39
	s_mov_b32 s2, 0
	s_delay_alu instid0(VALU_DEP_1)
	s_and_b32 s35, vcc_lo, s0
	s_mov_b32 s0, 0
	s_and_saveexec_b32 s33, s35
	s_cbranch_execz .LBB58_27
; %bb.26:                               ;   in Loop: Header=BB58_3 Depth=1
	v_cvt_f32_u32_e32 v17, v18
	v_lshlrev_b64 v[11:12], 1, v[11:12]
	s_mov_b32 s0, exec_lo
	s_delay_alu instid0(VALU_DEP_2) | instskip(NEXT) | instid1(VALU_DEP_2)
	v_fmaak_f32 v17, 0x2f800000, v17, 0x2f800000
	v_add_co_u32 v11, vcc_lo, s12, v11
	s_delay_alu instid0(VALU_DEP_3) | instskip(NEXT) | instid1(VALU_DEP_3)
	v_add_co_ci_u32_e32 v12, vcc_lo, s13, v12, vcc_lo
	v_cmp_le_f32_e32 vcc_lo, v17, v39
	v_cndmask_b32_e64 v17, 0, 1, vcc_lo
	global_store_b16 v[11:12], v17, off
.LBB58_27:                              ;   in Loop: Header=BB58_3 Depth=1
	s_or_b32 exec_lo, exec_lo, s33
	s_mov_b32 s35, -1
	s_or_not1_b32 s33, s0, exec_lo
.LBB58_28:                              ;   in Loop: Header=BB58_3 Depth=1
	s_or_b32 exec_lo, exec_lo, s3
	s_mov_b32 s0, 0
	s_mov_b32 s36, s2
	s_and_saveexec_b32 s3, s33
	s_cbranch_execz .LBB58_32
; %bb.29:                               ;   in Loop: Header=BB58_3 Depth=1
	v_cmp_le_f32_e32 vcc_lo, 0, v38
	v_cmp_ge_f32_e64 s0, 1.0, v38
	s_delay_alu instid0(VALU_DEP_1) | instskip(SKIP_2) | instid1(SALU_CYCLE_1)
	s_and_b32 s33, vcc_lo, s0
	s_mov_b32 s0, 0
	s_and_saveexec_b32 s36, s33
	s_xor_b32 s33, exec_lo, s36
	s_cbranch_execz .LBB58_31
; %bb.30:                               ;   in Loop: Header=BB58_3 Depth=1
	v_cvt_f32_u32_e32 v11, v15
	v_lshlrev_b64 v[9:10], 1, v[9:10]
	s_mov_b32 s0, exec_lo
	s_delay_alu instid0(VALU_DEP_2) | instskip(NEXT) | instid1(VALU_DEP_2)
	v_fmaak_f32 v11, 0x2f800000, v11, 0x2f800000
	v_add_co_u32 v9, vcc_lo, s12, v9
	s_delay_alu instid0(VALU_DEP_3) | instskip(NEXT) | instid1(VALU_DEP_3)
	v_add_co_ci_u32_e32 v10, vcc_lo, s13, v10, vcc_lo
	v_cmp_le_f32_e32 vcc_lo, v11, v38
	v_cndmask_b32_e64 v11, 0, 1, vcc_lo
	global_store_b16 v[9:10], v11, off
.LBB58_31:                              ;   in Loop: Header=BB58_3 Depth=1
	s_or_b32 exec_lo, exec_lo, s33
	s_delay_alu instid0(SALU_CYCLE_1)
	s_and_not1_b32 s36, s2, exec_lo
	s_or_b32 s2, s2, exec_lo
	s_and_not1_b32 s35, s35, exec_lo
	s_and_b32 s0, s0, exec_lo
.LBB58_32:                              ;   in Loop: Header=BB58_3 Depth=1
	s_or_b32 exec_lo, exec_lo, s3
	s_delay_alu instid0(SALU_CYCLE_1)
	s_and_b32 s33, s36, exec_lo
	s_and_b32 s3, s2, exec_lo
	;; [unrolled: 1-line block ×4, first 2 shown]
.LBB58_33:                              ;   in Loop: Header=BB58_3 Depth=1
	s_and_not1_saveexec_b32 s0, s34
; %bb.34:                               ;   in Loop: Header=BB58_3 Depth=1
	v_cmp_lt_i32_e32 vcc_lo, 1, v16
	s_and_not1_b32 s34, s36, exec_lo
	s_mov_b32 s1, exec_lo
	s_and_not1_b32 s33, s33, exec_lo
	s_and_not1_b32 s3, s3, exec_lo
	s_and_b32 s35, vcc_lo, exec_lo
	s_and_not1_b32 s2, s2, exec_lo
	s_or_b32 s36, s34, s35
; %bb.35:                               ;   in Loop: Header=BB58_3 Depth=1
	s_or_b32 exec_lo, exec_lo, s0
	s_mov_b32 s34, 0
	s_mov_b32 s0, 0
	;; [unrolled: 1-line block ×3, first 2 shown]
	s_and_saveexec_b32 s37, s36
	s_cbranch_execnz .LBB58_38
; %bb.36:                               ;   in Loop: Header=BB58_3 Depth=1
	s_or_b32 exec_lo, exec_lo, s37
	s_and_saveexec_b32 s36, s1
	s_cbranch_execnz .LBB58_41
.LBB58_37:                              ;   in Loop: Header=BB58_3 Depth=1
	s_or_b32 exec_lo, exec_lo, s36
	s_and_saveexec_b32 s1, s0
	s_cbranch_execnz .LBB58_42
	s_branch .LBB58_45
.LBB58_38:                              ;   in Loop: Header=BB58_3 Depth=1
	v_cmp_le_f32_e32 vcc_lo, 0, v37
	v_cmp_ge_f32_e64 s0, 1.0, v37
	s_delay_alu instid0(VALU_DEP_1) | instskip(SKIP_2) | instid1(SALU_CYCLE_1)
	s_and_b32 s35, vcc_lo, s0
	s_mov_b32 s0, 0
	s_and_saveexec_b32 s36, s35
	s_xor_b32 s35, exec_lo, s36
	s_cbranch_execz .LBB58_40
; %bb.39:                               ;   in Loop: Header=BB58_3 Depth=1
	v_cvt_f32_u32_e32 v9, v14
	v_lshlrev_b64 v[7:8], 1, v[7:8]
	s_mov_b32 s0, exec_lo
	s_delay_alu instid0(VALU_DEP_2) | instskip(NEXT) | instid1(VALU_DEP_2)
	v_fmaak_f32 v9, 0x2f800000, v9, 0x2f800000
	v_add_co_u32 v7, vcc_lo, s12, v7
	s_delay_alu instid0(VALU_DEP_3) | instskip(NEXT) | instid1(VALU_DEP_3)
	v_add_co_ci_u32_e32 v8, vcc_lo, s13, v8, vcc_lo
	v_cmp_le_f32_e32 vcc_lo, v9, v37
	v_cndmask_b32_e64 v9, 0, 1, vcc_lo
	global_store_b16 v[7:8], v9, off
.LBB58_40:                              ;   in Loop: Header=BB58_3 Depth=1
	s_or_b32 exec_lo, exec_lo, s35
	s_delay_alu instid0(SALU_CYCLE_1)
	s_and_not1_b32 s35, s33, exec_lo
	s_or_b32 s33, s33, exec_lo
	s_and_not1_b32 s3, s3, exec_lo
	s_and_not1_b32 s2, s2, exec_lo
	s_and_b32 s0, s0, exec_lo
	s_and_not1_b32 s1, s1, exec_lo
	s_or_b32 exec_lo, exec_lo, s37
	s_and_saveexec_b32 s36, s1
	s_cbranch_execz .LBB58_37
.LBB58_41:                              ;   in Loop: Header=BB58_3 Depth=1
	v_cmp_eq_u32_e32 vcc_lo, 1, v16
	s_and_not1_b32 s0, s0, exec_lo
	s_mov_b32 s34, exec_lo
	s_and_not1_b32 s35, s35, exec_lo
	s_and_not1_b32 s33, s33, exec_lo
	s_and_b32 s1, vcc_lo, exec_lo
	s_and_not1_b32 s3, s3, exec_lo
	s_and_not1_b32 s2, s2, exec_lo
	s_or_b32 s0, s0, s1
	s_or_b32 exec_lo, exec_lo, s36
	s_and_saveexec_b32 s1, s0
	s_cbranch_execz .LBB58_45
.LBB58_42:                              ;   in Loop: Header=BB58_3 Depth=1
	v_cmp_le_f32_e32 vcc_lo, 0, v3
	v_cmp_ge_f32_e64 s0, 1.0, v3
	s_delay_alu instid0(VALU_DEP_1)
	s_and_b32 s37, vcc_lo, s0
	s_mov_b32 s0, 0
	s_and_saveexec_b32 s36, s37
	s_cbranch_execz .LBB58_44
; %bb.43:                               ;   in Loop: Header=BB58_3 Depth=1
	v_cvt_f32_u32_e32 v7, v13
	v_lshlrev_b64 v[5:6], 1, v[5:6]
	s_mov_b32 s0, exec_lo
	s_delay_alu instid0(VALU_DEP_2) | instskip(NEXT) | instid1(VALU_DEP_2)
	v_fmaak_f32 v7, 0x2f800000, v7, 0x2f800000
	v_add_co_u32 v5, vcc_lo, s12, v5
	s_delay_alu instid0(VALU_DEP_3) | instskip(NEXT) | instid1(VALU_DEP_3)
	v_add_co_ci_u32_e32 v6, vcc_lo, s13, v6, vcc_lo
	v_cmp_le_f32_e32 vcc_lo, v7, v3
	v_cndmask_b32_e64 v3, 0, 1, vcc_lo
	global_store_b16 v[5:6], v3, off
.LBB58_44:                              ;   in Loop: Header=BB58_3 Depth=1
	s_or_b32 exec_lo, exec_lo, s36
	s_delay_alu instid0(SALU_CYCLE_1)
	s_and_not1_b32 s34, s34, exec_lo
	s_and_b32 s0, s0, exec_lo
	s_or_b32 s35, s35, exec_lo
	s_and_not1_b32 s33, s33, exec_lo
	s_and_not1_b32 s3, s3, exec_lo
	;; [unrolled: 1-line block ×3, first 2 shown]
	s_or_b32 s34, s34, s0
.LBB58_45:                              ;   in Loop: Header=BB58_3 Depth=1
	s_or_b32 exec_lo, exec_lo, s1
	s_delay_alu instid0(SALU_CYCLE_1)
	s_and_not1_b32 s1, s31, exec_lo
	s_and_b32 s31, s35, exec_lo
	s_and_not1_b32 s29, s29, exec_lo
	s_and_b32 s33, s33, exec_lo
	s_or_b32 s31, s1, s31
	s_and_not1_b32 s1, s30, exec_lo
	s_and_b32 s3, s3, exec_lo
	s_and_not1_b32 s28, s28, exec_lo
	s_and_b32 s2, s2, exec_lo
	s_mov_b32 s0, -1
	s_or_b32 s29, s29, s33
	s_or_b32 s30, s1, s3
	;; [unrolled: 1-line block ×3, first 2 shown]
	s_and_saveexec_b32 s1, s34
	s_cbranch_execz .LBB58_2
; %bb.46:                               ;   in Loop: Header=BB58_3 Depth=1
	v_add_nc_u32_e32 v0, s21, v0
	v_subrev_nc_u32_e32 v31, s21, v31
	s_add_i32 s25, s25, s23
	s_and_not1_b32 s31, s31, exec_lo
	s_and_not1_b32 s29, s29, exec_lo
	v_cmp_le_u32_e32 vcc_lo, s16, v0
	s_and_not1_b32 s30, s30, exec_lo
	s_and_not1_b32 s28, s28, exec_lo
	s_or_not1_b32 s0, vcc_lo, exec_lo
	s_branch .LBB58_2
.LBB58_47:
	s_or_b32 exec_lo, exec_lo, s22
	s_xor_b32 s3, s26, -1
	s_xor_b32 s4, s27, -1
	s_xor_b32 s0, s24, -1
	s_mov_b32 s1, 0
	s_and_saveexec_b32 s2, s0
	s_delay_alu instid0(SALU_CYCLE_1)
	s_xor_b32 s0, exec_lo, s2
	s_cbranch_execz .LBB58_56
; %bb.48:
	s_mov_b32 s2, 0
	s_and_saveexec_b32 s1, s4
	s_delay_alu instid0(SALU_CYCLE_1)
	s_xor_b32 s1, exec_lo, s1
	s_cbranch_execz .LBB58_54
; %bb.49:
	s_and_saveexec_b32 s4, s3
	s_delay_alu instid0(SALU_CYCLE_1)
	s_xor_b32 s3, exec_lo, s4
	s_cbranch_execz .LBB58_52
; %bb.50:
	s_and_saveexec_b32 s4, s20
	s_delay_alu instid0(SALU_CYCLE_1)
	s_xor_b32 s4, exec_lo, s4
	s_cbranch_execnz .LBB58_70
.LBB58_51:
	s_or_b32 exec_lo, exec_lo, s4
	s_delay_alu instid0(SALU_CYCLE_1)
	s_and_b32 s2, s2, exec_lo
.LBB58_52:
	s_and_not1_saveexec_b32 s3, s3
	s_cbranch_execnz .LBB58_66
.LBB58_53:
	s_or_b32 exec_lo, exec_lo, s3
	s_delay_alu instid0(SALU_CYCLE_1)
	s_and_b32 s2, s2, exec_lo
.LBB58_54:
	s_and_not1_saveexec_b32 s1, s1
	s_cbranch_execnz .LBB58_62
.LBB58_55:
	s_or_b32 exec_lo, exec_lo, s1
	s_delay_alu instid0(SALU_CYCLE_1)
	s_and_b32 s1, s2, exec_lo
.LBB58_56:
	s_and_not1_saveexec_b32 s0, s0
	s_cbranch_execnz .LBB58_60
; %bb.57:
	s_or_b32 exec_lo, exec_lo, s0
	s_delay_alu instid0(SALU_CYCLE_1)
	s_and_b32 exec_lo, exec_lo, s1
.LBB58_58:
	; divergent unreachable
.LBB58_59:
	s_nop 0
	s_sendmsg sendmsg(MSG_DEALLOC_VGPRS)
	s_endpgm
.LBB58_60:
	s_cbranch_execnz .LBB58_64
; %bb.61:
	s_or_b32 s1, s1, exec_lo
	s_or_b32 exec_lo, exec_lo, s0
	s_delay_alu instid0(SALU_CYCLE_1)
	s_and_b32 exec_lo, exec_lo, s1
	s_cbranch_execnz .LBB58_58
	s_branch .LBB58_59
.LBB58_62:
	s_cbranch_execnz .LBB58_68
; %bb.63:
	s_or_b32 s2, s2, exec_lo
	s_branch .LBB58_55
.LBB58_64:
	s_trap 2
	s_sendmsg_rtn_b32 s0, sendmsg(MSG_RTN_GET_DOORBELL)
	s_mov_b32 ttmp2, m0
	s_waitcnt lgkmcnt(0)
	s_and_b32 s0, s0, 0x3ff
	s_delay_alu instid0(SALU_CYCLE_1) | instskip(NEXT) | instid1(SALU_CYCLE_1)
	s_bitset1_b32 s0, 10
	s_mov_b32 m0, s0
	s_sendmsg sendmsg(MSG_INTERRUPT)
	s_mov_b32 m0, ttmp2
.LBB58_65:                              ; =>This Inner Loop Header: Depth=1
	s_sethalt 5
	s_branch .LBB58_65
.LBB58_66:
	s_cbranch_execnz .LBB58_72
; %bb.67:
	s_or_b32 s2, s2, exec_lo
	s_branch .LBB58_53
.LBB58_68:
	s_trap 2
	s_sendmsg_rtn_b32 s0, sendmsg(MSG_RTN_GET_DOORBELL)
	s_mov_b32 ttmp2, m0
	s_waitcnt lgkmcnt(0)
	s_and_b32 s0, s0, 0x3ff
	s_delay_alu instid0(SALU_CYCLE_1) | instskip(NEXT) | instid1(SALU_CYCLE_1)
	s_bitset1_b32 s0, 10
	s_mov_b32 m0, s0
	s_sendmsg sendmsg(MSG_INTERRUPT)
	s_mov_b32 m0, ttmp2
.LBB58_69:                              ; =>This Inner Loop Header: Depth=1
	s_sethalt 5
	s_branch .LBB58_69
.LBB58_70:
	s_cbranch_execnz .LBB58_74
; %bb.71:
	s_mov_b32 s2, exec_lo
	s_branch .LBB58_51
.LBB58_72:
	s_trap 2
	s_sendmsg_rtn_b32 s0, sendmsg(MSG_RTN_GET_DOORBELL)
	s_mov_b32 ttmp2, m0
	s_waitcnt lgkmcnt(0)
	s_and_b32 s0, s0, 0x3ff
	s_delay_alu instid0(SALU_CYCLE_1) | instskip(NEXT) | instid1(SALU_CYCLE_1)
	s_bitset1_b32 s0, 10
	s_mov_b32 m0, s0
	s_sendmsg sendmsg(MSG_INTERRUPT)
	s_mov_b32 m0, ttmp2
.LBB58_73:                              ; =>This Inner Loop Header: Depth=1
	s_sethalt 5
	s_branch .LBB58_73
.LBB58_74:
	s_trap 2
	s_sendmsg_rtn_b32 s0, sendmsg(MSG_RTN_GET_DOORBELL)
	s_mov_b32 ttmp2, m0
	s_waitcnt lgkmcnt(0)
	s_and_b32 s0, s0, 0x3ff
	s_delay_alu instid0(SALU_CYCLE_1) | instskip(NEXT) | instid1(SALU_CYCLE_1)
	s_bitset1_b32 s0, 10
	s_mov_b32 m0, s0
	s_sendmsg sendmsg(MSG_INTERRUPT)
	s_mov_b32 m0, ttmp2
.LBB58_75:                              ; =>This Inner Loop Header: Depth=1
	s_sethalt 5
	s_branch .LBB58_75
	.section	.rodata,"a",@progbits
	.p2align	6, 0x0
	.amdhsa_kernel _ZN2at4cuda12_GLOBAL__N_121kernelPointwiseApply2IZNS_6native9templates4cuda28bernoulli_tensor_cuda_kernelIsfEEvRKNS_10TensorBaseES9_NS_15PhiloxCudaStateEEUliRsSB_SB_SB_RKfSD_SD_SD_E_sSC_jLi2ELi1ELi4ELi512ELi2EEEvNS0_6detail10TensorInfoIT0_T2_EENSG_IT1_SI_EESI_T_
		.amdhsa_group_segment_fixed_size 0
		.amdhsa_private_segment_fixed_size 0
		.amdhsa_kernarg_size 728
		.amdhsa_user_sgpr_count 15
		.amdhsa_user_sgpr_dispatch_ptr 0
		.amdhsa_user_sgpr_queue_ptr 0
		.amdhsa_user_sgpr_kernarg_segment_ptr 1
		.amdhsa_user_sgpr_dispatch_id 0
		.amdhsa_user_sgpr_private_segment_size 0
		.amdhsa_wavefront_size32 1
		.amdhsa_uses_dynamic_stack 0
		.amdhsa_enable_private_segment 0
		.amdhsa_system_sgpr_workgroup_id_x 1
		.amdhsa_system_sgpr_workgroup_id_y 0
		.amdhsa_system_sgpr_workgroup_id_z 0
		.amdhsa_system_sgpr_workgroup_info 0
		.amdhsa_system_vgpr_workitem_id 0
		.amdhsa_next_free_vgpr 48
		.amdhsa_next_free_sgpr 38
		.amdhsa_reserve_vcc 1
		.amdhsa_float_round_mode_32 0
		.amdhsa_float_round_mode_16_64 0
		.amdhsa_float_denorm_mode_32 3
		.amdhsa_float_denorm_mode_16_64 3
		.amdhsa_dx10_clamp 1
		.amdhsa_ieee_mode 1
		.amdhsa_fp16_overflow 0
		.amdhsa_workgroup_processor_mode 1
		.amdhsa_memory_ordered 1
		.amdhsa_forward_progress 0
		.amdhsa_shared_vgpr_count 0
		.amdhsa_exception_fp_ieee_invalid_op 0
		.amdhsa_exception_fp_denorm_src 0
		.amdhsa_exception_fp_ieee_div_zero 0
		.amdhsa_exception_fp_ieee_overflow 0
		.amdhsa_exception_fp_ieee_underflow 0
		.amdhsa_exception_fp_ieee_inexact 0
		.amdhsa_exception_int_div_zero 0
	.end_amdhsa_kernel
	.section	.text._ZN2at4cuda12_GLOBAL__N_121kernelPointwiseApply2IZNS_6native9templates4cuda28bernoulli_tensor_cuda_kernelIsfEEvRKNS_10TensorBaseES9_NS_15PhiloxCudaStateEEUliRsSB_SB_SB_RKfSD_SD_SD_E_sSC_jLi2ELi1ELi4ELi512ELi2EEEvNS0_6detail10TensorInfoIT0_T2_EENSG_IT1_SI_EESI_T_,"axG",@progbits,_ZN2at4cuda12_GLOBAL__N_121kernelPointwiseApply2IZNS_6native9templates4cuda28bernoulli_tensor_cuda_kernelIsfEEvRKNS_10TensorBaseES9_NS_15PhiloxCudaStateEEUliRsSB_SB_SB_RKfSD_SD_SD_E_sSC_jLi2ELi1ELi4ELi512ELi2EEEvNS0_6detail10TensorInfoIT0_T2_EENSG_IT1_SI_EESI_T_,comdat
.Lfunc_end58:
	.size	_ZN2at4cuda12_GLOBAL__N_121kernelPointwiseApply2IZNS_6native9templates4cuda28bernoulli_tensor_cuda_kernelIsfEEvRKNS_10TensorBaseES9_NS_15PhiloxCudaStateEEUliRsSB_SB_SB_RKfSD_SD_SD_E_sSC_jLi2ELi1ELi4ELi512ELi2EEEvNS0_6detail10TensorInfoIT0_T2_EENSG_IT1_SI_EESI_T_, .Lfunc_end58-_ZN2at4cuda12_GLOBAL__N_121kernelPointwiseApply2IZNS_6native9templates4cuda28bernoulli_tensor_cuda_kernelIsfEEvRKNS_10TensorBaseES9_NS_15PhiloxCudaStateEEUliRsSB_SB_SB_RKfSD_SD_SD_E_sSC_jLi2ELi1ELi4ELi512ELi2EEEvNS0_6detail10TensorInfoIT0_T2_EENSG_IT1_SI_EESI_T_
                                        ; -- End function
	.section	.AMDGPU.csdata,"",@progbits
; Kernel info:
; codeLenInByte = 3804
; NumSgprs: 40
; NumVgprs: 48
; ScratchSize: 0
; MemoryBound: 0
; FloatMode: 240
; IeeeMode: 1
; LDSByteSize: 0 bytes/workgroup (compile time only)
; SGPRBlocks: 4
; VGPRBlocks: 5
; NumSGPRsForWavesPerEU: 40
; NumVGPRsForWavesPerEU: 48
; Occupancy: 16
; WaveLimiterHint : 1
; COMPUTE_PGM_RSRC2:SCRATCH_EN: 0
; COMPUTE_PGM_RSRC2:USER_SGPR: 15
; COMPUTE_PGM_RSRC2:TRAP_HANDLER: 0
; COMPUTE_PGM_RSRC2:TGID_X_EN: 1
; COMPUTE_PGM_RSRC2:TGID_Y_EN: 0
; COMPUTE_PGM_RSRC2:TGID_Z_EN: 0
; COMPUTE_PGM_RSRC2:TIDIG_COMP_CNT: 0
	.section	.text._ZN2at4cuda12_GLOBAL__N_121kernelPointwiseApply2IZNS_6native9templates4cuda28bernoulli_tensor_cuda_kernelIsfEEvRKNS_10TensorBaseES9_NS_15PhiloxCudaStateEEUliRsSB_SB_SB_RKfSD_SD_SD_E_sSC_jLi2ELi2ELi4ELi512ELi2EEEvNS0_6detail10TensorInfoIT0_T2_EENSG_IT1_SI_EESI_T_,"axG",@progbits,_ZN2at4cuda12_GLOBAL__N_121kernelPointwiseApply2IZNS_6native9templates4cuda28bernoulli_tensor_cuda_kernelIsfEEvRKNS_10TensorBaseES9_NS_15PhiloxCudaStateEEUliRsSB_SB_SB_RKfSD_SD_SD_E_sSC_jLi2ELi2ELi4ELi512ELi2EEEvNS0_6detail10TensorInfoIT0_T2_EENSG_IT1_SI_EESI_T_,comdat
	.globl	_ZN2at4cuda12_GLOBAL__N_121kernelPointwiseApply2IZNS_6native9templates4cuda28bernoulli_tensor_cuda_kernelIsfEEvRKNS_10TensorBaseES9_NS_15PhiloxCudaStateEEUliRsSB_SB_SB_RKfSD_SD_SD_E_sSC_jLi2ELi2ELi4ELi512ELi2EEEvNS0_6detail10TensorInfoIT0_T2_EENSG_IT1_SI_EESI_T_ ; -- Begin function _ZN2at4cuda12_GLOBAL__N_121kernelPointwiseApply2IZNS_6native9templates4cuda28bernoulli_tensor_cuda_kernelIsfEEvRKNS_10TensorBaseES9_NS_15PhiloxCudaStateEEUliRsSB_SB_SB_RKfSD_SD_SD_E_sSC_jLi2ELi2ELi4ELi512ELi2EEEvNS0_6detail10TensorInfoIT0_T2_EENSG_IT1_SI_EESI_T_
	.p2align	8
	.type	_ZN2at4cuda12_GLOBAL__N_121kernelPointwiseApply2IZNS_6native9templates4cuda28bernoulli_tensor_cuda_kernelIsfEEvRKNS_10TensorBaseES9_NS_15PhiloxCudaStateEEUliRsSB_SB_SB_RKfSD_SD_SD_E_sSC_jLi2ELi2ELi4ELi512ELi2EEEvNS0_6detail10TensorInfoIT0_T2_EENSG_IT1_SI_EESI_T_,@function
_ZN2at4cuda12_GLOBAL__N_121kernelPointwiseApply2IZNS_6native9templates4cuda28bernoulli_tensor_cuda_kernelIsfEEvRKNS_10TensorBaseES9_NS_15PhiloxCudaStateEEUliRsSB_SB_SB_RKfSD_SD_SD_E_sSC_jLi2ELi2ELi4ELi512ELi2EEEvNS0_6detail10TensorInfoIT0_T2_EENSG_IT1_SI_EESI_T_: ; @_ZN2at4cuda12_GLOBAL__N_121kernelPointwiseApply2IZNS_6native9templates4cuda28bernoulli_tensor_cuda_kernelIsfEEvRKNS_10TensorBaseES9_NS_15PhiloxCudaStateEEUliRsSB_SB_SB_RKfSD_SD_SD_E_sSC_jLi2ELi2ELi4ELi512ELi2EEEvNS0_6detail10TensorInfoIT0_T2_EENSG_IT1_SI_EESI_T_
; %bb.0:
	s_clause 0x1
	s_load_b32 s2, s[0:1], 0x1e4
	s_load_b32 s16, s[0:1], 0x1b0
	s_add_u32 s4, s0, 0x1d8
	s_addc_u32 s5, s1, 0
	s_waitcnt lgkmcnt(0)
	s_and_b32 s22, s2, 0xffff
	s_mov_b32 s2, exec_lo
	v_mad_u64_u32 v[1:2], null, s15, s22, v[0:1]
	s_delay_alu instid0(VALU_DEP_1) | instskip(NEXT) | instid1(VALU_DEP_1)
	v_lshlrev_b32_e32 v0, 2, v1
	v_cmpx_gt_u32_e64 s16, v0
	s_cbranch_execz .LBB59_67
; %bb.1:
	s_clause 0x6
	s_load_b32 s17, s[0:1], 0xc
	s_load_b32 s18, s[0:1], 0xe4
	s_load_b64 s[2:3], s[0:1], 0x6c
	s_load_b64 s[8:9], s[0:1], 0xd8
	;; [unrolled: 1-line block ×3, first 2 shown]
	s_load_b32 s6, s[0:1], 0x1d0
	s_load_b64 s[12:13], s[0:1], 0x0
	s_load_b32 s23, s[4:5], 0x0
	v_sub_nc_u32_e32 v32, s16, v0
                                        ; implicit-def: $sgpr26
                                        ; implicit-def: $sgpr25
                                        ; implicit-def: $sgpr27
                                        ; implicit-def: $sgpr29
                                        ; implicit-def: $sgpr28
                                        ; implicit-def: $sgpr30
	s_waitcnt lgkmcnt(0)
	v_cvt_f32_u32_e32 v2, s17
	v_cvt_f32_u32_e32 v3, s18
	s_delay_alu instid0(VALU_DEP_2) | instskip(NEXT) | instid1(VALU_DEP_1)
	v_rcp_iflag_f32_e32 v2, v2
	v_rcp_iflag_f32_e32 v3, v3
	s_bitcmp1_b32 s6, 0
	s_clause 0x1
	s_load_b64 s[14:15], s[0:1], 0x1c8
	s_load_b128 s[4:7], s[0:1], 0x1b8
	s_cselect_b32 s19, -1, 0
	s_sub_i32 s20, 0, s17
	s_sub_i32 s21, 0, s18
	s_mul_i32 s23, s23, s22
	s_mov_b32 s22, 0
	s_lshl_b32 s24, s23, 2
	s_waitcnt_depctr 0xfff
	v_dual_mul_f32 v2, 0x4f7ffffe, v2 :: v_dual_mul_f32 v3, 0x4f7ffffe, v3
                                        ; implicit-def: $sgpr23
                                        ; implicit-def: $sgpr1
	s_delay_alu instid0(VALU_DEP_1) | instskip(NEXT) | instid1(VALU_DEP_2)
	v_cvt_u32_f32_e32 v5, v2
	v_cvt_u32_f32_e32 v6, v3
	v_mad_u64_u32 v[2:3], null, 0xcd9e8d57, v1, 0
	s_delay_alu instid0(VALU_DEP_3) | instskip(NEXT) | instid1(VALU_DEP_3)
	v_mul_lo_u32 v4, s20, v5
	v_mul_lo_u32 v7, s21, v6
	s_delay_alu instid0(VALU_DEP_3) | instskip(NEXT) | instid1(VALU_DEP_3)
	v_mov_b32_e32 v29, v3
	v_mul_hi_u32 v8, v5, v4
	s_delay_alu instid0(VALU_DEP_3) | instskip(SKIP_1) | instid1(VALU_DEP_3)
	v_mul_hi_u32 v7, v6, v7
	v_mov_b32_e32 v4, 0
	v_add_nc_u32_e32 v30, v5, v8
	s_delay_alu instid0(VALU_DEP_3)
	v_add_nc_u32_e32 v31, v6, v7
	s_branch .LBB59_3
.LBB59_2:                               ;   in Loop: Header=BB59_3 Depth=1
	s_or_b32 exec_lo, exec_lo, s31
	s_delay_alu instid0(SALU_CYCLE_1) | instskip(NEXT) | instid1(SALU_CYCLE_1)
	s_and_b32 s0, exec_lo, s0
	s_or_b32 s22, s0, s22
	s_and_not1_b32 s0, s1, exec_lo
	s_and_b32 s1, s30, exec_lo
	s_and_not1_b32 s25, s25, exec_lo
	s_and_b32 s31, s28, exec_lo
	s_or_b32 s1, s0, s1
	s_or_b32 s25, s25, s31
	s_and_not1_b32 s0, s26, exec_lo
	s_and_b32 s26, s29, exec_lo
	s_and_not1_b32 s23, s23, exec_lo
	s_and_b32 s31, s27, exec_lo
	s_or_b32 s26, s0, s26
	s_or_b32 s23, s23, s31
	s_and_not1_b32 exec_lo, exec_lo, s22
	s_cbranch_execz .LBB59_55
.LBB59_3:                               ; =>This Inner Loop Header: Depth=1
	v_cmp_lt_i32_e32 vcc_lo, 0, v32
	v_mov_b32_e32 v5, 0
	s_and_saveexec_b32 s31, vcc_lo
	s_cbranch_execz .LBB59_5
; %bb.4:                                ;   in Loop: Header=BB59_3 Depth=1
	v_mul_hi_u32 v3, v30, v0
	s_delay_alu instid0(VALU_DEP_1) | instskip(SKIP_2) | instid1(VALU_DEP_3)
	v_not_b32_e32 v8, v3
	v_mad_u64_u32 v[5:6], null, s20, v3, v[0:1]
	v_add_nc_u32_e32 v9, 1, v3
	v_mad_u64_u32 v[6:7], null, s17, v8, v[0:1]
	s_delay_alu instid0(VALU_DEP_3) | instskip(NEXT) | instid1(VALU_DEP_1)
	v_cmp_le_u32_e64 s0, s17, v5
	v_cndmask_b32_e64 v3, v3, v9, s0
	s_delay_alu instid0(VALU_DEP_3) | instskip(NEXT) | instid1(VALU_DEP_2)
	v_cndmask_b32_e64 v5, v5, v6, s0
	v_add_nc_u32_e32 v6, 1, v3
	s_delay_alu instid0(VALU_DEP_2) | instskip(NEXT) | instid1(VALU_DEP_1)
	v_cmp_le_u32_e64 s0, s17, v5
	v_cndmask_b32_e64 v7, v3, v6, s0
	s_delay_alu instid0(VALU_DEP_1) | instskip(NEXT) | instid1(VALU_DEP_1)
	v_mad_u64_u32 v[5:6], null, s20, v7, v[0:1]
	v_mul_lo_u32 v3, v5, s3
	s_delay_alu instid0(VALU_DEP_1)
	v_mad_u64_u32 v[5:6], null, v7, s2, v[3:4]
.LBB59_5:                               ;   in Loop: Header=BB59_3 Depth=1
	s_or_b32 exec_lo, exec_lo, s31
	v_mov_b32_e32 v3, 0
	s_and_saveexec_b32 s0, vcc_lo
	s_cbranch_execz .LBB59_7
; %bb.6:                                ;   in Loop: Header=BB59_3 Depth=1
	v_mul_hi_u32 v3, v31, v0
	s_delay_alu instid0(VALU_DEP_1) | instskip(SKIP_2) | instid1(VALU_DEP_3)
	v_not_b32_e32 v9, v3
	v_mad_u64_u32 v[6:7], null, s21, v3, v[0:1]
	v_add_nc_u32_e32 v10, 1, v3
	v_mad_u64_u32 v[7:8], null, s18, v9, v[0:1]
	s_delay_alu instid0(VALU_DEP_3) | instskip(NEXT) | instid1(VALU_DEP_2)
	v_cmp_le_u32_e32 vcc_lo, s18, v6
	v_dual_cndmask_b32 v3, v3, v10 :: v_dual_cndmask_b32 v6, v6, v7
	s_delay_alu instid0(VALU_DEP_1) | instskip(NEXT) | instid1(VALU_DEP_2)
	v_add_nc_u32_e32 v7, 1, v3
	v_cmp_le_u32_e32 vcc_lo, s18, v6
	s_delay_alu instid0(VALU_DEP_2) | instskip(NEXT) | instid1(VALU_DEP_1)
	v_cndmask_b32_e32 v8, v3, v7, vcc_lo
	v_mad_u64_u32 v[6:7], null, s21, v8, v[0:1]
	s_delay_alu instid0(VALU_DEP_1) | instskip(NEXT) | instid1(VALU_DEP_1)
	v_mul_lo_u32 v3, v6, s11
	v_mad_u64_u32 v[6:7], null, v8, s10, v[3:4]
	s_delay_alu instid0(VALU_DEP_1)
	v_mov_b32_e32 v3, v6
.LBB59_7:                               ;   in Loop: Header=BB59_3 Depth=1
	s_or_b32 exec_lo, exec_lo, s0
	v_mov_b32_e32 v12, 0
	v_dual_mov_b32 v13, 0 :: v_dual_add_nc_u32 v8, 1, v0
	v_cmp_lt_i32_e32 vcc_lo, 1, v32
	s_delay_alu instid0(VALU_DEP_2)
	v_dual_mov_b32 v6, v12 :: v_dual_mov_b32 v7, v13
	s_and_saveexec_b32 s31, vcc_lo
	s_cbranch_execz .LBB59_9
; %bb.8:                                ;   in Loop: Header=BB59_3 Depth=1
	v_mul_hi_u32 v6, v8, v30
	s_delay_alu instid0(VALU_DEP_1) | instskip(SKIP_1) | instid1(VALU_DEP_2)
	v_mul_lo_u32 v7, v6, s17
	v_add_nc_u32_e32 v9, 1, v6
	v_sub_nc_u32_e32 v7, v8, v7
	s_delay_alu instid0(VALU_DEP_1) | instskip(SKIP_1) | instid1(VALU_DEP_1)
	v_subrev_nc_u32_e32 v10, s17, v7
	v_cmp_le_u32_e64 s0, s17, v7
	v_cndmask_b32_e64 v6, v6, v9, s0
	s_delay_alu instid0(VALU_DEP_3) | instskip(NEXT) | instid1(VALU_DEP_2)
	v_cndmask_b32_e64 v7, v7, v10, s0
	v_add_nc_u32_e32 v9, 1, v6
	s_delay_alu instid0(VALU_DEP_2) | instskip(NEXT) | instid1(VALU_DEP_1)
	v_cmp_le_u32_e64 s0, s17, v7
	v_cndmask_b32_e64 v10, v6, v9, s0
	s_delay_alu instid0(VALU_DEP_1) | instskip(NEXT) | instid1(VALU_DEP_1)
	v_mul_lo_u32 v6, v10, s17
	v_sub_nc_u32_e32 v6, v8, v6
	s_delay_alu instid0(VALU_DEP_1) | instskip(NEXT) | instid1(VALU_DEP_1)
	v_mul_lo_u32 v9, v6, s3
	v_mad_u64_u32 v[6:7], null, v10, s2, v[9:10]
	v_mov_b32_e32 v7, v4
.LBB59_9:                               ;   in Loop: Header=BB59_3 Depth=1
	s_or_b32 exec_lo, exec_lo, s31
	s_and_saveexec_b32 s0, vcc_lo
	s_cbranch_execz .LBB59_11
; %bb.10:                               ;   in Loop: Header=BB59_3 Depth=1
	v_mul_hi_u32 v9, v8, v31
	s_delay_alu instid0(VALU_DEP_1) | instskip(NEXT) | instid1(VALU_DEP_1)
	v_mul_lo_u32 v10, v9, s18
	v_sub_nc_u32_e32 v10, v8, v10
	s_delay_alu instid0(VALU_DEP_1) | instskip(SKIP_1) | instid1(VALU_DEP_2)
	v_subrev_nc_u32_e32 v12, s18, v10
	v_cmp_le_u32_e32 vcc_lo, s18, v10
	v_dual_cndmask_b32 v10, v10, v12 :: v_dual_add_nc_u32 v11, 1, v9
	s_delay_alu instid0(VALU_DEP_1) | instskip(NEXT) | instid1(VALU_DEP_2)
	v_cndmask_b32_e32 v9, v9, v11, vcc_lo
	v_cmp_le_u32_e32 vcc_lo, s18, v10
	s_delay_alu instid0(VALU_DEP_2) | instskip(NEXT) | instid1(VALU_DEP_1)
	v_add_nc_u32_e32 v11, 1, v9
	v_cndmask_b32_e32 v9, v9, v11, vcc_lo
	s_delay_alu instid0(VALU_DEP_1) | instskip(NEXT) | instid1(VALU_DEP_1)
	v_mul_lo_u32 v10, v9, s18
	v_sub_nc_u32_e32 v8, v8, v10
	s_delay_alu instid0(VALU_DEP_1) | instskip(NEXT) | instid1(VALU_DEP_1)
	v_mul_lo_u32 v8, v8, s11
	v_mad_u64_u32 v[12:13], null, v9, s10, v[8:9]
	v_mov_b32_e32 v13, v4
.LBB59_11:                              ;   in Loop: Header=BB59_3 Depth=1
	s_or_b32 exec_lo, exec_lo, s0
	v_mov_b32_e32 v14, 0
	v_dual_mov_b32 v15, 0 :: v_dual_add_nc_u32 v10, 2, v0
	v_cmp_lt_i32_e32 vcc_lo, 2, v32
	s_delay_alu instid0(VALU_DEP_2)
	v_dual_mov_b32 v8, v14 :: v_dual_mov_b32 v9, v15
	s_and_saveexec_b32 s31, vcc_lo
	s_cbranch_execz .LBB59_13
; %bb.12:                               ;   in Loop: Header=BB59_3 Depth=1
	v_mul_hi_u32 v8, v10, v30
	s_delay_alu instid0(VALU_DEP_1) | instskip(SKIP_1) | instid1(VALU_DEP_2)
	v_mul_lo_u32 v9, v8, s17
	v_add_nc_u32_e32 v11, 1, v8
	v_sub_nc_u32_e32 v9, v10, v9
	s_delay_alu instid0(VALU_DEP_1) | instskip(SKIP_1) | instid1(VALU_DEP_1)
	v_subrev_nc_u32_e32 v16, s17, v9
	v_cmp_le_u32_e64 s0, s17, v9
	v_cndmask_b32_e64 v8, v8, v11, s0
	s_delay_alu instid0(VALU_DEP_3) | instskip(NEXT) | instid1(VALU_DEP_2)
	v_cndmask_b32_e64 v9, v9, v16, s0
	v_add_nc_u32_e32 v11, 1, v8
	s_delay_alu instid0(VALU_DEP_2) | instskip(NEXT) | instid1(VALU_DEP_1)
	v_cmp_le_u32_e64 s0, s17, v9
	v_cndmask_b32_e64 v16, v8, v11, s0
	s_delay_alu instid0(VALU_DEP_1) | instskip(NEXT) | instid1(VALU_DEP_1)
	v_mul_lo_u32 v8, v16, s17
	v_sub_nc_u32_e32 v8, v10, v8
	s_delay_alu instid0(VALU_DEP_1) | instskip(NEXT) | instid1(VALU_DEP_1)
	v_mul_lo_u32 v11, v8, s3
	v_mad_u64_u32 v[8:9], null, v16, s2, v[11:12]
	v_mov_b32_e32 v9, v4
.LBB59_13:                              ;   in Loop: Header=BB59_3 Depth=1
	s_or_b32 exec_lo, exec_lo, s31
	s_and_saveexec_b32 s0, vcc_lo
	s_cbranch_execz .LBB59_15
; %bb.14:                               ;   in Loop: Header=BB59_3 Depth=1
	v_mul_hi_u32 v11, v10, v31
	s_delay_alu instid0(VALU_DEP_1) | instskip(NEXT) | instid1(VALU_DEP_1)
	v_mul_lo_u32 v14, v11, s18
	v_sub_nc_u32_e32 v14, v10, v14
	s_delay_alu instid0(VALU_DEP_1) | instskip(SKIP_1) | instid1(VALU_DEP_2)
	v_subrev_nc_u32_e32 v16, s18, v14
	v_cmp_le_u32_e32 vcc_lo, s18, v14
	v_dual_cndmask_b32 v14, v14, v16 :: v_dual_add_nc_u32 v15, 1, v11
	s_delay_alu instid0(VALU_DEP_1) | instskip(NEXT) | instid1(VALU_DEP_2)
	v_cndmask_b32_e32 v11, v11, v15, vcc_lo
	v_cmp_le_u32_e32 vcc_lo, s18, v14
	s_delay_alu instid0(VALU_DEP_2) | instskip(NEXT) | instid1(VALU_DEP_1)
	v_add_nc_u32_e32 v15, 1, v11
	v_cndmask_b32_e32 v11, v11, v15, vcc_lo
	s_delay_alu instid0(VALU_DEP_1) | instskip(NEXT) | instid1(VALU_DEP_1)
	v_mul_lo_u32 v14, v11, s18
	v_sub_nc_u32_e32 v10, v10, v14
	s_delay_alu instid0(VALU_DEP_1) | instskip(NEXT) | instid1(VALU_DEP_1)
	v_mul_lo_u32 v10, v10, s11
	v_mad_u64_u32 v[14:15], null, v11, s10, v[10:11]
	v_mov_b32_e32 v15, v4
.LBB59_15:                              ;   in Loop: Header=BB59_3 Depth=1
	s_or_b32 exec_lo, exec_lo, s0
	v_mov_b32_e32 v16, 0
	v_dual_mov_b32 v17, 0 :: v_dual_add_nc_u32 v18, 3, v0
	v_cmp_lt_i32_e32 vcc_lo, 3, v32
	s_delay_alu instid0(VALU_DEP_2)
	v_dual_mov_b32 v10, v16 :: v_dual_mov_b32 v11, v17
	s_and_saveexec_b32 s31, vcc_lo
	s_cbranch_execz .LBB59_17
; %bb.16:                               ;   in Loop: Header=BB59_3 Depth=1
	v_mul_hi_u32 v10, v18, v30
	s_delay_alu instid0(VALU_DEP_1) | instskip(SKIP_1) | instid1(VALU_DEP_2)
	v_mul_lo_u32 v11, v10, s17
	v_add_nc_u32_e32 v19, 1, v10
	v_sub_nc_u32_e32 v11, v18, v11
	s_delay_alu instid0(VALU_DEP_1) | instskip(SKIP_1) | instid1(VALU_DEP_1)
	v_subrev_nc_u32_e32 v20, s17, v11
	v_cmp_le_u32_e64 s0, s17, v11
	v_cndmask_b32_e64 v10, v10, v19, s0
	s_delay_alu instid0(VALU_DEP_3) | instskip(NEXT) | instid1(VALU_DEP_2)
	v_cndmask_b32_e64 v11, v11, v20, s0
	v_add_nc_u32_e32 v19, 1, v10
	s_delay_alu instid0(VALU_DEP_2) | instskip(NEXT) | instid1(VALU_DEP_1)
	v_cmp_le_u32_e64 s0, s17, v11
	v_cndmask_b32_e64 v20, v10, v19, s0
	s_delay_alu instid0(VALU_DEP_1) | instskip(NEXT) | instid1(VALU_DEP_1)
	v_mul_lo_u32 v10, v20, s17
	v_sub_nc_u32_e32 v10, v18, v10
	s_delay_alu instid0(VALU_DEP_1) | instskip(NEXT) | instid1(VALU_DEP_1)
	v_mul_lo_u32 v19, v10, s3
	v_mad_u64_u32 v[10:11], null, v20, s2, v[19:20]
	v_mov_b32_e32 v11, v4
.LBB59_17:                              ;   in Loop: Header=BB59_3 Depth=1
	s_or_b32 exec_lo, exec_lo, s31
	s_and_saveexec_b32 s0, vcc_lo
	s_cbranch_execz .LBB59_19
; %bb.18:                               ;   in Loop: Header=BB59_3 Depth=1
	v_mul_hi_u32 v16, v18, v31
	s_delay_alu instid0(VALU_DEP_1) | instskip(SKIP_1) | instid1(VALU_DEP_2)
	v_mul_lo_u32 v17, v16, s18
	v_add_nc_u32_e32 v19, 1, v16
	v_sub_nc_u32_e32 v17, v18, v17
	s_delay_alu instid0(VALU_DEP_1) | instskip(SKIP_1) | instid1(VALU_DEP_2)
	v_subrev_nc_u32_e32 v20, s18, v17
	v_cmp_le_u32_e32 vcc_lo, s18, v17
	v_dual_cndmask_b32 v16, v16, v19 :: v_dual_cndmask_b32 v17, v17, v20
	s_delay_alu instid0(VALU_DEP_1) | instskip(NEXT) | instid1(VALU_DEP_2)
	v_add_nc_u32_e32 v19, 1, v16
	v_cmp_le_u32_e32 vcc_lo, s18, v17
	s_delay_alu instid0(VALU_DEP_2) | instskip(NEXT) | instid1(VALU_DEP_1)
	v_cndmask_b32_e32 v19, v16, v19, vcc_lo
	v_mul_lo_u32 v16, v19, s18
	s_delay_alu instid0(VALU_DEP_1) | instskip(NEXT) | instid1(VALU_DEP_1)
	v_sub_nc_u32_e32 v16, v18, v16
	v_mul_lo_u32 v18, v16, s11
	s_delay_alu instid0(VALU_DEP_1)
	v_mad_u64_u32 v[16:17], null, v19, s10, v[18:19]
	v_mov_b32_e32 v17, v4
.LBB59_19:                              ;   in Loop: Header=BB59_3 Depth=1
	s_or_b32 exec_lo, exec_lo, s0
	v_lshlrev_b64 v[18:19], 2, v[3:4]
	v_lshlrev_b64 v[12:13], 2, v[12:13]
	;; [unrolled: 1-line block ×4, first 2 shown]
	s_delay_alu instid0(VALU_DEP_4)
	v_add_co_u32 v18, vcc_lo, s8, v18
	v_add_co_ci_u32_e32 v19, vcc_lo, s9, v19, vcc_lo
	v_add_co_u32 v12, vcc_lo, s8, v12
	v_add_co_ci_u32_e32 v13, vcc_lo, s9, v13, vcc_lo
	;; [unrolled: 2-line block ×4, first 2 shown]
	s_clause 0x3
	global_load_b32 v3, v[18:19], off
	global_load_b32 v33, v[12:13], off
	;; [unrolled: 1-line block ×4, first 2 shown]
	s_waitcnt lgkmcnt(0)
	v_dual_mov_b32 v17, s7 :: v_dual_mov_b32 v16, s6
	v_dual_mov_b32 v19, s5 :: v_dual_mov_b32 v18, s4
	s_and_not1_b32 vcc_lo, exec_lo, s19
	s_cbranch_vccnz .LBB59_21
; %bb.20:                               ;   in Loop: Header=BB59_3 Depth=1
	v_dual_mov_b32 v13, s7 :: v_dual_mov_b32 v12, s6
	v_dual_mov_b32 v15, s5 :: v_dual_mov_b32 v14, s4
	flat_load_b64 v[12:13], v[12:13]
	flat_load_b64 v[18:19], v[14:15]
	s_waitcnt vmcnt(1) lgkmcnt(1)
	v_add_co_u32 v16, vcc_lo, v12, s14
	v_add_co_ci_u32_e32 v17, vcc_lo, s15, v13, vcc_lo
.LBB59_21:                              ;   in Loop: Header=BB59_3 Depth=1
	s_delay_alu instid0(VALU_DEP_1)
	v_alignbit_b32 v15, v17, v16, 2
	v_lshrrev_b32_e32 v14, 2, v17
	s_waitcnt vmcnt(0) lgkmcnt(0)
	v_add_nc_u32_e32 v36, 0x9e3779b9, v18
	v_add_nc_u32_e32 v38, 0x76cf5d0a, v19
	;; [unrolled: 1-line block ×3, first 2 shown]
	v_add_co_u32 v17, vcc_lo, v15, 1
	s_delay_alu instid0(VALU_DEP_1) | instskip(SKIP_4) | instid1(VALU_DEP_4)
	v_cndmask_b32_e64 v12, 0, 1, vcc_lo
	v_add_co_ci_u32_e32 v26, vcc_lo, 0, v14, vcc_lo
	v_xor3_b32 v22, v29, v18, v14
	v_add_nc_u32_e32 v40, 0x32370b8f, v19
	v_add_nc_u32_e32 v41, 0xed9eba14, v19
	v_cmp_eq_u32_e32 vcc_lo, 0, v26
	v_add_nc_u32_e32 v42, 0x1715609d, v18
	v_add_nc_u32_e32 v43, 0xa9066899, v19
	s_mov_b32 s0, exec_lo
	v_dual_cndmask_b32 v20, 0, v12 :: v_dual_add_nc_u32 v37, 0xbb67ae85, v19
	v_mad_u64_u32 v[12:13], null, 0xd2511f53, v17, 0
	s_delay_alu instid0(VALU_DEP_2) | instskip(NEXT) | instid1(VALU_DEP_2)
	v_add_nc_u32_e32 v17, v20, v1
	v_xor_b32_e32 v21, v13, v19
	s_delay_alu instid0(VALU_DEP_2) | instskip(SKIP_2) | instid1(VALU_DEP_1)
	v_cmp_eq_u32_e32 vcc_lo, 0, v17
	v_mad_u64_u32 v[13:14], null, 0xd2511f53, v15, 0
	v_cndmask_b32_e32 v20, 0, v20, vcc_lo
	v_xor_b32_e32 v15, v20, v21
	v_mad_u64_u32 v[20:21], null, 0xd2511f53, v22, 0
	v_mad_u64_u32 v[22:23], null, 0xcd9e8d57, v17, 0
	s_delay_alu instid0(VALU_DEP_3) | instskip(SKIP_3) | instid1(VALU_DEP_3)
	v_mad_u64_u32 v[24:25], null, 0xcd9e8d57, v15, 0
	v_xor_b32_e32 v15, v14, v19
	v_add_nc_u32_e32 v17, 0x3c6ef372, v18
	v_xor3_b32 v27, v37, v21, v13
	v_mad_u64_u32 v[13:14], null, 0xcd9e8d57, v15, 0
	v_xor3_b32 v15, v23, v18, v26
	v_xor3_b32 v23, v36, v25, v22
	s_delay_alu instid0(VALU_DEP_4) | instskip(NEXT) | instid1(VALU_DEP_3)
	v_mad_u64_u32 v[21:22], null, 0xcd9e8d57, v27, 0
	v_mad_u64_u32 v[25:26], null, 0xd2511f53, v15, 0
	s_delay_alu instid0(VALU_DEP_3) | instskip(SKIP_1) | instid1(VALU_DEP_4)
	v_mad_u64_u32 v[27:28], null, 0xd2511f53, v23, 0
	v_xor3_b32 v15, v2, v14, v36
	v_xor3_b32 v36, v17, v22, v13
	s_delay_alu instid0(VALU_DEP_4) | instskip(NEXT) | instid1(VALU_DEP_3)
	v_xor3_b32 v12, v37, v26, v12
	v_mad_u64_u32 v[13:14], null, 0xd2511f53, v15, 0
	v_xor3_b32 v15, v38, v28, v25
	s_delay_alu instid0(VALU_DEP_4) | instskip(NEXT) | instid1(VALU_DEP_4)
	v_mad_u64_u32 v[22:23], null, 0xd2511f53, v36, 0
	v_mad_u64_u32 v[25:26], null, 0xcd9e8d57, v12, 0
	s_delay_alu instid0(VALU_DEP_3) | instskip(SKIP_4) | instid1(VALU_DEP_4)
	v_mad_u64_u32 v[36:37], null, 0xcd9e8d57, v15, 0
	v_xor3_b32 v14, v38, v14, v20
	v_add_nc_u32_e32 v28, 0x78dde6e4, v18
	v_xor3_b32 v20, v40, v23, v13
	v_xor3_b32 v17, v17, v26, v24
	v_mad_u64_u32 v[12:13], null, 0xcd9e8d57, v14, 0
	v_xor3_b32 v37, v39, v37, v25
	s_delay_alu instid0(VALU_DEP_4) | instskip(NEXT) | instid1(VALU_DEP_4)
	v_mad_u64_u32 v[14:15], null, 0xcd9e8d57, v20, 0
	v_mad_u64_u32 v[23:24], null, 0xd2511f53, v17, 0
	s_delay_alu instid0(VALU_DEP_3) | instskip(SKIP_1) | instid1(VALU_DEP_4)
	v_mad_u64_u32 v[25:26], null, 0xd2511f53, v37, 0
	v_xor3_b32 v17, v39, v13, v21
	v_xor3_b32 v15, v28, v15, v12
	s_delay_alu instid0(VALU_DEP_2) | instskip(SKIP_2) | instid1(VALU_DEP_4)
	v_mad_u64_u32 v[12:13], null, 0xd2511f53, v17, 0
	v_xor3_b32 v17, v40, v24, v27
	v_xor3_b32 v23, v41, v26, v23
	v_mad_u64_u32 v[26:27], null, 0xd2511f53, v15, 0
	s_delay_alu instid0(VALU_DEP_3) | instskip(NEXT) | instid1(VALU_DEP_3)
	v_mad_u64_u32 v[20:21], null, 0xcd9e8d57, v17, 0
	v_mad_u64_u32 v[37:38], null, 0xcd9e8d57, v23, 0
	v_xor3_b32 v15, v41, v13, v22
	s_delay_alu instid0(VALU_DEP_4) | instskip(SKIP_2) | instid1(VALU_DEP_4)
	v_xor3_b32 v23, v43, v27, v12
	v_add_nc_u32_e32 v17, 0xb54cda56, v18
	v_add_nc_u32_e32 v22, 0x646e171e, v19
	v_mad_u64_u32 v[12:13], null, 0xcd9e8d57, v15, 0
	v_xor3_b32 v15, v28, v21, v36
	v_xor3_b32 v24, v42, v38, v20
	v_mad_u64_u32 v[38:39], null, 0xcd9e8d57, v23, 0
	v_add_nc_u32_e32 v28, 0x5384540f, v18
	s_delay_alu instid0(VALU_DEP_4) | instskip(NEXT) | instid1(VALU_DEP_4)
	v_mad_u64_u32 v[20:21], null, 0xd2511f53, v15, 0
	v_mad_u64_u32 v[40:41], null, 0xd2511f53, v24, 0
	v_xor3_b32 v14, v42, v13, v14
	v_xor3_b32 v15, v17, v39, v12
	v_add_nc_u32_e32 v42, 0x1fd5c5a3, v19
	v_add_co_u32 v36, null, 0xf1bbcdc8, v18
	v_xor3_b32 v23, v43, v21, v25
	v_xor3_b32 v25, v22, v41, v20
	v_mad_u64_u32 v[12:13], null, 0xd2511f53, v14, 0
	v_mad_u64_u32 v[20:21], null, 0xd2511f53, v15, 0
	s_delay_alu instid0(VALU_DEP_4) | instskip(NEXT) | instid1(VALU_DEP_4)
	v_mad_u64_u32 v[14:15], null, 0xcd9e8d57, v23, 0
	v_mad_u64_u32 v[23:24], null, 0xcd9e8d57, v25, 0
	s_delay_alu instid0(VALU_DEP_4) | instskip(NEXT) | instid1(VALU_DEP_4)
	v_xor3_b32 v22, v22, v13, v26
	v_xor3_b32 v25, v42, v21, v12
	s_delay_alu instid0(VALU_DEP_4) | instskip(NEXT) | instid1(VALU_DEP_3)
	v_xor3_b32 v17, v17, v15, v37
	v_mad_u64_u32 v[12:13], null, 0xcd9e8d57, v22, 0
	v_xor3_b32 v24, v28, v24, v14
	s_delay_alu instid0(VALU_DEP_4) | instskip(NEXT) | instid1(VALU_DEP_4)
	v_mad_u64_u32 v[21:22], null, 0xcd9e8d57, v25, 0
	v_mad_u64_u32 v[14:15], null, 0xd2511f53, v17, 0
	s_delay_alu instid0(VALU_DEP_3)
	v_mad_u64_u32 v[26:27], null, 0xd2511f53, v24, 0
	v_add_nc_u32_e32 v37, 0xdb3d7428, v19
	v_xor3_b32 v13, v28, v13, v38
	v_xor3_b32 v17, v36, v22, v12
	v_add_nc_u32_e32 v38, 0x96a522ad, v19
	v_xor3_b32 v15, v42, v15, v40
	v_and_b32_e32 v19, 3, v16
	v_xor3_b32 v22, v37, v27, v14
	v_mad_u64_u32 v[24:25], null, 0xd2511f53, v13, 0
	v_mad_u64_u32 v[12:13], null, 0xd2511f53, v17, 0
	;; [unrolled: 1-line block ×3, first 2 shown]
	s_delay_alu instid0(VALU_DEP_4) | instskip(SKIP_1) | instid1(VALU_DEP_4)
	v_mad_u64_u32 v[14:15], null, 0xcd9e8d57, v22, 0
	v_add_nc_u32_e32 v22, 0x8ff34781, v18
                                        ; implicit-def: $vgpr17
	v_xor3_b32 v18, v13, v24, v38
	s_delay_alu instid0(VALU_DEP_2)
	v_xor3_b32 v13, v15, v27, v22
	v_cmpx_lt_i32_e32 1, v19
	s_xor_b32 s0, exec_lo, s0
	s_cbranch_execz .LBB59_27
; %bb.22:                               ;   in Loop: Header=BB59_3 Depth=1
	s_mov_b32 s31, exec_lo
                                        ; implicit-def: $vgpr17
	v_cmpx_lt_i32_e32 2, v19
	s_xor_b32 s31, exec_lo, s31
; %bb.23:                               ;   in Loop: Header=BB59_3 Depth=1
	v_xor3_b32 v15, v36, v28, v23
                                        ; implicit-def: $vgpr18
	s_delay_alu instid0(VALU_DEP_1) | instskip(NEXT) | instid1(VALU_DEP_1)
	v_mul_hi_u32 v15, 0xd2511f53, v15
	v_xor3_b32 v17, v15, v26, v38
; %bb.24:                               ;   in Loop: Header=BB59_3 Depth=1
	s_and_not1_saveexec_b32 s31, s31
; %bb.25:                               ;   in Loop: Header=BB59_3 Depth=1
	v_dual_mov_b32 v17, v14 :: v_dual_mov_b32 v14, v13
	v_dual_mov_b32 v13, v12 :: v_dual_mov_b32 v12, v18
; %bb.26:                               ;   in Loop: Header=BB59_3 Depth=1
	s_or_b32 exec_lo, exec_lo, s31
                                        ; implicit-def: $vgpr20_vgpr21
                                        ; implicit-def: $vgpr19
                                        ; implicit-def: $vgpr18
                                        ; implicit-def: $vgpr37
                                        ; implicit-def: $vgpr24_vgpr25
                                        ; implicit-def: $vgpr21_vgpr22
                                        ; implicit-def: $vgpr22
.LBB59_27:                              ;   in Loop: Header=BB59_3 Depth=1
	s_and_not1_saveexec_b32 s0, s0
	s_cbranch_execz .LBB59_31
; %bb.28:                               ;   in Loop: Header=BB59_3 Depth=1
	v_xor3_b32 v14, v37, v25, v20
	v_cmp_eq_u32_e32 vcc_lo, 1, v19
	v_mov_b32_e32 v17, v12
	s_delay_alu instid0(VALU_DEP_3) | instskip(SKIP_1) | instid1(VALU_DEP_2)
	v_mad_u64_u32 v[15:16], null, 0xcd9e8d57, v14, 0
	v_mov_b32_e32 v14, v18
	v_xor3_b32 v19, v16, v21, v22
	s_delay_alu instid0(VALU_DEP_3)
	v_mov_b32_e32 v16, v15
	s_and_saveexec_b32 s31, vcc_lo
; %bb.29:                               ;   in Loop: Header=BB59_3 Depth=1
	v_dual_mov_b32 v17, v13 :: v_dual_mov_b32 v14, v12
	v_dual_mov_b32 v16, v18 :: v_dual_mov_b32 v19, v15
; %bb.30:                               ;   in Loop: Header=BB59_3 Depth=1
	s_or_b32 exec_lo, exec_lo, s31
	s_delay_alu instid0(VALU_DEP_1)
	v_dual_mov_b32 v12, v19 :: v_dual_mov_b32 v13, v16
.LBB59_31:                              ;   in Loop: Header=BB59_3 Depth=1
	s_or_b32 exec_lo, exec_lo, s0
	v_min_i32_e32 v15, 4, v32
	s_mov_b32 s31, 0
	s_mov_b32 s38, 0
                                        ; implicit-def: $sgpr33
                                        ; implicit-def: $sgpr34
                                        ; implicit-def: $sgpr35
	s_mov_b32 s0, exec_lo
	s_delay_alu instid0(VALU_DEP_1)
	v_cmpx_lt_i32_e32 2, v15
	s_xor_b32 s36, exec_lo, s0
	s_cbranch_execz .LBB59_41
; %bb.32:                               ;   in Loop: Header=BB59_3 Depth=1
	s_mov_b32 s35, -1
	s_mov_b32 s34, exec_lo
                                        ; implicit-def: $sgpr33
                                        ; implicit-def: $sgpr37
	v_cmpx_lt_i32_e32 3, v15
	s_cbranch_execz .LBB59_36
; %bb.33:                               ;   in Loop: Header=BB59_3 Depth=1
	v_cmp_le_f32_e32 vcc_lo, 0, v35
	v_cmp_ge_f32_e64 s0, 1.0, v35
	s_mov_b32 s33, 0
	s_delay_alu instid0(VALU_DEP_1)
	s_and_b32 s37, vcc_lo, s0
	s_mov_b32 s0, 0
	s_and_saveexec_b32 s35, s37
	s_cbranch_execz .LBB59_35
; %bb.34:                               ;   in Loop: Header=BB59_3 Depth=1
	v_cvt_f32_u32_e32 v16, v17
	v_lshlrev_b64 v[10:11], 1, v[10:11]
	s_mov_b32 s0, exec_lo
	s_delay_alu instid0(VALU_DEP_2) | instskip(NEXT) | instid1(VALU_DEP_2)
	v_fmaak_f32 v16, 0x2f800000, v16, 0x2f800000
	v_add_co_u32 v10, vcc_lo, s12, v10
	s_delay_alu instid0(VALU_DEP_3) | instskip(NEXT) | instid1(VALU_DEP_3)
	v_add_co_ci_u32_e32 v11, vcc_lo, s13, v11, vcc_lo
	v_cmp_le_f32_e32 vcc_lo, v16, v35
	v_cndmask_b32_e64 v16, 0, 1, vcc_lo
	global_store_b16 v[10:11], v16, off
.LBB59_35:                              ;   in Loop: Header=BB59_3 Depth=1
	s_or_b32 exec_lo, exec_lo, s35
	s_mov_b32 s37, -1
	s_or_not1_b32 s35, s0, exec_lo
.LBB59_36:                              ;   in Loop: Header=BB59_3 Depth=1
	s_or_b32 exec_lo, exec_lo, s34
	s_mov_b32 s0, 0
	s_mov_b32 s38, s33
	s_and_saveexec_b32 s34, s35
	s_cbranch_execz .LBB59_40
; %bb.37:                               ;   in Loop: Header=BB59_3 Depth=1
	v_cmp_le_f32_e32 vcc_lo, 0, v34
	v_cmp_ge_f32_e64 s0, 1.0, v34
	s_delay_alu instid0(VALU_DEP_1) | instskip(SKIP_2) | instid1(SALU_CYCLE_1)
	s_and_b32 s35, vcc_lo, s0
	s_mov_b32 s0, 0
	s_and_saveexec_b32 s38, s35
	s_xor_b32 s35, exec_lo, s38
	s_cbranch_execz .LBB59_39
; %bb.38:                               ;   in Loop: Header=BB59_3 Depth=1
	v_cvt_f32_u32_e32 v10, v14
	v_lshlrev_b64 v[8:9], 1, v[8:9]
	s_mov_b32 s0, exec_lo
	s_delay_alu instid0(VALU_DEP_2) | instskip(NEXT) | instid1(VALU_DEP_2)
	v_fmaak_f32 v10, 0x2f800000, v10, 0x2f800000
	v_add_co_u32 v8, vcc_lo, s12, v8
	s_delay_alu instid0(VALU_DEP_3) | instskip(NEXT) | instid1(VALU_DEP_3)
	v_add_co_ci_u32_e32 v9, vcc_lo, s13, v9, vcc_lo
	v_cmp_le_f32_e32 vcc_lo, v10, v34
	v_cndmask_b32_e64 v10, 0, 1, vcc_lo
	global_store_b16 v[8:9], v10, off
.LBB59_39:                              ;   in Loop: Header=BB59_3 Depth=1
	s_or_b32 exec_lo, exec_lo, s35
	s_delay_alu instid0(SALU_CYCLE_1)
	s_and_not1_b32 s38, s33, exec_lo
	s_or_b32 s33, s33, exec_lo
	s_and_not1_b32 s37, s37, exec_lo
	s_and_b32 s0, s0, exec_lo
.LBB59_40:                              ;   in Loop: Header=BB59_3 Depth=1
	s_or_b32 exec_lo, exec_lo, s34
	s_delay_alu instid0(SALU_CYCLE_1)
	s_and_b32 s35, s38, exec_lo
	s_and_b32 s34, s33, exec_lo
	;; [unrolled: 1-line block ×4, first 2 shown]
.LBB59_41:                              ;   in Loop: Header=BB59_3 Depth=1
	s_and_not1_saveexec_b32 s0, s36
; %bb.42:                               ;   in Loop: Header=BB59_3 Depth=1
	v_cmp_lt_i32_e32 vcc_lo, 1, v15
	s_and_not1_b32 s36, s38, exec_lo
	s_mov_b32 s31, exec_lo
	s_and_not1_b32 s35, s35, exec_lo
	s_and_not1_b32 s34, s34, exec_lo
	s_and_b32 s37, vcc_lo, exec_lo
	s_and_not1_b32 s33, s33, exec_lo
	s_or_b32 s38, s36, s37
; %bb.43:                               ;   in Loop: Header=BB59_3 Depth=1
	s_or_b32 exec_lo, exec_lo, s0
	s_mov_b32 s36, 0
	s_mov_b32 s0, 0
	;; [unrolled: 1-line block ×3, first 2 shown]
	s_and_saveexec_b32 s39, s38
	s_cbranch_execnz .LBB59_46
; %bb.44:                               ;   in Loop: Header=BB59_3 Depth=1
	s_or_b32 exec_lo, exec_lo, s39
	s_and_saveexec_b32 s38, s31
	s_cbranch_execnz .LBB59_49
.LBB59_45:                              ;   in Loop: Header=BB59_3 Depth=1
	s_or_b32 exec_lo, exec_lo, s38
	s_and_saveexec_b32 s31, s0
	s_cbranch_execnz .LBB59_50
	s_branch .LBB59_53
.LBB59_46:                              ;   in Loop: Header=BB59_3 Depth=1
	v_cmp_le_f32_e32 vcc_lo, 0, v33
	v_cmp_ge_f32_e64 s0, 1.0, v33
	s_delay_alu instid0(VALU_DEP_1) | instskip(SKIP_2) | instid1(SALU_CYCLE_1)
	s_and_b32 s37, vcc_lo, s0
	s_mov_b32 s0, 0
	s_and_saveexec_b32 s38, s37
	s_xor_b32 s37, exec_lo, s38
	s_cbranch_execz .LBB59_48
; %bb.47:                               ;   in Loop: Header=BB59_3 Depth=1
	v_cvt_f32_u32_e32 v8, v13
	v_lshlrev_b64 v[6:7], 1, v[6:7]
	s_mov_b32 s0, exec_lo
	s_delay_alu instid0(VALU_DEP_2) | instskip(NEXT) | instid1(VALU_DEP_2)
	v_fmaak_f32 v8, 0x2f800000, v8, 0x2f800000
	v_add_co_u32 v6, vcc_lo, s12, v6
	s_delay_alu instid0(VALU_DEP_3) | instskip(NEXT) | instid1(VALU_DEP_3)
	v_add_co_ci_u32_e32 v7, vcc_lo, s13, v7, vcc_lo
	v_cmp_le_f32_e32 vcc_lo, v8, v33
	v_cndmask_b32_e64 v8, 0, 1, vcc_lo
	global_store_b16 v[6:7], v8, off
.LBB59_48:                              ;   in Loop: Header=BB59_3 Depth=1
	s_or_b32 exec_lo, exec_lo, s37
	s_delay_alu instid0(SALU_CYCLE_1)
	s_and_not1_b32 s37, s35, exec_lo
	s_or_b32 s35, s35, exec_lo
	s_and_not1_b32 s34, s34, exec_lo
	s_and_not1_b32 s33, s33, exec_lo
	s_and_b32 s0, s0, exec_lo
	s_and_not1_b32 s31, s31, exec_lo
	s_or_b32 exec_lo, exec_lo, s39
	s_and_saveexec_b32 s38, s31
	s_cbranch_execz .LBB59_45
.LBB59_49:                              ;   in Loop: Header=BB59_3 Depth=1
	v_cmp_eq_u32_e32 vcc_lo, 1, v15
	s_and_not1_b32 s0, s0, exec_lo
	s_mov_b32 s36, exec_lo
	s_and_not1_b32 s37, s37, exec_lo
	s_and_not1_b32 s35, s35, exec_lo
	s_and_b32 s31, vcc_lo, exec_lo
	s_and_not1_b32 s34, s34, exec_lo
	s_and_not1_b32 s33, s33, exec_lo
	s_or_b32 s0, s0, s31
	s_or_b32 exec_lo, exec_lo, s38
	s_and_saveexec_b32 s31, s0
	s_cbranch_execz .LBB59_53
.LBB59_50:                              ;   in Loop: Header=BB59_3 Depth=1
	v_cmp_le_f32_e32 vcc_lo, 0, v3
	v_cmp_ge_f32_e64 s0, 1.0, v3
	s_delay_alu instid0(VALU_DEP_1)
	s_and_b32 s39, vcc_lo, s0
	s_mov_b32 s0, 0
	s_and_saveexec_b32 s38, s39
	s_cbranch_execz .LBB59_52
; %bb.51:                               ;   in Loop: Header=BB59_3 Depth=1
	v_cvt_f32_u32_e32 v7, v12
	v_mov_b32_e32 v6, v4
	s_mov_b32 s0, exec_lo
	s_delay_alu instid0(VALU_DEP_2) | instskip(NEXT) | instid1(VALU_DEP_2)
	v_fmaak_f32 v7, 0x2f800000, v7, 0x2f800000
	v_lshlrev_b64 v[5:6], 1, v[5:6]
	s_delay_alu instid0(VALU_DEP_1) | instskip(NEXT) | instid1(VALU_DEP_2)
	v_add_co_u32 v5, vcc_lo, s12, v5
	v_add_co_ci_u32_e32 v6, vcc_lo, s13, v6, vcc_lo
	s_delay_alu instid0(VALU_DEP_4)
	v_cmp_le_f32_e32 vcc_lo, v7, v3
	v_cndmask_b32_e64 v3, 0, 1, vcc_lo
	global_store_b16 v[5:6], v3, off
.LBB59_52:                              ;   in Loop: Header=BB59_3 Depth=1
	s_or_b32 exec_lo, exec_lo, s38
	s_delay_alu instid0(SALU_CYCLE_1)
	s_and_not1_b32 s36, s36, exec_lo
	s_and_b32 s0, s0, exec_lo
	s_or_b32 s37, s37, exec_lo
	s_and_not1_b32 s35, s35, exec_lo
	s_and_not1_b32 s34, s34, exec_lo
	;; [unrolled: 1-line block ×3, first 2 shown]
	s_or_b32 s36, s36, s0
.LBB59_53:                              ;   in Loop: Header=BB59_3 Depth=1
	s_or_b32 exec_lo, exec_lo, s31
	s_delay_alu instid0(SALU_CYCLE_1)
	s_and_not1_b32 s30, s30, exec_lo
	s_and_b32 s31, s37, exec_lo
	s_and_not1_b32 s28, s28, exec_lo
	s_and_b32 s35, s35, exec_lo
	s_or_b32 s30, s30, s31
	s_and_not1_b32 s29, s29, exec_lo
	s_and_b32 s31, s34, exec_lo
	s_and_not1_b32 s27, s27, exec_lo
	s_and_b32 s33, s33, exec_lo
	s_mov_b32 s0, -1
	s_or_b32 s28, s28, s35
	s_or_b32 s29, s29, s31
	;; [unrolled: 1-line block ×3, first 2 shown]
	s_and_saveexec_b32 s31, s36
	s_cbranch_execz .LBB59_2
; %bb.54:                               ;   in Loop: Header=BB59_3 Depth=1
	v_add_nc_u32_e32 v0, s24, v0
	v_subrev_nc_u32_e32 v32, s24, v32
	s_and_not1_b32 s30, s30, exec_lo
	s_and_not1_b32 s28, s28, exec_lo
	;; [unrolled: 1-line block ×3, first 2 shown]
	v_cmp_le_u32_e32 vcc_lo, s16, v0
	s_and_not1_b32 s27, s27, exec_lo
	s_or_not1_b32 s0, vcc_lo, exec_lo
	s_branch .LBB59_2
.LBB59_55:
	s_or_b32 exec_lo, exec_lo, s22
	s_xor_b32 s4, s25, -1
	s_xor_b32 s5, s26, -1
	;; [unrolled: 1-line block ×3, first 2 shown]
	s_mov_b32 s2, 0
	s_and_saveexec_b32 s3, s0
	s_delay_alu instid0(SALU_CYCLE_1)
	s_xor_b32 s0, exec_lo, s3
	s_cbranch_execz .LBB59_64
; %bb.56:
	s_mov_b32 s3, 0
	s_and_saveexec_b32 s2, s5
	s_delay_alu instid0(SALU_CYCLE_1)
	s_xor_b32 s2, exec_lo, s2
	s_cbranch_execz .LBB59_62
; %bb.57:
	s_and_saveexec_b32 s5, s4
	s_delay_alu instid0(SALU_CYCLE_1)
	s_xor_b32 s4, exec_lo, s5
	s_cbranch_execz .LBB59_60
; %bb.58:
	s_and_saveexec_b32 s5, s1
	s_delay_alu instid0(SALU_CYCLE_1)
	s_xor_b32 s1, exec_lo, s5
	s_cbranch_execnz .LBB59_78
.LBB59_59:
	s_or_b32 exec_lo, exec_lo, s1
	s_delay_alu instid0(SALU_CYCLE_1)
	s_and_b32 s3, s3, exec_lo
.LBB59_60:
	s_and_not1_saveexec_b32 s1, s4
	s_cbranch_execnz .LBB59_74
.LBB59_61:
	s_or_b32 exec_lo, exec_lo, s1
	s_delay_alu instid0(SALU_CYCLE_1)
	s_and_b32 s3, s3, exec_lo
.LBB59_62:
	s_and_not1_saveexec_b32 s1, s2
	s_cbranch_execnz .LBB59_70
.LBB59_63:
	s_or_b32 exec_lo, exec_lo, s1
	s_delay_alu instid0(SALU_CYCLE_1)
	s_and_b32 s2, s3, exec_lo
.LBB59_64:
	s_and_not1_saveexec_b32 s0, s0
	s_cbranch_execnz .LBB59_68
; %bb.65:
	s_or_b32 exec_lo, exec_lo, s0
	s_delay_alu instid0(SALU_CYCLE_1)
	s_and_b32 exec_lo, exec_lo, s2
.LBB59_66:
	; divergent unreachable
.LBB59_67:
	s_nop 0
	s_sendmsg sendmsg(MSG_DEALLOC_VGPRS)
	s_endpgm
.LBB59_68:
	s_cbranch_execnz .LBB59_72
; %bb.69:
	s_or_b32 s2, s2, exec_lo
	s_or_b32 exec_lo, exec_lo, s0
	s_delay_alu instid0(SALU_CYCLE_1)
	s_and_b32 exec_lo, exec_lo, s2
	s_cbranch_execnz .LBB59_66
	s_branch .LBB59_67
.LBB59_70:
	s_cbranch_execnz .LBB59_76
; %bb.71:
	s_or_b32 s3, s3, exec_lo
	s_branch .LBB59_63
.LBB59_72:
	s_trap 2
	s_sendmsg_rtn_b32 s0, sendmsg(MSG_RTN_GET_DOORBELL)
	s_mov_b32 ttmp2, m0
	s_waitcnt lgkmcnt(0)
	s_and_b32 s0, s0, 0x3ff
	s_delay_alu instid0(SALU_CYCLE_1) | instskip(NEXT) | instid1(SALU_CYCLE_1)
	s_bitset1_b32 s0, 10
	s_mov_b32 m0, s0
	s_sendmsg sendmsg(MSG_INTERRUPT)
	s_mov_b32 m0, ttmp2
.LBB59_73:                              ; =>This Inner Loop Header: Depth=1
	s_sethalt 5
	s_branch .LBB59_73
.LBB59_74:
	s_cbranch_execnz .LBB59_80
; %bb.75:
	s_or_b32 s3, s3, exec_lo
	s_branch .LBB59_61
.LBB59_76:
	s_trap 2
	s_sendmsg_rtn_b32 s0, sendmsg(MSG_RTN_GET_DOORBELL)
	s_mov_b32 ttmp2, m0
	s_waitcnt lgkmcnt(0)
	s_and_b32 s0, s0, 0x3ff
	s_delay_alu instid0(SALU_CYCLE_1) | instskip(NEXT) | instid1(SALU_CYCLE_1)
	s_bitset1_b32 s0, 10
	s_mov_b32 m0, s0
	s_sendmsg sendmsg(MSG_INTERRUPT)
	s_mov_b32 m0, ttmp2
.LBB59_77:                              ; =>This Inner Loop Header: Depth=1
	s_sethalt 5
	s_branch .LBB59_77
.LBB59_78:
	s_cbranch_execnz .LBB59_82
; %bb.79:
	s_mov_b32 s3, exec_lo
	s_branch .LBB59_59
.LBB59_80:
	s_trap 2
	s_sendmsg_rtn_b32 s0, sendmsg(MSG_RTN_GET_DOORBELL)
	s_mov_b32 ttmp2, m0
	s_waitcnt lgkmcnt(0)
	s_and_b32 s0, s0, 0x3ff
	s_delay_alu instid0(SALU_CYCLE_1) | instskip(NEXT) | instid1(SALU_CYCLE_1)
	s_bitset1_b32 s0, 10
	s_mov_b32 m0, s0
	s_sendmsg sendmsg(MSG_INTERRUPT)
	s_mov_b32 m0, ttmp2
.LBB59_81:                              ; =>This Inner Loop Header: Depth=1
	s_sethalt 5
	s_branch .LBB59_81
.LBB59_82:
	s_trap 2
	s_sendmsg_rtn_b32 s0, sendmsg(MSG_RTN_GET_DOORBELL)
	s_mov_b32 ttmp2, m0
	s_waitcnt lgkmcnt(0)
	s_and_b32 s0, s0, 0x3ff
	s_delay_alu instid0(SALU_CYCLE_1) | instskip(NEXT) | instid1(SALU_CYCLE_1)
	s_bitset1_b32 s0, 10
	s_mov_b32 m0, s0
	s_sendmsg sendmsg(MSG_INTERRUPT)
	s_mov_b32 m0, ttmp2
.LBB59_83:                              ; =>This Inner Loop Header: Depth=1
	s_sethalt 5
	s_branch .LBB59_83
	.section	.rodata,"a",@progbits
	.p2align	6, 0x0
	.amdhsa_kernel _ZN2at4cuda12_GLOBAL__N_121kernelPointwiseApply2IZNS_6native9templates4cuda28bernoulli_tensor_cuda_kernelIsfEEvRKNS_10TensorBaseES9_NS_15PhiloxCudaStateEEUliRsSB_SB_SB_RKfSD_SD_SD_E_sSC_jLi2ELi2ELi4ELi512ELi2EEEvNS0_6detail10TensorInfoIT0_T2_EENSG_IT1_SI_EESI_T_
		.amdhsa_group_segment_fixed_size 0
		.amdhsa_private_segment_fixed_size 0
		.amdhsa_kernarg_size 728
		.amdhsa_user_sgpr_count 15
		.amdhsa_user_sgpr_dispatch_ptr 0
		.amdhsa_user_sgpr_queue_ptr 0
		.amdhsa_user_sgpr_kernarg_segment_ptr 1
		.amdhsa_user_sgpr_dispatch_id 0
		.amdhsa_user_sgpr_private_segment_size 0
		.amdhsa_wavefront_size32 1
		.amdhsa_uses_dynamic_stack 0
		.amdhsa_enable_private_segment 0
		.amdhsa_system_sgpr_workgroup_id_x 1
		.amdhsa_system_sgpr_workgroup_id_y 0
		.amdhsa_system_sgpr_workgroup_id_z 0
		.amdhsa_system_sgpr_workgroup_info 0
		.amdhsa_system_vgpr_workitem_id 0
		.amdhsa_next_free_vgpr 44
		.amdhsa_next_free_sgpr 40
		.amdhsa_reserve_vcc 1
		.amdhsa_float_round_mode_32 0
		.amdhsa_float_round_mode_16_64 0
		.amdhsa_float_denorm_mode_32 3
		.amdhsa_float_denorm_mode_16_64 3
		.amdhsa_dx10_clamp 1
		.amdhsa_ieee_mode 1
		.amdhsa_fp16_overflow 0
		.amdhsa_workgroup_processor_mode 1
		.amdhsa_memory_ordered 1
		.amdhsa_forward_progress 0
		.amdhsa_shared_vgpr_count 0
		.amdhsa_exception_fp_ieee_invalid_op 0
		.amdhsa_exception_fp_denorm_src 0
		.amdhsa_exception_fp_ieee_div_zero 0
		.amdhsa_exception_fp_ieee_overflow 0
		.amdhsa_exception_fp_ieee_underflow 0
		.amdhsa_exception_fp_ieee_inexact 0
		.amdhsa_exception_int_div_zero 0
	.end_amdhsa_kernel
	.section	.text._ZN2at4cuda12_GLOBAL__N_121kernelPointwiseApply2IZNS_6native9templates4cuda28bernoulli_tensor_cuda_kernelIsfEEvRKNS_10TensorBaseES9_NS_15PhiloxCudaStateEEUliRsSB_SB_SB_RKfSD_SD_SD_E_sSC_jLi2ELi2ELi4ELi512ELi2EEEvNS0_6detail10TensorInfoIT0_T2_EENSG_IT1_SI_EESI_T_,"axG",@progbits,_ZN2at4cuda12_GLOBAL__N_121kernelPointwiseApply2IZNS_6native9templates4cuda28bernoulli_tensor_cuda_kernelIsfEEvRKNS_10TensorBaseES9_NS_15PhiloxCudaStateEEUliRsSB_SB_SB_RKfSD_SD_SD_E_sSC_jLi2ELi2ELi4ELi512ELi2EEEvNS0_6detail10TensorInfoIT0_T2_EENSG_IT1_SI_EESI_T_,comdat
.Lfunc_end59:
	.size	_ZN2at4cuda12_GLOBAL__N_121kernelPointwiseApply2IZNS_6native9templates4cuda28bernoulli_tensor_cuda_kernelIsfEEvRKNS_10TensorBaseES9_NS_15PhiloxCudaStateEEUliRsSB_SB_SB_RKfSD_SD_SD_E_sSC_jLi2ELi2ELi4ELi512ELi2EEEvNS0_6detail10TensorInfoIT0_T2_EENSG_IT1_SI_EESI_T_, .Lfunc_end59-_ZN2at4cuda12_GLOBAL__N_121kernelPointwiseApply2IZNS_6native9templates4cuda28bernoulli_tensor_cuda_kernelIsfEEvRKNS_10TensorBaseES9_NS_15PhiloxCudaStateEEUliRsSB_SB_SB_RKfSD_SD_SD_E_sSC_jLi2ELi2ELi4ELi512ELi2EEEvNS0_6detail10TensorInfoIT0_T2_EENSG_IT1_SI_EESI_T_
                                        ; -- End function
	.section	.AMDGPU.csdata,"",@progbits
; Kernel info:
; codeLenInByte = 4236
; NumSgprs: 42
; NumVgprs: 44
; ScratchSize: 0
; MemoryBound: 0
; FloatMode: 240
; IeeeMode: 1
; LDSByteSize: 0 bytes/workgroup (compile time only)
; SGPRBlocks: 5
; VGPRBlocks: 5
; NumSGPRsForWavesPerEU: 42
; NumVGPRsForWavesPerEU: 44
; Occupancy: 16
; WaveLimiterHint : 1
; COMPUTE_PGM_RSRC2:SCRATCH_EN: 0
; COMPUTE_PGM_RSRC2:USER_SGPR: 15
; COMPUTE_PGM_RSRC2:TRAP_HANDLER: 0
; COMPUTE_PGM_RSRC2:TGID_X_EN: 1
; COMPUTE_PGM_RSRC2:TGID_Y_EN: 0
; COMPUTE_PGM_RSRC2:TGID_Z_EN: 0
; COMPUTE_PGM_RSRC2:TIDIG_COMP_CNT: 0
	.section	.text._ZN2at4cuda12_GLOBAL__N_121kernelPointwiseApply2IZNS_6native9templates4cuda28bernoulli_tensor_cuda_kernelIsfEEvRKNS_10TensorBaseES9_NS_15PhiloxCudaStateEEUliRsSB_SB_SB_RKfSD_SD_SD_E_sSC_jLi2ELin1ELi4ELi512ELi2EEEvNS0_6detail10TensorInfoIT0_T2_EENSG_IT1_SI_EESI_T_,"axG",@progbits,_ZN2at4cuda12_GLOBAL__N_121kernelPointwiseApply2IZNS_6native9templates4cuda28bernoulli_tensor_cuda_kernelIsfEEvRKNS_10TensorBaseES9_NS_15PhiloxCudaStateEEUliRsSB_SB_SB_RKfSD_SD_SD_E_sSC_jLi2ELin1ELi4ELi512ELi2EEEvNS0_6detail10TensorInfoIT0_T2_EENSG_IT1_SI_EESI_T_,comdat
	.globl	_ZN2at4cuda12_GLOBAL__N_121kernelPointwiseApply2IZNS_6native9templates4cuda28bernoulli_tensor_cuda_kernelIsfEEvRKNS_10TensorBaseES9_NS_15PhiloxCudaStateEEUliRsSB_SB_SB_RKfSD_SD_SD_E_sSC_jLi2ELin1ELi4ELi512ELi2EEEvNS0_6detail10TensorInfoIT0_T2_EENSG_IT1_SI_EESI_T_ ; -- Begin function _ZN2at4cuda12_GLOBAL__N_121kernelPointwiseApply2IZNS_6native9templates4cuda28bernoulli_tensor_cuda_kernelIsfEEvRKNS_10TensorBaseES9_NS_15PhiloxCudaStateEEUliRsSB_SB_SB_RKfSD_SD_SD_E_sSC_jLi2ELin1ELi4ELi512ELi2EEEvNS0_6detail10TensorInfoIT0_T2_EENSG_IT1_SI_EESI_T_
	.p2align	8
	.type	_ZN2at4cuda12_GLOBAL__N_121kernelPointwiseApply2IZNS_6native9templates4cuda28bernoulli_tensor_cuda_kernelIsfEEvRKNS_10TensorBaseES9_NS_15PhiloxCudaStateEEUliRsSB_SB_SB_RKfSD_SD_SD_E_sSC_jLi2ELin1ELi4ELi512ELi2EEEvNS0_6detail10TensorInfoIT0_T2_EENSG_IT1_SI_EESI_T_,@function
_ZN2at4cuda12_GLOBAL__N_121kernelPointwiseApply2IZNS_6native9templates4cuda28bernoulli_tensor_cuda_kernelIsfEEvRKNS_10TensorBaseES9_NS_15PhiloxCudaStateEEUliRsSB_SB_SB_RKfSD_SD_SD_E_sSC_jLi2ELin1ELi4ELi512ELi2EEEvNS0_6detail10TensorInfoIT0_T2_EENSG_IT1_SI_EESI_T_: ; @_ZN2at4cuda12_GLOBAL__N_121kernelPointwiseApply2IZNS_6native9templates4cuda28bernoulli_tensor_cuda_kernelIsfEEvRKNS_10TensorBaseES9_NS_15PhiloxCudaStateEEUliRsSB_SB_SB_RKfSD_SD_SD_E_sSC_jLi2ELin1ELi4ELi512ELi2EEEvNS0_6detail10TensorInfoIT0_T2_EENSG_IT1_SI_EESI_T_
; %bb.0:
	s_clause 0x1
	s_load_b32 s2, s[0:1], 0x1e4
	s_load_b32 s18, s[0:1], 0x1b0
	s_add_u32 s4, s0, 0x1d8
	s_addc_u32 s5, s1, 0
	s_waitcnt lgkmcnt(0)
	s_and_b32 s14, s2, 0xffff
	s_mov_b32 s2, exec_lo
	v_mad_u64_u32 v[1:2], null, s15, s14, v[0:1]
	s_delay_alu instid0(VALU_DEP_1) | instskip(NEXT) | instid1(VALU_DEP_1)
	v_lshlrev_b32_e32 v27, 2, v1
	v_cmpx_gt_u32_e64 s18, v27
	s_cbranch_execz .LBB60_81
; %bb.1:
	s_clause 0x4
	s_load_b32 s19, s[0:1], 0xc
	s_load_b32 s16, s[0:1], 0x1a8
	;; [unrolled: 1-line block ×3, first 2 shown]
	s_load_b64 s[2:3], s[0:1], 0x6c
	s_load_b64 s[8:9], s[0:1], 0xd8
	s_add_u32 s17, s0, 0xd8
	s_load_b32 s15, s[4:5], 0x0
	s_load_b32 s20, s[0:1], 0x144
	s_addc_u32 s23, s1, 0
	s_load_b64 s[10:11], s[0:1], 0x0
	v_mad_u64_u32 v[2:3], null, 0xcd9e8d57, v1, 0
                                        ; implicit-def: $sgpr26
                                        ; implicit-def: $sgpr28
                                        ; implicit-def: $sgpr27
                                        ; implicit-def: $sgpr29
                                        ; implicit-def: $sgpr31
                                        ; implicit-def: $sgpr30
                                        ; implicit-def: $sgpr33
	s_delay_alu instid0(VALU_DEP_1)
	v_mov_b32_e32 v28, v3
	s_waitcnt lgkmcnt(0)
	v_cvt_f32_u32_e32 v0, s19
	s_cmp_gt_i32 s16, 1
	s_cselect_b32 s21, -1, 0
	s_bitcmp1_b32 s6, 0
	s_delay_alu instid0(VALU_DEP_1)
	v_rcp_iflag_f32_e32 v0, v0
	s_cselect_b32 s22, -1, 0
	s_sub_i32 s4, 0, s19
	s_mul_i32 s15, s15, s14
	s_add_i32 s25, s16, 1
	s_lshl_b32 s24, s15, 2
	s_waitcnt_depctr 0xfff
	v_mul_f32_e32 v0, 0x4f7ffffe, v0
	s_delay_alu instid0(VALU_DEP_1) | instskip(NEXT) | instid1(VALU_DEP_1)
	v_cvt_u32_f32_e32 v0, v0
	v_mul_lo_u32 v5, s4, v0
	s_clause 0x1
	s_load_b64 s[12:13], s[0:1], 0x1c8
	s_load_b128 s[4:7], s[0:1], 0x1b8
	s_mov_b32 s1, 0
	s_add_i32 s0, s16, -1
	s_delay_alu instid0(SALU_CYCLE_1) | instskip(NEXT) | instid1(SALU_CYCLE_1)
	s_lshl_b64 s[14:15], s[0:1], 2
	s_add_u32 s0, s14, s17
	v_mul_hi_u32 v5, v0, v5
	v_mov_b32_e32 v4, 0
	s_addc_u32 s15, s15, s23
	s_add_u32 s14, s0, 8
	s_addc_u32 s15, s15, 0
                                        ; implicit-def: $sgpr23
	s_delay_alu instid0(VALU_DEP_2)
	v_add_nc_u32_e32 v29, v0, v5
	s_branch .LBB60_3
.LBB60_2:                               ;   in Loop: Header=BB60_3 Depth=1
	s_or_b32 exec_lo, exec_lo, s16
	s_delay_alu instid0(SALU_CYCLE_1) | instskip(NEXT) | instid1(SALU_CYCLE_1)
	s_and_b32 s0, exec_lo, s0
	s_or_b32 s1, s0, s1
	s_and_not1_b32 s0, s23, exec_lo
	s_and_b32 s16, s33, exec_lo
	s_and_not1_b32 s17, s27, exec_lo
	s_and_b32 s27, s30, exec_lo
	s_or_b32 s23, s0, s16
	s_or_b32 s27, s17, s27
	s_and_not1_b32 s0, s28, exec_lo
	s_and_b32 s16, s31, exec_lo
	s_and_not1_b32 s17, s26, exec_lo
	s_and_b32 s26, s29, exec_lo
	s_or_b32 s28, s0, s16
	s_or_b32 s26, s17, s26
	s_and_not1_b32 exec_lo, exec_lo, s1
	s_cbranch_execz .LBB60_69
.LBB60_3:                               ; =>This Loop Header: Depth=1
                                        ;     Child Loop BB60_8 Depth 2
                                        ;     Child Loop BB60_15 Depth 2
	;; [unrolled: 1-line block ×4, first 2 shown]
	v_sub_nc_u32_e32 v30, s18, v27
	v_mov_b32_e32 v5, 0
	s_delay_alu instid0(VALU_DEP_2)
	v_cmp_lt_i32_e32 vcc_lo, 0, v30
	s_and_saveexec_b32 s16, vcc_lo
	s_cbranch_execz .LBB60_5
; %bb.4:                                ;   in Loop: Header=BB60_3 Depth=1
	v_mul_hi_u32 v0, v27, v29
	s_delay_alu instid0(VALU_DEP_1) | instskip(SKIP_1) | instid1(VALU_DEP_2)
	v_mul_lo_u32 v3, v0, s19
	v_add_nc_u32_e32 v5, 1, v0
	v_sub_nc_u32_e32 v3, v27, v3
	s_delay_alu instid0(VALU_DEP_1) | instskip(SKIP_1) | instid1(VALU_DEP_1)
	v_subrev_nc_u32_e32 v6, s19, v3
	v_cmp_le_u32_e64 s0, s19, v3
	v_cndmask_b32_e64 v0, v0, v5, s0
	s_delay_alu instid0(VALU_DEP_3) | instskip(NEXT) | instid1(VALU_DEP_2)
	v_cndmask_b32_e64 v3, v3, v6, s0
	v_add_nc_u32_e32 v5, 1, v0
	s_delay_alu instid0(VALU_DEP_2) | instskip(NEXT) | instid1(VALU_DEP_1)
	v_cmp_le_u32_e64 s0, s19, v3
	v_cndmask_b32_e64 v3, v0, v5, s0
	s_delay_alu instid0(VALU_DEP_1) | instskip(NEXT) | instid1(VALU_DEP_1)
	v_mul_lo_u32 v0, v3, s19
	v_sub_nc_u32_e32 v0, v27, v0
	s_delay_alu instid0(VALU_DEP_1) | instskip(NEXT) | instid1(VALU_DEP_1)
	v_mul_lo_u32 v0, v0, s3
	v_mad_u64_u32 v[5:6], null, v3, s2, v[0:1]
.LBB60_5:                               ;   in Loop: Header=BB60_3 Depth=1
	s_or_b32 exec_lo, exec_lo, s16
	v_mov_b32_e32 v3, 0
	s_and_saveexec_b32 s0, vcc_lo
	s_cbranch_execz .LBB60_10
; %bb.6:                                ;   in Loop: Header=BB60_3 Depth=1
	v_dual_mov_b32 v0, 0 :: v_dual_mov_b32 v3, v27
	s_and_not1_b32 vcc_lo, exec_lo, s21
	s_cbranch_vccnz .LBB60_9
; %bb.7:                                ;   in Loop: Header=BB60_3 Depth=1
	v_dual_mov_b32 v0, 0 :: v_dual_mov_b32 v3, v27
	s_mov_b64 s[16:17], s[14:15]
	s_mov_b32 s34, s25
	s_set_inst_prefetch_distance 0x1
	.p2align	6
.LBB60_8:                               ;   Parent Loop BB60_3 Depth=1
                                        ; =>  This Inner Loop Header: Depth=2
	s_clause 0x1
	s_load_b32 s35, s[16:17], 0x0
	s_load_b32 s36, s[16:17], 0x64
	s_add_i32 s34, s34, -1
	s_waitcnt lgkmcnt(0)
	v_cvt_f32_u32_e32 v6, s35
	s_sub_i32 s37, 0, s35
	s_add_u32 s16, s16, -4
	s_addc_u32 s17, s17, -1
	s_cmp_gt_u32 s34, 2
	v_rcp_iflag_f32_e32 v6, v6
	s_waitcnt_depctr 0xfff
	v_mul_f32_e32 v6, 0x4f7ffffe, v6
	s_delay_alu instid0(VALU_DEP_1) | instskip(NEXT) | instid1(VALU_DEP_1)
	v_cvt_u32_f32_e32 v6, v6
	v_mul_lo_u32 v7, s37, v6
	s_delay_alu instid0(VALU_DEP_1) | instskip(NEXT) | instid1(VALU_DEP_1)
	v_mul_hi_u32 v7, v6, v7
	v_dual_mov_b32 v8, v3 :: v_dual_add_nc_u32 v3, v6, v7
	s_delay_alu instid0(VALU_DEP_1) | instskip(NEXT) | instid1(VALU_DEP_1)
	v_mul_hi_u32 v3, v8, v3
	v_mul_lo_u32 v6, v3, s35
	v_add_nc_u32_e32 v7, 1, v3
	s_delay_alu instid0(VALU_DEP_2) | instskip(NEXT) | instid1(VALU_DEP_1)
	v_sub_nc_u32_e32 v6, v8, v6
	v_subrev_nc_u32_e32 v9, s35, v6
	v_cmp_le_u32_e32 vcc_lo, s35, v6
	s_delay_alu instid0(VALU_DEP_2) | instskip(NEXT) | instid1(VALU_DEP_1)
	v_dual_cndmask_b32 v3, v3, v7 :: v_dual_cndmask_b32 v6, v6, v9
	v_add_nc_u32_e32 v7, 1, v3
	s_delay_alu instid0(VALU_DEP_2) | instskip(NEXT) | instid1(VALU_DEP_2)
	v_cmp_le_u32_e32 vcc_lo, s35, v6
	v_cndmask_b32_e32 v3, v3, v7, vcc_lo
	s_delay_alu instid0(VALU_DEP_1) | instskip(NEXT) | instid1(VALU_DEP_1)
	v_mul_lo_u32 v6, v3, s35
	v_sub_nc_u32_e32 v8, v8, v6
	s_delay_alu instid0(VALU_DEP_1) | instskip(NEXT) | instid1(VALU_DEP_1)
	v_mad_u64_u32 v[6:7], null, s36, v8, v[0:1]
	v_mov_b32_e32 v0, v6
	s_cbranch_scc1 .LBB60_8
.LBB60_9:                               ;   in Loop: Header=BB60_3 Depth=1
	s_set_inst_prefetch_distance 0x2
	s_delay_alu instid0(VALU_DEP_1) | instskip(NEXT) | instid1(VALU_DEP_1)
	v_mad_u64_u32 v[6:7], null, s20, v3, v[0:1]
	v_mov_b32_e32 v3, v6
.LBB60_10:                              ;   in Loop: Header=BB60_3 Depth=1
	s_or_b32 exec_lo, exec_lo, s0
	v_or_b32_e32 v8, 1, v27
	v_cmp_lt_i32_e32 vcc_lo, 1, v30
	v_mov_b32_e32 v10, 0
	v_mov_b32_e32 v6, 0
	s_and_saveexec_b32 s16, vcc_lo
	s_cbranch_execz .LBB60_12
; %bb.11:                               ;   in Loop: Header=BB60_3 Depth=1
	v_mul_hi_u32 v0, v8, v29
	s_delay_alu instid0(VALU_DEP_1) | instskip(SKIP_1) | instid1(VALU_DEP_2)
	v_mul_lo_u32 v6, v0, s19
	v_add_nc_u32_e32 v7, 1, v0
	v_sub_nc_u32_e32 v6, v8, v6
	s_delay_alu instid0(VALU_DEP_1) | instskip(SKIP_1) | instid1(VALU_DEP_1)
	v_subrev_nc_u32_e32 v9, s19, v6
	v_cmp_le_u32_e64 s0, s19, v6
	v_cndmask_b32_e64 v0, v0, v7, s0
	s_delay_alu instid0(VALU_DEP_3) | instskip(NEXT) | instid1(VALU_DEP_2)
	v_cndmask_b32_e64 v6, v6, v9, s0
	v_add_nc_u32_e32 v7, 1, v0
	s_delay_alu instid0(VALU_DEP_2) | instskip(NEXT) | instid1(VALU_DEP_1)
	v_cmp_le_u32_e64 s0, s19, v6
	v_cndmask_b32_e64 v9, v0, v7, s0
	s_delay_alu instid0(VALU_DEP_1) | instskip(NEXT) | instid1(VALU_DEP_1)
	v_mul_lo_u32 v0, v9, s19
	v_sub_nc_u32_e32 v0, v8, v0
	s_delay_alu instid0(VALU_DEP_1) | instskip(NEXT) | instid1(VALU_DEP_1)
	v_mul_lo_u32 v0, v0, s3
	v_mad_u64_u32 v[6:7], null, v9, s2, v[0:1]
.LBB60_12:                              ;   in Loop: Header=BB60_3 Depth=1
	s_or_b32 exec_lo, exec_lo, s16
	s_and_saveexec_b32 s0, vcc_lo
	s_cbranch_execz .LBB60_17
; %bb.13:                               ;   in Loop: Header=BB60_3 Depth=1
	v_mov_b32_e32 v0, 0
	s_and_not1_b32 vcc_lo, exec_lo, s21
	s_cbranch_vccnz .LBB60_16
; %bb.14:                               ;   in Loop: Header=BB60_3 Depth=1
	v_mov_b32_e32 v0, 0
	s_mov_b64 s[16:17], s[14:15]
	s_mov_b32 s34, s25
	s_set_inst_prefetch_distance 0x1
	.p2align	6
.LBB60_15:                              ;   Parent Loop BB60_3 Depth=1
                                        ; =>  This Inner Loop Header: Depth=2
	s_clause 0x1
	s_load_b32 s35, s[16:17], 0x0
	s_load_b32 s36, s[16:17], 0x64
	s_add_i32 s34, s34, -1
	v_mov_b32_e32 v10, v8
	s_waitcnt lgkmcnt(0)
	v_cvt_f32_u32_e32 v7, s35
	s_sub_i32 s37, 0, s35
	s_add_u32 s16, s16, -4
	s_addc_u32 s17, s17, -1
	s_cmp_gt_u32 s34, 2
	v_rcp_iflag_f32_e32 v7, v7
	s_waitcnt_depctr 0xfff
	v_mul_f32_e32 v7, 0x4f7ffffe, v7
	s_delay_alu instid0(VALU_DEP_1) | instskip(NEXT) | instid1(VALU_DEP_1)
	v_cvt_u32_f32_e32 v7, v7
	v_mul_lo_u32 v9, s37, v7
	s_delay_alu instid0(VALU_DEP_1) | instskip(NEXT) | instid1(VALU_DEP_1)
	v_mul_hi_u32 v9, v7, v9
	v_add_nc_u32_e32 v7, v7, v9
	s_delay_alu instid0(VALU_DEP_1) | instskip(NEXT) | instid1(VALU_DEP_1)
	v_mul_hi_u32 v7, v10, v7
	v_mul_lo_u32 v8, v7, s35
	v_add_nc_u32_e32 v9, 1, v7
	s_delay_alu instid0(VALU_DEP_2) | instskip(NEXT) | instid1(VALU_DEP_1)
	v_sub_nc_u32_e32 v8, v10, v8
	v_subrev_nc_u32_e32 v11, s35, v8
	v_cmp_le_u32_e32 vcc_lo, s35, v8
	s_delay_alu instid0(VALU_DEP_2) | instskip(NEXT) | instid1(VALU_DEP_1)
	v_dual_cndmask_b32 v8, v8, v11 :: v_dual_cndmask_b32 v7, v7, v9
	v_cmp_le_u32_e32 vcc_lo, s35, v8
	s_delay_alu instid0(VALU_DEP_2) | instskip(NEXT) | instid1(VALU_DEP_1)
	v_add_nc_u32_e32 v9, 1, v7
	v_cndmask_b32_e32 v8, v7, v9, vcc_lo
	s_delay_alu instid0(VALU_DEP_1) | instskip(NEXT) | instid1(VALU_DEP_1)
	v_mul_lo_u32 v7, v8, s35
	v_sub_nc_u32_e32 v7, v10, v7
	s_delay_alu instid0(VALU_DEP_1) | instskip(NEXT) | instid1(VALU_DEP_1)
	v_mad_u64_u32 v[9:10], null, s36, v7, v[0:1]
	v_mov_b32_e32 v0, v9
	s_cbranch_scc1 .LBB60_15
.LBB60_16:                              ;   in Loop: Header=BB60_3 Depth=1
	s_set_inst_prefetch_distance 0x2
	s_delay_alu instid0(VALU_DEP_1)
	v_mad_u64_u32 v[10:11], null, s20, v8, v[0:1]
.LBB60_17:                              ;   in Loop: Header=BB60_3 Depth=1
	s_or_b32 exec_lo, exec_lo, s0
	v_or_b32_e32 v9, 2, v27
	v_cmp_lt_i32_e32 vcc_lo, 2, v30
	v_mov_b32_e32 v7, 0
	s_and_saveexec_b32 s16, vcc_lo
	s_cbranch_execz .LBB60_19
; %bb.18:                               ;   in Loop: Header=BB60_3 Depth=1
	v_mul_hi_u32 v0, v9, v29
	s_delay_alu instid0(VALU_DEP_1) | instskip(SKIP_1) | instid1(VALU_DEP_2)
	v_mul_lo_u32 v7, v0, s19
	v_add_nc_u32_e32 v8, 1, v0
	v_sub_nc_u32_e32 v7, v9, v7
	s_delay_alu instid0(VALU_DEP_1) | instskip(SKIP_1) | instid1(VALU_DEP_1)
	v_subrev_nc_u32_e32 v11, s19, v7
	v_cmp_le_u32_e64 s0, s19, v7
	v_cndmask_b32_e64 v0, v0, v8, s0
	s_delay_alu instid0(VALU_DEP_3) | instskip(NEXT) | instid1(VALU_DEP_2)
	v_cndmask_b32_e64 v7, v7, v11, s0
	v_add_nc_u32_e32 v8, 1, v0
	s_delay_alu instid0(VALU_DEP_2) | instskip(NEXT) | instid1(VALU_DEP_1)
	v_cmp_le_u32_e64 s0, s19, v7
	v_cndmask_b32_e64 v11, v0, v8, s0
	s_delay_alu instid0(VALU_DEP_1) | instskip(NEXT) | instid1(VALU_DEP_1)
	v_mul_lo_u32 v0, v11, s19
	v_sub_nc_u32_e32 v0, v9, v0
	s_delay_alu instid0(VALU_DEP_1) | instskip(NEXT) | instid1(VALU_DEP_1)
	v_mul_lo_u32 v0, v0, s3
	v_mad_u64_u32 v[7:8], null, v11, s2, v[0:1]
.LBB60_19:                              ;   in Loop: Header=BB60_3 Depth=1
	s_or_b32 exec_lo, exec_lo, s16
	v_mov_b32_e32 v12, 0
	v_mov_b32_e32 v13, 0
	s_and_saveexec_b32 s0, vcc_lo
	s_cbranch_execz .LBB60_24
; %bb.20:                               ;   in Loop: Header=BB60_3 Depth=1
	v_mov_b32_e32 v0, 0
	s_and_not1_b32 vcc_lo, exec_lo, s21
	s_cbranch_vccnz .LBB60_23
; %bb.21:                               ;   in Loop: Header=BB60_3 Depth=1
	v_mov_b32_e32 v0, 0
	s_mov_b64 s[16:17], s[14:15]
	s_mov_b32 s34, s25
	s_set_inst_prefetch_distance 0x1
	.p2align	6
.LBB60_22:                              ;   Parent Loop BB60_3 Depth=1
                                        ; =>  This Inner Loop Header: Depth=2
	s_clause 0x1
	s_load_b32 s35, s[16:17], 0x0
	s_load_b32 s36, s[16:17], 0x64
	v_mov_b32_e32 v12, v9
	s_add_i32 s34, s34, -1
	s_waitcnt lgkmcnt(0)
	v_cvt_f32_u32_e32 v8, s35
	s_sub_i32 s37, 0, s35
	s_add_u32 s16, s16, -4
	s_addc_u32 s17, s17, -1
	s_cmp_gt_u32 s34, 2
	v_rcp_iflag_f32_e32 v8, v8
	s_waitcnt_depctr 0xfff
	v_mul_f32_e32 v8, 0x4f7ffffe, v8
	s_delay_alu instid0(VALU_DEP_1) | instskip(NEXT) | instid1(VALU_DEP_1)
	v_cvt_u32_f32_e32 v8, v8
	v_mul_lo_u32 v11, s37, v8
	s_delay_alu instid0(VALU_DEP_1) | instskip(NEXT) | instid1(VALU_DEP_1)
	v_mul_hi_u32 v11, v8, v11
	v_add_nc_u32_e32 v8, v8, v11
	s_delay_alu instid0(VALU_DEP_1) | instskip(NEXT) | instid1(VALU_DEP_1)
	v_mul_hi_u32 v8, v12, v8
	v_mul_lo_u32 v9, v8, s35
	v_add_nc_u32_e32 v11, 1, v8
	s_delay_alu instid0(VALU_DEP_2) | instskip(NEXT) | instid1(VALU_DEP_1)
	v_sub_nc_u32_e32 v9, v12, v9
	v_subrev_nc_u32_e32 v13, s35, v9
	v_cmp_le_u32_e32 vcc_lo, s35, v9
	s_delay_alu instid0(VALU_DEP_2) | instskip(NEXT) | instid1(VALU_DEP_1)
	v_dual_cndmask_b32 v9, v9, v13 :: v_dual_cndmask_b32 v8, v8, v11
	v_cmp_le_u32_e32 vcc_lo, s35, v9
	s_delay_alu instid0(VALU_DEP_2) | instskip(NEXT) | instid1(VALU_DEP_1)
	v_add_nc_u32_e32 v11, 1, v8
	v_cndmask_b32_e32 v9, v8, v11, vcc_lo
	s_delay_alu instid0(VALU_DEP_1) | instskip(NEXT) | instid1(VALU_DEP_1)
	v_mul_lo_u32 v8, v9, s35
	v_sub_nc_u32_e32 v8, v12, v8
	s_delay_alu instid0(VALU_DEP_1) | instskip(NEXT) | instid1(VALU_DEP_1)
	v_mad_u64_u32 v[11:12], null, s36, v8, v[0:1]
	v_mov_b32_e32 v0, v11
	s_cbranch_scc1 .LBB60_22
.LBB60_23:                              ;   in Loop: Header=BB60_3 Depth=1
	s_set_inst_prefetch_distance 0x2
	s_delay_alu instid0(VALU_DEP_1)
	v_mad_u64_u32 v[12:13], null, s20, v9, v[0:1]
	v_mov_b32_e32 v13, v4
.LBB60_24:                              ;   in Loop: Header=BB60_3 Depth=1
	s_or_b32 exec_lo, exec_lo, s0
	v_mov_b32_e32 v14, 0
	v_mov_b32_e32 v15, 0
	v_or_b32_e32 v11, 3, v27
	v_cmp_lt_i32_e32 vcc_lo, 3, v30
	s_delay_alu instid0(VALU_DEP_3)
	v_dual_mov_b32 v8, v14 :: v_dual_mov_b32 v9, v15
	s_and_saveexec_b32 s16, vcc_lo
	s_cbranch_execz .LBB60_26
; %bb.25:                               ;   in Loop: Header=BB60_3 Depth=1
	v_mul_hi_u32 v0, v11, v29
	s_delay_alu instid0(VALU_DEP_1) | instskip(SKIP_1) | instid1(VALU_DEP_2)
	v_mul_lo_u32 v8, v0, s19
	v_add_nc_u32_e32 v9, 1, v0
	v_sub_nc_u32_e32 v8, v11, v8
	s_delay_alu instid0(VALU_DEP_1) | instskip(SKIP_1) | instid1(VALU_DEP_1)
	v_subrev_nc_u32_e32 v16, s19, v8
	v_cmp_le_u32_e64 s0, s19, v8
	v_cndmask_b32_e64 v0, v0, v9, s0
	s_delay_alu instid0(VALU_DEP_3) | instskip(NEXT) | instid1(VALU_DEP_2)
	v_cndmask_b32_e64 v8, v8, v16, s0
	v_add_nc_u32_e32 v9, 1, v0
	s_delay_alu instid0(VALU_DEP_2) | instskip(NEXT) | instid1(VALU_DEP_1)
	v_cmp_le_u32_e64 s0, s19, v8
	v_cndmask_b32_e64 v16, v0, v9, s0
	s_delay_alu instid0(VALU_DEP_1) | instskip(NEXT) | instid1(VALU_DEP_1)
	v_mul_lo_u32 v0, v16, s19
	v_sub_nc_u32_e32 v0, v11, v0
	s_delay_alu instid0(VALU_DEP_1) | instskip(NEXT) | instid1(VALU_DEP_1)
	v_mul_lo_u32 v0, v0, s3
	v_mad_u64_u32 v[8:9], null, v16, s2, v[0:1]
	v_mov_b32_e32 v9, v4
.LBB60_26:                              ;   in Loop: Header=BB60_3 Depth=1
	s_or_b32 exec_lo, exec_lo, s16
	s_and_saveexec_b32 s0, vcc_lo
	s_cbranch_execz .LBB60_31
; %bb.27:                               ;   in Loop: Header=BB60_3 Depth=1
	v_mov_b32_e32 v0, 0
	s_and_not1_b32 vcc_lo, exec_lo, s21
	s_cbranch_vccnz .LBB60_30
; %bb.28:                               ;   in Loop: Header=BB60_3 Depth=1
	v_mov_b32_e32 v0, 0
	s_mov_b64 s[16:17], s[14:15]
	s_mov_b32 s34, s25
	s_set_inst_prefetch_distance 0x1
	.p2align	6
.LBB60_29:                              ;   Parent Loop BB60_3 Depth=1
                                        ; =>  This Inner Loop Header: Depth=2
	s_clause 0x1
	s_load_b32 s35, s[16:17], 0x0
	s_load_b32 s36, s[16:17], 0x64
	s_add_i32 s34, s34, -1
	s_waitcnt lgkmcnt(0)
	v_cvt_f32_u32_e32 v14, s35
	s_sub_i32 s37, 0, s35
	s_add_u32 s16, s16, -4
	s_addc_u32 s17, s17, -1
	s_cmp_gt_u32 s34, 2
	v_rcp_iflag_f32_e32 v14, v14
	s_waitcnt_depctr 0xfff
	v_mul_f32_e32 v14, 0x4f7ffffe, v14
	s_delay_alu instid0(VALU_DEP_1) | instskip(NEXT) | instid1(VALU_DEP_1)
	v_cvt_u32_f32_e32 v14, v14
	v_mul_lo_u32 v15, s37, v14
	s_delay_alu instid0(VALU_DEP_1) | instskip(NEXT) | instid1(VALU_DEP_1)
	v_mul_hi_u32 v15, v14, v15
	v_dual_mov_b32 v16, v11 :: v_dual_add_nc_u32 v11, v14, v15
	s_delay_alu instid0(VALU_DEP_1) | instskip(NEXT) | instid1(VALU_DEP_1)
	v_mul_hi_u32 v11, v16, v11
	v_mul_lo_u32 v14, v11, s35
	v_add_nc_u32_e32 v15, 1, v11
	s_delay_alu instid0(VALU_DEP_2) | instskip(NEXT) | instid1(VALU_DEP_1)
	v_sub_nc_u32_e32 v14, v16, v14
	v_subrev_nc_u32_e32 v17, s35, v14
	v_cmp_le_u32_e32 vcc_lo, s35, v14
	s_delay_alu instid0(VALU_DEP_2) | instskip(NEXT) | instid1(VALU_DEP_1)
	v_dual_cndmask_b32 v11, v11, v15 :: v_dual_cndmask_b32 v14, v14, v17
	v_add_nc_u32_e32 v15, 1, v11
	s_delay_alu instid0(VALU_DEP_2) | instskip(NEXT) | instid1(VALU_DEP_2)
	v_cmp_le_u32_e32 vcc_lo, s35, v14
	v_cndmask_b32_e32 v11, v11, v15, vcc_lo
	s_delay_alu instid0(VALU_DEP_1) | instskip(NEXT) | instid1(VALU_DEP_1)
	v_mul_lo_u32 v14, v11, s35
	v_sub_nc_u32_e32 v16, v16, v14
	s_delay_alu instid0(VALU_DEP_1) | instskip(NEXT) | instid1(VALU_DEP_1)
	v_mad_u64_u32 v[14:15], null, s36, v16, v[0:1]
	v_mov_b32_e32 v0, v14
	s_cbranch_scc1 .LBB60_29
.LBB60_30:                              ;   in Loop: Header=BB60_3 Depth=1
	s_set_inst_prefetch_distance 0x2
	s_delay_alu instid0(VALU_DEP_1)
	v_mad_u64_u32 v[14:15], null, s20, v11, v[0:1]
	v_mov_b32_e32 v15, v4
.LBB60_31:                              ;   in Loop: Header=BB60_3 Depth=1
	s_or_b32 exec_lo, exec_lo, s0
	v_mov_b32_e32 v11, v4
	v_lshlrev_b64 v[16:17], 2, v[3:4]
	v_lshlrev_b64 v[12:13], 2, v[12:13]
	;; [unrolled: 1-line block ×3, first 2 shown]
	s_delay_alu instid0(VALU_DEP_4) | instskip(NEXT) | instid1(VALU_DEP_4)
	v_lshlrev_b64 v[10:11], 2, v[10:11]
	v_add_co_u32 v16, vcc_lo, s8, v16
	v_add_co_ci_u32_e32 v17, vcc_lo, s9, v17, vcc_lo
	s_delay_alu instid0(VALU_DEP_3) | instskip(NEXT) | instid1(VALU_DEP_4)
	v_add_co_u32 v10, vcc_lo, s8, v10
	v_add_co_ci_u32_e32 v11, vcc_lo, s9, v11, vcc_lo
	v_add_co_u32 v12, vcc_lo, s8, v12
	v_add_co_ci_u32_e32 v13, vcc_lo, s9, v13, vcc_lo
	;; [unrolled: 2-line block ×3, first 2 shown]
	s_clause 0x3
	global_load_b32 v0, v[16:17], off
	global_load_b32 v3, v[10:11], off
	global_load_b32 v31, v[12:13], off
	global_load_b32 v32, v[14:15], off
	s_waitcnt lgkmcnt(0)
	v_mov_b32_e32 v15, s7
	v_dual_mov_b32 v17, s5 :: v_dual_mov_b32 v16, s4
	v_mov_b32_e32 v14, s6
	s_and_not1_b32 vcc_lo, exec_lo, s22
	s_cbranch_vccnz .LBB60_33
; %bb.32:                               ;   in Loop: Header=BB60_3 Depth=1
	v_dual_mov_b32 v11, s7 :: v_dual_mov_b32 v10, s6
	v_dual_mov_b32 v13, s5 :: v_dual_mov_b32 v12, s4
	flat_load_b64 v[10:11], v[10:11]
	flat_load_b64 v[16:17], v[12:13]
	s_waitcnt vmcnt(1) lgkmcnt(1)
	v_add_co_u32 v14, vcc_lo, v10, s12
	v_add_co_ci_u32_e32 v15, vcc_lo, s13, v11, vcc_lo
.LBB60_33:                              ;   in Loop: Header=BB60_3 Depth=1
	s_delay_alu instid0(VALU_DEP_1)
	v_alignbit_b32 v13, v15, v14, 2
	v_lshrrev_b32_e32 v12, 2, v15
	s_waitcnt vmcnt(0) lgkmcnt(0)
	v_add_nc_u32_e32 v34, 0xbb67ae85, v17
	v_add_nc_u32_e32 v35, 0x76cf5d0a, v17
	v_add_nc_u32_e32 v36, 0xdaa66d2b, v16
	v_add_co_u32 v15, vcc_lo, v13, 1
	s_delay_alu instid0(VALU_DEP_1) | instskip(SKIP_4) | instid1(VALU_DEP_4)
	v_cndmask_b32_e64 v10, 0, 1, vcc_lo
	v_add_co_ci_u32_e32 v24, vcc_lo, 0, v12, vcc_lo
	v_xor3_b32 v20, v28, v16, v12
	v_add_nc_u32_e32 v37, 0x32370b8f, v17
	v_add_nc_u32_e32 v38, 0xed9eba14, v17
	v_cmp_eq_u32_e32 vcc_lo, 0, v24
	v_add_nc_u32_e32 v39, 0x1715609d, v16
	v_add_nc_u32_e32 v40, 0xa9066899, v17
	s_mov_b32 s0, exec_lo
	v_dual_cndmask_b32 v18, 0, v10 :: v_dual_add_nc_u32 v33, 0x9e3779b9, v16
	v_mad_u64_u32 v[10:11], null, 0xd2511f53, v15, 0
	s_delay_alu instid0(VALU_DEP_2) | instskip(NEXT) | instid1(VALU_DEP_2)
	v_add_nc_u32_e32 v15, v18, v1
	v_xor_b32_e32 v19, v11, v17
	s_delay_alu instid0(VALU_DEP_2) | instskip(SKIP_2) | instid1(VALU_DEP_1)
	v_cmp_eq_u32_e32 vcc_lo, 0, v15
	v_mad_u64_u32 v[11:12], null, 0xd2511f53, v13, 0
	v_cndmask_b32_e32 v18, 0, v18, vcc_lo
	v_xor_b32_e32 v13, v18, v19
	v_mad_u64_u32 v[18:19], null, 0xd2511f53, v20, 0
	v_mad_u64_u32 v[20:21], null, 0xcd9e8d57, v15, 0
	s_delay_alu instid0(VALU_DEP_3) | instskip(SKIP_3) | instid1(VALU_DEP_3)
	v_mad_u64_u32 v[22:23], null, 0xcd9e8d57, v13, 0
	v_xor_b32_e32 v13, v12, v17
	v_add_nc_u32_e32 v15, 0x3c6ef372, v16
	v_xor3_b32 v25, v34, v19, v11
	v_mad_u64_u32 v[11:12], null, 0xcd9e8d57, v13, 0
	v_xor3_b32 v13, v21, v16, v24
	v_xor3_b32 v21, v33, v23, v20
	s_delay_alu instid0(VALU_DEP_4) | instskip(NEXT) | instid1(VALU_DEP_3)
	v_mad_u64_u32 v[19:20], null, 0xcd9e8d57, v25, 0
	v_mad_u64_u32 v[23:24], null, 0xd2511f53, v13, 0
	s_delay_alu instid0(VALU_DEP_3) | instskip(SKIP_1) | instid1(VALU_DEP_4)
	v_mad_u64_u32 v[25:26], null, 0xd2511f53, v21, 0
	v_xor3_b32 v13, v2, v12, v33
	v_xor3_b32 v33, v15, v20, v11
	s_delay_alu instid0(VALU_DEP_4) | instskip(NEXT) | instid1(VALU_DEP_3)
	v_xor3_b32 v10, v34, v24, v10
	v_mad_u64_u32 v[11:12], null, 0xd2511f53, v13, 0
	v_xor3_b32 v13, v35, v26, v23
	s_delay_alu instid0(VALU_DEP_4) | instskip(NEXT) | instid1(VALU_DEP_4)
	v_mad_u64_u32 v[20:21], null, 0xd2511f53, v33, 0
	v_mad_u64_u32 v[23:24], null, 0xcd9e8d57, v10, 0
	s_delay_alu instid0(VALU_DEP_3) | instskip(SKIP_4) | instid1(VALU_DEP_4)
	v_mad_u64_u32 v[33:34], null, 0xcd9e8d57, v13, 0
	v_xor3_b32 v12, v35, v12, v18
	v_add_nc_u32_e32 v26, 0x78dde6e4, v16
	v_xor3_b32 v18, v37, v21, v11
	v_xor3_b32 v15, v15, v24, v22
	v_mad_u64_u32 v[10:11], null, 0xcd9e8d57, v12, 0
	v_xor3_b32 v34, v36, v34, v23
	s_delay_alu instid0(VALU_DEP_4) | instskip(NEXT) | instid1(VALU_DEP_4)
	v_mad_u64_u32 v[12:13], null, 0xcd9e8d57, v18, 0
	v_mad_u64_u32 v[21:22], null, 0xd2511f53, v15, 0
	s_delay_alu instid0(VALU_DEP_3) | instskip(SKIP_1) | instid1(VALU_DEP_4)
	v_mad_u64_u32 v[23:24], null, 0xd2511f53, v34, 0
	v_xor3_b32 v15, v36, v11, v19
	v_xor3_b32 v13, v26, v13, v10
	s_delay_alu instid0(VALU_DEP_2) | instskip(SKIP_2) | instid1(VALU_DEP_4)
	v_mad_u64_u32 v[10:11], null, 0xd2511f53, v15, 0
	v_xor3_b32 v15, v37, v22, v25
	v_xor3_b32 v21, v38, v24, v21
	v_mad_u64_u32 v[24:25], null, 0xd2511f53, v13, 0
	s_delay_alu instid0(VALU_DEP_3) | instskip(NEXT) | instid1(VALU_DEP_3)
	v_mad_u64_u32 v[18:19], null, 0xcd9e8d57, v15, 0
	v_mad_u64_u32 v[34:35], null, 0xcd9e8d57, v21, 0
	v_xor3_b32 v13, v38, v11, v20
	s_delay_alu instid0(VALU_DEP_4) | instskip(SKIP_2) | instid1(VALU_DEP_4)
	v_xor3_b32 v21, v40, v25, v10
	v_add_nc_u32_e32 v15, 0xb54cda56, v16
	v_add_nc_u32_e32 v20, 0x646e171e, v17
	v_mad_u64_u32 v[10:11], null, 0xcd9e8d57, v13, 0
	v_xor3_b32 v13, v26, v19, v33
	v_xor3_b32 v22, v39, v35, v18
	v_mad_u64_u32 v[35:36], null, 0xcd9e8d57, v21, 0
	v_add_nc_u32_e32 v26, 0x5384540f, v16
	s_delay_alu instid0(VALU_DEP_4) | instskip(NEXT) | instid1(VALU_DEP_4)
	v_mad_u64_u32 v[18:19], null, 0xd2511f53, v13, 0
	v_mad_u64_u32 v[37:38], null, 0xd2511f53, v22, 0
	v_xor3_b32 v12, v39, v11, v12
	v_xor3_b32 v13, v15, v36, v10
	v_add_nc_u32_e32 v39, 0x1fd5c5a3, v17
	v_add_co_u32 v33, null, 0xf1bbcdc8, v16
	v_xor3_b32 v21, v40, v19, v23
	v_xor3_b32 v23, v20, v38, v18
	v_mad_u64_u32 v[10:11], null, 0xd2511f53, v12, 0
	v_mad_u64_u32 v[18:19], null, 0xd2511f53, v13, 0
	s_delay_alu instid0(VALU_DEP_4) | instskip(NEXT) | instid1(VALU_DEP_4)
	v_mad_u64_u32 v[12:13], null, 0xcd9e8d57, v21, 0
	v_mad_u64_u32 v[21:22], null, 0xcd9e8d57, v23, 0
	s_delay_alu instid0(VALU_DEP_4) | instskip(NEXT) | instid1(VALU_DEP_4)
	v_xor3_b32 v20, v20, v11, v24
	v_xor3_b32 v23, v39, v19, v10
	s_delay_alu instid0(VALU_DEP_4) | instskip(NEXT) | instid1(VALU_DEP_3)
	v_xor3_b32 v15, v15, v13, v34
	v_mad_u64_u32 v[10:11], null, 0xcd9e8d57, v20, 0
	v_xor3_b32 v22, v26, v22, v12
	s_delay_alu instid0(VALU_DEP_4) | instskip(NEXT) | instid1(VALU_DEP_4)
	v_mad_u64_u32 v[19:20], null, 0xcd9e8d57, v23, 0
	v_mad_u64_u32 v[12:13], null, 0xd2511f53, v15, 0
	s_delay_alu instid0(VALU_DEP_3)
	v_mad_u64_u32 v[24:25], null, 0xd2511f53, v22, 0
	v_add_nc_u32_e32 v34, 0xdb3d7428, v17
	v_xor3_b32 v11, v26, v11, v35
	v_xor3_b32 v15, v33, v20, v10
	v_add_nc_u32_e32 v35, 0x96a522ad, v17
	v_xor3_b32 v13, v39, v13, v37
	v_and_b32_e32 v17, 3, v14
	v_xor3_b32 v20, v34, v25, v12
	v_mad_u64_u32 v[22:23], null, 0xd2511f53, v11, 0
	v_mad_u64_u32 v[10:11], null, 0xd2511f53, v15, 0
	;; [unrolled: 1-line block ×3, first 2 shown]
	s_delay_alu instid0(VALU_DEP_4) | instskip(SKIP_1) | instid1(VALU_DEP_4)
	v_mad_u64_u32 v[12:13], null, 0xcd9e8d57, v20, 0
	v_add_nc_u32_e32 v20, 0x8ff34781, v16
                                        ; implicit-def: $vgpr15
	v_xor3_b32 v16, v11, v22, v35
	s_delay_alu instid0(VALU_DEP_2)
	v_xor3_b32 v11, v13, v25, v20
	v_cmpx_lt_i32_e32 1, v17
	s_xor_b32 s0, exec_lo, s0
	s_cbranch_execz .LBB60_39
; %bb.34:                               ;   in Loop: Header=BB60_3 Depth=1
	s_mov_b32 s16, exec_lo
                                        ; implicit-def: $vgpr15
	v_cmpx_lt_i32_e32 2, v17
	s_xor_b32 s16, exec_lo, s16
; %bb.35:                               ;   in Loop: Header=BB60_3 Depth=1
	v_xor3_b32 v13, v33, v26, v21
                                        ; implicit-def: $vgpr16
	s_delay_alu instid0(VALU_DEP_1) | instskip(NEXT) | instid1(VALU_DEP_1)
	v_mul_hi_u32 v13, 0xd2511f53, v13
	v_xor3_b32 v15, v13, v24, v35
; %bb.36:                               ;   in Loop: Header=BB60_3 Depth=1
	s_and_not1_saveexec_b32 s16, s16
; %bb.37:                               ;   in Loop: Header=BB60_3 Depth=1
	v_dual_mov_b32 v15, v12 :: v_dual_mov_b32 v12, v11
	v_dual_mov_b32 v11, v10 :: v_dual_mov_b32 v10, v16
; %bb.38:                               ;   in Loop: Header=BB60_3 Depth=1
	s_or_b32 exec_lo, exec_lo, s16
                                        ; implicit-def: $vgpr18_vgpr19
                                        ; implicit-def: $vgpr17
                                        ; implicit-def: $vgpr16
                                        ; implicit-def: $vgpr34
                                        ; implicit-def: $vgpr22_vgpr23
                                        ; implicit-def: $vgpr19_vgpr20
                                        ; implicit-def: $vgpr20
.LBB60_39:                              ;   in Loop: Header=BB60_3 Depth=1
	s_and_not1_saveexec_b32 s0, s0
	s_cbranch_execz .LBB60_43
; %bb.40:                               ;   in Loop: Header=BB60_3 Depth=1
	v_xor3_b32 v12, v34, v23, v18
	v_cmp_eq_u32_e32 vcc_lo, 1, v17
	v_mov_b32_e32 v15, v10
	s_delay_alu instid0(VALU_DEP_3) | instskip(SKIP_1) | instid1(VALU_DEP_2)
	v_mad_u64_u32 v[13:14], null, 0xcd9e8d57, v12, 0
	v_mov_b32_e32 v12, v16
	v_xor3_b32 v17, v14, v19, v20
	s_delay_alu instid0(VALU_DEP_3)
	v_mov_b32_e32 v14, v13
	s_and_saveexec_b32 s16, vcc_lo
; %bb.41:                               ;   in Loop: Header=BB60_3 Depth=1
	v_dual_mov_b32 v15, v11 :: v_dual_mov_b32 v12, v10
	v_dual_mov_b32 v14, v16 :: v_dual_mov_b32 v17, v13
; %bb.42:                               ;   in Loop: Header=BB60_3 Depth=1
	s_or_b32 exec_lo, exec_lo, s16
	s_delay_alu instid0(VALU_DEP_1)
	v_dual_mov_b32 v10, v17 :: v_dual_mov_b32 v11, v14
.LBB60_43:                              ;   in Loop: Header=BB60_3 Depth=1
	s_or_b32 exec_lo, exec_lo, s0
	v_min_i32_e32 v13, 4, v30
	s_mov_b32 s16, 0
	s_mov_b32 s38, 0
	;; [unrolled: 1-line block ×3, first 2 shown]
                                        ; implicit-def: $sgpr34
                                        ; implicit-def: $sgpr35
                                        ; implicit-def: $sgpr36
	s_mov_b32 s0, exec_lo
	v_cmpx_lt_i32_e32 2, v13
	s_xor_b32 s37, exec_lo, s0
	s_cbranch_execz .LBB60_55
; %bb.44:                               ;   in Loop: Header=BB60_3 Depth=1
	s_mov_b32 s0, -1
	s_mov_b32 s39, 0
	s_mov_b32 s35, exec_lo
                                        ; implicit-def: $sgpr17
                                        ; implicit-def: $sgpr34
	v_cmpx_lt_i32_e32 3, v13
	s_cbranch_execz .LBB60_50
; %bb.45:                               ;   in Loop: Header=BB60_3 Depth=1
	s_mov_b32 s0, 0
	s_mov_b32 s39, -1
	s_mov_b32 s36, exec_lo
                                        ; implicit-def: $sgpr17
                                        ; implicit-def: $sgpr34
	v_cmpx_eq_u32_e32 4, v13
	s_cbranch_execz .LBB60_49
; %bb.46:                               ;   in Loop: Header=BB60_3 Depth=1
	v_cmp_le_f32_e32 vcc_lo, 0, v32
	v_cmp_ge_f32_e64 s0, 1.0, v32
	s_mov_b32 s17, 0
	s_delay_alu instid0(VALU_DEP_1)
	s_and_b32 s39, vcc_lo, s0
	s_mov_b32 s0, 0
	s_and_saveexec_b32 s34, s39
	s_cbranch_execz .LBB60_48
; %bb.47:                               ;   in Loop: Header=BB60_3 Depth=1
	v_cvt_f32_u32_e32 v14, v15
	v_lshlrev_b64 v[8:9], 1, v[8:9]
	s_mov_b32 s0, exec_lo
	s_delay_alu instid0(VALU_DEP_2) | instskip(NEXT) | instid1(VALU_DEP_2)
	v_fmaak_f32 v14, 0x2f800000, v14, 0x2f800000
	v_add_co_u32 v8, vcc_lo, s10, v8
	s_delay_alu instid0(VALU_DEP_3) | instskip(NEXT) | instid1(VALU_DEP_3)
	v_add_co_ci_u32_e32 v9, vcc_lo, s11, v9, vcc_lo
	v_cmp_le_f32_e32 vcc_lo, v14, v32
	v_cndmask_b32_e64 v14, 0, 1, vcc_lo
	global_store_b16 v[8:9], v14, off
.LBB60_48:                              ;   in Loop: Header=BB60_3 Depth=1
	s_or_b32 exec_lo, exec_lo, s34
	s_mov_b32 s34, -1
	s_xor_b32 s39, exec_lo, -1
	s_and_b32 s0, s0, exec_lo
.LBB60_49:                              ;   in Loop: Header=BB60_3 Depth=1
	s_or_b32 exec_lo, exec_lo, s36
	s_delay_alu instid0(SALU_CYCLE_1)
	s_and_b32 s39, s39, exec_lo
	s_or_not1_b32 s0, s0, exec_lo
.LBB60_50:                              ;   in Loop: Header=BB60_3 Depth=1
	s_or_b32 exec_lo, exec_lo, s35
	s_mov_b32 s36, s17
	s_and_saveexec_b32 s35, s0
	s_cbranch_execz .LBB60_54
; %bb.51:                               ;   in Loop: Header=BB60_3 Depth=1
	v_cmp_le_f32_e32 vcc_lo, 0, v31
	v_cmp_ge_f32_e64 s0, 1.0, v31
	s_delay_alu instid0(VALU_DEP_1) | instskip(SKIP_2) | instid1(SALU_CYCLE_1)
	s_and_b32 s36, vcc_lo, s0
	s_mov_b32 s0, 0
	s_and_saveexec_b32 s38, s36
	s_xor_b32 s36, exec_lo, s38
	s_cbranch_execz .LBB60_53
; %bb.52:                               ;   in Loop: Header=BB60_3 Depth=1
	v_cvt_f32_u32_e32 v9, v12
	v_mov_b32_e32 v8, v4
	s_mov_b32 s0, exec_lo
	s_delay_alu instid0(VALU_DEP_2) | instskip(NEXT) | instid1(VALU_DEP_2)
	v_fmaak_f32 v9, 0x2f800000, v9, 0x2f800000
	v_lshlrev_b64 v[7:8], 1, v[7:8]
	s_delay_alu instid0(VALU_DEP_1) | instskip(NEXT) | instid1(VALU_DEP_2)
	v_add_co_u32 v7, vcc_lo, s10, v7
	v_add_co_ci_u32_e32 v8, vcc_lo, s11, v8, vcc_lo
	s_delay_alu instid0(VALU_DEP_4)
	v_cmp_le_f32_e32 vcc_lo, v9, v31
	v_cndmask_b32_e64 v9, 0, 1, vcc_lo
	global_store_b16 v[7:8], v9, off
.LBB60_53:                              ;   in Loop: Header=BB60_3 Depth=1
	s_or_b32 exec_lo, exec_lo, s36
	s_delay_alu instid0(SALU_CYCLE_1)
	s_and_not1_b32 s36, s17, exec_lo
	s_or_b32 s17, s17, exec_lo
	s_and_not1_b32 s34, s34, exec_lo
	s_and_b32 s38, s0, exec_lo
.LBB60_54:                              ;   in Loop: Header=BB60_3 Depth=1
	s_or_b32 exec_lo, exec_lo, s35
	s_delay_alu instid0(SALU_CYCLE_1)
	s_and_b32 s36, s36, exec_lo
	s_and_b32 s35, s17, exec_lo
	;; [unrolled: 1-line block ×5, first 2 shown]
.LBB60_55:                              ;   in Loop: Header=BB60_3 Depth=1
	s_and_not1_saveexec_b32 s0, s37
; %bb.56:                               ;   in Loop: Header=BB60_3 Depth=1
	v_cmp_lt_i32_e32 vcc_lo, 1, v13
	s_and_not1_b32 s37, s38, exec_lo
	s_mov_b32 s16, exec_lo
	s_and_not1_b32 s36, s36, exec_lo
	s_and_not1_b32 s35, s35, exec_lo
	s_and_b32 s38, vcc_lo, exec_lo
	s_and_not1_b32 s34, s34, exec_lo
	s_or_b32 s38, s37, s38
; %bb.57:                               ;   in Loop: Header=BB60_3 Depth=1
	s_or_b32 exec_lo, exec_lo, s0
	s_mov_b32 s0, 0
	s_mov_b32 s37, s36
	s_and_saveexec_b32 s39, s38
	s_cbranch_execnz .LBB60_60
; %bb.58:                               ;   in Loop: Header=BB60_3 Depth=1
	s_or_b32 exec_lo, exec_lo, s39
	s_and_saveexec_b32 s38, s16
	s_cbranch_execnz .LBB60_63
.LBB60_59:                              ;   in Loop: Header=BB60_3 Depth=1
	s_or_b32 exec_lo, exec_lo, s38
	s_and_saveexec_b32 s16, s0
	s_cbranch_execnz .LBB60_64
	s_branch .LBB60_67
.LBB60_60:                              ;   in Loop: Header=BB60_3 Depth=1
	v_cmp_le_f32_e32 vcc_lo, 0, v3
	v_cmp_ge_f32_e64 s0, 1.0, v3
	s_delay_alu instid0(VALU_DEP_1) | instskip(SKIP_2) | instid1(SALU_CYCLE_1)
	s_and_b32 s37, vcc_lo, s0
	s_mov_b32 s0, 0
	s_and_saveexec_b32 s38, s37
	s_xor_b32 s37, exec_lo, s38
	s_cbranch_execz .LBB60_62
; %bb.61:                               ;   in Loop: Header=BB60_3 Depth=1
	v_cvt_f32_u32_e32 v8, v11
	v_mov_b32_e32 v7, v4
	s_mov_b32 s0, exec_lo
	s_delay_alu instid0(VALU_DEP_2) | instskip(NEXT) | instid1(VALU_DEP_2)
	v_fmaak_f32 v8, 0x2f800000, v8, 0x2f800000
	v_lshlrev_b64 v[6:7], 1, v[6:7]
	s_delay_alu instid0(VALU_DEP_1) | instskip(NEXT) | instid1(VALU_DEP_2)
	v_add_co_u32 v6, vcc_lo, s10, v6
	v_add_co_ci_u32_e32 v7, vcc_lo, s11, v7, vcc_lo
	s_delay_alu instid0(VALU_DEP_4)
	v_cmp_le_f32_e32 vcc_lo, v8, v3
	v_cndmask_b32_e64 v3, 0, 1, vcc_lo
	global_store_b16 v[6:7], v3, off
.LBB60_62:                              ;   in Loop: Header=BB60_3 Depth=1
	s_or_b32 exec_lo, exec_lo, s37
	s_delay_alu instid0(SALU_CYCLE_1)
	s_and_not1_b32 s37, s36, exec_lo
	s_or_b32 s36, s36, exec_lo
	s_and_not1_b32 s35, s35, exec_lo
	s_and_not1_b32 s34, s34, exec_lo
	s_and_b32 s0, s0, exec_lo
	s_and_not1_b32 s16, s16, exec_lo
	s_or_b32 exec_lo, exec_lo, s39
	s_and_saveexec_b32 s38, s16
	s_cbranch_execz .LBB60_59
.LBB60_63:                              ;   in Loop: Header=BB60_3 Depth=1
	v_cmp_eq_u32_e32 vcc_lo, 1, v13
	s_and_not1_b32 s0, s0, exec_lo
	s_and_not1_b32 s37, s37, exec_lo
	;; [unrolled: 1-line block ×4, first 2 shown]
	s_and_b32 s16, vcc_lo, exec_lo
	s_and_not1_b32 s34, s34, exec_lo
	s_or_b32 s17, s17, exec_lo
	s_or_b32 s0, s0, s16
	s_or_b32 exec_lo, exec_lo, s38
	s_and_saveexec_b32 s16, s0
	s_cbranch_execz .LBB60_67
.LBB60_64:                              ;   in Loop: Header=BB60_3 Depth=1
	v_cmp_le_f32_e32 vcc_lo, 0, v0
	v_cmp_ge_f32_e64 s0, 1.0, v0
	s_delay_alu instid0(VALU_DEP_1)
	s_and_b32 s39, vcc_lo, s0
	s_mov_b32 s0, 0
	s_and_saveexec_b32 s38, s39
	s_cbranch_execz .LBB60_66
; %bb.65:                               ;   in Loop: Header=BB60_3 Depth=1
	v_cvt_f32_u32_e32 v3, v10
	v_mov_b32_e32 v6, v4
	s_mov_b32 s0, exec_lo
	s_delay_alu instid0(VALU_DEP_2) | instskip(NEXT) | instid1(VALU_DEP_2)
	v_fmaak_f32 v3, 0x2f800000, v3, 0x2f800000
	v_lshlrev_b64 v[5:6], 1, v[5:6]
	s_delay_alu instid0(VALU_DEP_1) | instskip(NEXT) | instid1(VALU_DEP_2)
	v_add_co_u32 v5, vcc_lo, s10, v5
	v_add_co_ci_u32_e32 v6, vcc_lo, s11, v6, vcc_lo
	s_delay_alu instid0(VALU_DEP_4)
	v_cmp_le_f32_e32 vcc_lo, v3, v0
	v_cndmask_b32_e64 v0, 0, 1, vcc_lo
	global_store_b16 v[5:6], v0, off
.LBB60_66:                              ;   in Loop: Header=BB60_3 Depth=1
	s_or_b32 exec_lo, exec_lo, s38
	s_delay_alu instid0(SALU_CYCLE_1)
	s_and_not1_b32 s17, s17, exec_lo
	s_and_b32 s0, s0, exec_lo
	s_or_b32 s37, s37, exec_lo
	s_and_not1_b32 s36, s36, exec_lo
	s_and_not1_b32 s35, s35, exec_lo
	;; [unrolled: 1-line block ×3, first 2 shown]
	s_or_b32 s17, s17, s0
.LBB60_67:                              ;   in Loop: Header=BB60_3 Depth=1
	s_or_b32 exec_lo, exec_lo, s16
	s_delay_alu instid0(SALU_CYCLE_1)
	s_and_not1_b32 s16, s33, exec_lo
	s_and_b32 s33, s37, exec_lo
	s_and_not1_b32 s30, s30, exec_lo
	s_and_b32 s36, s36, exec_lo
	s_or_b32 s33, s16, s33
	s_and_not1_b32 s16, s31, exec_lo
	s_and_b32 s31, s35, exec_lo
	s_and_not1_b32 s29, s29, exec_lo
	s_and_b32 s34, s34, exec_lo
	s_mov_b32 s0, -1
	s_or_b32 s30, s30, s36
	s_or_b32 s31, s16, s31
	;; [unrolled: 1-line block ×3, first 2 shown]
	s_and_saveexec_b32 s16, s17
	s_cbranch_execz .LBB60_2
; %bb.68:                               ;   in Loop: Header=BB60_3 Depth=1
	v_add_nc_u32_e32 v27, s24, v27
	s_and_not1_b32 s33, s33, exec_lo
	s_and_not1_b32 s30, s30, exec_lo
	;; [unrolled: 1-line block ×4, first 2 shown]
	v_cmp_le_u32_e32 vcc_lo, s18, v27
	s_or_not1_b32 s0, vcc_lo, exec_lo
	s_branch .LBB60_2
.LBB60_69:
	s_or_b32 exec_lo, exec_lo, s1
	s_xor_b32 s3, s27, -1
	s_xor_b32 s4, s28, -1
	;; [unrolled: 1-line block ×3, first 2 shown]
	s_mov_b32 s1, 0
	s_and_saveexec_b32 s2, s0
	s_delay_alu instid0(SALU_CYCLE_1)
	s_xor_b32 s0, exec_lo, s2
	s_cbranch_execz .LBB60_78
; %bb.70:
	s_mov_b32 s2, 0
	s_and_saveexec_b32 s1, s4
	s_delay_alu instid0(SALU_CYCLE_1)
	s_xor_b32 s1, exec_lo, s1
	s_cbranch_execz .LBB60_76
; %bb.71:
	s_and_saveexec_b32 s4, s3
	s_delay_alu instid0(SALU_CYCLE_1)
	s_xor_b32 s3, exec_lo, s4
	s_cbranch_execz .LBB60_74
; %bb.72:
	s_and_saveexec_b32 s4, s23
	s_delay_alu instid0(SALU_CYCLE_1)
	s_xor_b32 s4, exec_lo, s4
	s_cbranch_execnz .LBB60_92
.LBB60_73:
	s_or_b32 exec_lo, exec_lo, s4
	s_delay_alu instid0(SALU_CYCLE_1)
	s_and_b32 s2, s2, exec_lo
.LBB60_74:
	s_and_not1_saveexec_b32 s3, s3
	s_cbranch_execnz .LBB60_88
.LBB60_75:
	s_or_b32 exec_lo, exec_lo, s3
	s_delay_alu instid0(SALU_CYCLE_1)
	s_and_b32 s2, s2, exec_lo
.LBB60_76:
	s_and_not1_saveexec_b32 s1, s1
	s_cbranch_execnz .LBB60_84
.LBB60_77:
	s_or_b32 exec_lo, exec_lo, s1
	s_delay_alu instid0(SALU_CYCLE_1)
	s_and_b32 s1, s2, exec_lo
.LBB60_78:
	s_and_not1_saveexec_b32 s0, s0
	s_cbranch_execnz .LBB60_82
; %bb.79:
	s_or_b32 exec_lo, exec_lo, s0
	s_delay_alu instid0(SALU_CYCLE_1)
	s_and_b32 exec_lo, exec_lo, s1
.LBB60_80:
	; divergent unreachable
.LBB60_81:
	s_nop 0
	s_sendmsg sendmsg(MSG_DEALLOC_VGPRS)
	s_endpgm
.LBB60_82:
	s_cbranch_execnz .LBB60_86
; %bb.83:
	s_or_b32 s1, s1, exec_lo
	s_or_b32 exec_lo, exec_lo, s0
	s_delay_alu instid0(SALU_CYCLE_1)
	s_and_b32 exec_lo, exec_lo, s1
	s_cbranch_execnz .LBB60_80
	s_branch .LBB60_81
.LBB60_84:
	s_cbranch_execnz .LBB60_90
; %bb.85:
	s_or_b32 s2, s2, exec_lo
	s_branch .LBB60_77
.LBB60_86:
	s_trap 2
	s_sendmsg_rtn_b32 s0, sendmsg(MSG_RTN_GET_DOORBELL)
	s_mov_b32 ttmp2, m0
	s_waitcnt lgkmcnt(0)
	s_and_b32 s0, s0, 0x3ff
	s_delay_alu instid0(SALU_CYCLE_1) | instskip(NEXT) | instid1(SALU_CYCLE_1)
	s_bitset1_b32 s0, 10
	s_mov_b32 m0, s0
	s_sendmsg sendmsg(MSG_INTERRUPT)
	s_mov_b32 m0, ttmp2
.LBB60_87:                              ; =>This Inner Loop Header: Depth=1
	s_sethalt 5
	s_branch .LBB60_87
.LBB60_88:
	s_cbranch_execnz .LBB60_94
; %bb.89:
	s_or_b32 s2, s2, exec_lo
	s_branch .LBB60_75
.LBB60_90:
	s_trap 2
	s_sendmsg_rtn_b32 s0, sendmsg(MSG_RTN_GET_DOORBELL)
	s_mov_b32 ttmp2, m0
	s_waitcnt lgkmcnt(0)
	s_and_b32 s0, s0, 0x3ff
	s_delay_alu instid0(SALU_CYCLE_1) | instskip(NEXT) | instid1(SALU_CYCLE_1)
	s_bitset1_b32 s0, 10
	s_mov_b32 m0, s0
	s_sendmsg sendmsg(MSG_INTERRUPT)
	s_mov_b32 m0, ttmp2
.LBB60_91:                              ; =>This Inner Loop Header: Depth=1
	s_sethalt 5
	s_branch .LBB60_91
.LBB60_92:
	s_cbranch_execnz .LBB60_96
; %bb.93:
	s_mov_b32 s2, exec_lo
	s_branch .LBB60_73
.LBB60_94:
	s_trap 2
	s_sendmsg_rtn_b32 s0, sendmsg(MSG_RTN_GET_DOORBELL)
	s_mov_b32 ttmp2, m0
	s_waitcnt lgkmcnt(0)
	s_and_b32 s0, s0, 0x3ff
	s_delay_alu instid0(SALU_CYCLE_1) | instskip(NEXT) | instid1(SALU_CYCLE_1)
	s_bitset1_b32 s0, 10
	s_mov_b32 m0, s0
	s_sendmsg sendmsg(MSG_INTERRUPT)
	s_mov_b32 m0, ttmp2
.LBB60_95:                              ; =>This Inner Loop Header: Depth=1
	s_sethalt 5
	s_branch .LBB60_95
.LBB60_96:
	s_trap 2
	s_sendmsg_rtn_b32 s0, sendmsg(MSG_RTN_GET_DOORBELL)
	s_mov_b32 ttmp2, m0
	s_waitcnt lgkmcnt(0)
	s_and_b32 s0, s0, 0x3ff
	s_delay_alu instid0(SALU_CYCLE_1) | instskip(NEXT) | instid1(SALU_CYCLE_1)
	s_bitset1_b32 s0, 10
	s_mov_b32 m0, s0
	s_sendmsg sendmsg(MSG_INTERRUPT)
	s_mov_b32 m0, ttmp2
.LBB60_97:                              ; =>This Inner Loop Header: Depth=1
	s_sethalt 5
	s_branch .LBB60_97
	.section	.rodata,"a",@progbits
	.p2align	6, 0x0
	.amdhsa_kernel _ZN2at4cuda12_GLOBAL__N_121kernelPointwiseApply2IZNS_6native9templates4cuda28bernoulli_tensor_cuda_kernelIsfEEvRKNS_10TensorBaseES9_NS_15PhiloxCudaStateEEUliRsSB_SB_SB_RKfSD_SD_SD_E_sSC_jLi2ELin1ELi4ELi512ELi2EEEvNS0_6detail10TensorInfoIT0_T2_EENSG_IT1_SI_EESI_T_
		.amdhsa_group_segment_fixed_size 0
		.amdhsa_private_segment_fixed_size 0
		.amdhsa_kernarg_size 728
		.amdhsa_user_sgpr_count 15
		.amdhsa_user_sgpr_dispatch_ptr 0
		.amdhsa_user_sgpr_queue_ptr 0
		.amdhsa_user_sgpr_kernarg_segment_ptr 1
		.amdhsa_user_sgpr_dispatch_id 0
		.amdhsa_user_sgpr_private_segment_size 0
		.amdhsa_wavefront_size32 1
		.amdhsa_uses_dynamic_stack 0
		.amdhsa_enable_private_segment 0
		.amdhsa_system_sgpr_workgroup_id_x 1
		.amdhsa_system_sgpr_workgroup_id_y 0
		.amdhsa_system_sgpr_workgroup_id_z 0
		.amdhsa_system_sgpr_workgroup_info 0
		.amdhsa_system_vgpr_workitem_id 0
		.amdhsa_next_free_vgpr 41
		.amdhsa_next_free_sgpr 40
		.amdhsa_reserve_vcc 1
		.amdhsa_float_round_mode_32 0
		.amdhsa_float_round_mode_16_64 0
		.amdhsa_float_denorm_mode_32 3
		.amdhsa_float_denorm_mode_16_64 3
		.amdhsa_dx10_clamp 1
		.amdhsa_ieee_mode 1
		.amdhsa_fp16_overflow 0
		.amdhsa_workgroup_processor_mode 1
		.amdhsa_memory_ordered 1
		.amdhsa_forward_progress 0
		.amdhsa_shared_vgpr_count 0
		.amdhsa_exception_fp_ieee_invalid_op 0
		.amdhsa_exception_fp_denorm_src 0
		.amdhsa_exception_fp_ieee_div_zero 0
		.amdhsa_exception_fp_ieee_overflow 0
		.amdhsa_exception_fp_ieee_underflow 0
		.amdhsa_exception_fp_ieee_inexact 0
		.amdhsa_exception_int_div_zero 0
	.end_amdhsa_kernel
	.section	.text._ZN2at4cuda12_GLOBAL__N_121kernelPointwiseApply2IZNS_6native9templates4cuda28bernoulli_tensor_cuda_kernelIsfEEvRKNS_10TensorBaseES9_NS_15PhiloxCudaStateEEUliRsSB_SB_SB_RKfSD_SD_SD_E_sSC_jLi2ELin1ELi4ELi512ELi2EEEvNS0_6detail10TensorInfoIT0_T2_EENSG_IT1_SI_EESI_T_,"axG",@progbits,_ZN2at4cuda12_GLOBAL__N_121kernelPointwiseApply2IZNS_6native9templates4cuda28bernoulli_tensor_cuda_kernelIsfEEvRKNS_10TensorBaseES9_NS_15PhiloxCudaStateEEUliRsSB_SB_SB_RKfSD_SD_SD_E_sSC_jLi2ELin1ELi4ELi512ELi2EEEvNS0_6detail10TensorInfoIT0_T2_EENSG_IT1_SI_EESI_T_,comdat
.Lfunc_end60:
	.size	_ZN2at4cuda12_GLOBAL__N_121kernelPointwiseApply2IZNS_6native9templates4cuda28bernoulli_tensor_cuda_kernelIsfEEvRKNS_10TensorBaseES9_NS_15PhiloxCudaStateEEUliRsSB_SB_SB_RKfSD_SD_SD_E_sSC_jLi2ELin1ELi4ELi512ELi2EEEvNS0_6detail10TensorInfoIT0_T2_EENSG_IT1_SI_EESI_T_, .Lfunc_end60-_ZN2at4cuda12_GLOBAL__N_121kernelPointwiseApply2IZNS_6native9templates4cuda28bernoulli_tensor_cuda_kernelIsfEEvRKNS_10TensorBaseES9_NS_15PhiloxCudaStateEEUliRsSB_SB_SB_RKfSD_SD_SD_E_sSC_jLi2ELin1ELi4ELi512ELi2EEEvNS0_6detail10TensorInfoIT0_T2_EENSG_IT1_SI_EESI_T_
                                        ; -- End function
	.section	.AMDGPU.csdata,"",@progbits
; Kernel info:
; codeLenInByte = 4856
; NumSgprs: 42
; NumVgprs: 41
; ScratchSize: 0
; MemoryBound: 0
; FloatMode: 240
; IeeeMode: 1
; LDSByteSize: 0 bytes/workgroup (compile time only)
; SGPRBlocks: 5
; VGPRBlocks: 5
; NumSGPRsForWavesPerEU: 42
; NumVGPRsForWavesPerEU: 41
; Occupancy: 16
; WaveLimiterHint : 1
; COMPUTE_PGM_RSRC2:SCRATCH_EN: 0
; COMPUTE_PGM_RSRC2:USER_SGPR: 15
; COMPUTE_PGM_RSRC2:TRAP_HANDLER: 0
; COMPUTE_PGM_RSRC2:TGID_X_EN: 1
; COMPUTE_PGM_RSRC2:TGID_Y_EN: 0
; COMPUTE_PGM_RSRC2:TGID_Z_EN: 0
; COMPUTE_PGM_RSRC2:TIDIG_COMP_CNT: 0
	.section	.text._ZN2at4cuda12_GLOBAL__N_121kernelPointwiseApply2IZNS_6native9templates4cuda28bernoulli_tensor_cuda_kernelIsfEEvRKNS_10TensorBaseES9_NS_15PhiloxCudaStateEEUliRsSB_SB_SB_RKfSD_SD_SD_E_sSC_jLin1ELi1ELi4ELi512ELi2EEEvNS0_6detail10TensorInfoIT0_T2_EENSG_IT1_SI_EESI_T_,"axG",@progbits,_ZN2at4cuda12_GLOBAL__N_121kernelPointwiseApply2IZNS_6native9templates4cuda28bernoulli_tensor_cuda_kernelIsfEEvRKNS_10TensorBaseES9_NS_15PhiloxCudaStateEEUliRsSB_SB_SB_RKfSD_SD_SD_E_sSC_jLin1ELi1ELi4ELi512ELi2EEEvNS0_6detail10TensorInfoIT0_T2_EENSG_IT1_SI_EESI_T_,comdat
	.globl	_ZN2at4cuda12_GLOBAL__N_121kernelPointwiseApply2IZNS_6native9templates4cuda28bernoulli_tensor_cuda_kernelIsfEEvRKNS_10TensorBaseES9_NS_15PhiloxCudaStateEEUliRsSB_SB_SB_RKfSD_SD_SD_E_sSC_jLin1ELi1ELi4ELi512ELi2EEEvNS0_6detail10TensorInfoIT0_T2_EENSG_IT1_SI_EESI_T_ ; -- Begin function _ZN2at4cuda12_GLOBAL__N_121kernelPointwiseApply2IZNS_6native9templates4cuda28bernoulli_tensor_cuda_kernelIsfEEvRKNS_10TensorBaseES9_NS_15PhiloxCudaStateEEUliRsSB_SB_SB_RKfSD_SD_SD_E_sSC_jLin1ELi1ELi4ELi512ELi2EEEvNS0_6detail10TensorInfoIT0_T2_EENSG_IT1_SI_EESI_T_
	.p2align	8
	.type	_ZN2at4cuda12_GLOBAL__N_121kernelPointwiseApply2IZNS_6native9templates4cuda28bernoulli_tensor_cuda_kernelIsfEEvRKNS_10TensorBaseES9_NS_15PhiloxCudaStateEEUliRsSB_SB_SB_RKfSD_SD_SD_E_sSC_jLin1ELi1ELi4ELi512ELi2EEEvNS0_6detail10TensorInfoIT0_T2_EENSG_IT1_SI_EESI_T_,@function
_ZN2at4cuda12_GLOBAL__N_121kernelPointwiseApply2IZNS_6native9templates4cuda28bernoulli_tensor_cuda_kernelIsfEEvRKNS_10TensorBaseES9_NS_15PhiloxCudaStateEEUliRsSB_SB_SB_RKfSD_SD_SD_E_sSC_jLin1ELi1ELi4ELi512ELi2EEEvNS0_6detail10TensorInfoIT0_T2_EENSG_IT1_SI_EESI_T_: ; @_ZN2at4cuda12_GLOBAL__N_121kernelPointwiseApply2IZNS_6native9templates4cuda28bernoulli_tensor_cuda_kernelIsfEEvRKNS_10TensorBaseES9_NS_15PhiloxCudaStateEEUliRsSB_SB_SB_RKfSD_SD_SD_E_sSC_jLin1ELi1ELi4ELi512ELi2EEEvNS0_6detail10TensorInfoIT0_T2_EENSG_IT1_SI_EESI_T_
; %bb.0:
	s_clause 0x1
	s_load_b32 s4, s[0:1], 0x1e4
	s_load_b32 s20, s[0:1], 0x1b0
	s_add_u32 s2, s0, 0x1d8
	s_addc_u32 s3, s1, 0
	s_waitcnt lgkmcnt(0)
	s_and_b32 s14, s4, 0xffff
	s_mov_b32 s4, exec_lo
	v_mad_u64_u32 v[1:2], null, s15, s14, v[0:1]
	s_delay_alu instid0(VALU_DEP_1) | instskip(NEXT) | instid1(VALU_DEP_1)
	v_lshlrev_b32_e32 v29, 2, v1
	v_cmpx_gt_u32_e64 s20, v29
	s_cbranch_execz .LBB61_73
; %bb.1:
	s_load_b32 s16, s[0:1], 0xd0
	s_load_b32 s2, s[2:3], 0x0
	s_clause 0x6
	s_load_b32 s3, s[0:1], 0x1d0
	s_load_b64 s[8:9], s[0:1], 0xd8
	s_load_b64 s[10:11], s[0:1], 0x1c8
	s_load_b32 s21, s[0:1], 0x144
	s_load_b128 s[4:7], s[0:1], 0x1b8
	s_load_b32 s22, s[0:1], 0x6c
	s_load_b64 s[12:13], s[0:1], 0x0
	v_mad_u64_u32 v[2:3], null, 0xcd9e8d57, v1, 0
	s_mov_b32 s15, 0
	v_mov_b32_e32 v4, 0
                                        ; implicit-def: $sgpr27
                                        ; implicit-def: $sgpr29
                                        ; implicit-def: $sgpr28
                                        ; implicit-def: $sgpr30
                                        ; implicit-def: $sgpr33
                                        ; implicit-def: $sgpr31
                                        ; implicit-def: $sgpr34
	s_delay_alu instid0(VALU_DEP_2)
	v_mov_b32_e32 v30, v3
	s_waitcnt lgkmcnt(0)
	s_cmp_gt_i32 s16, 1
	s_mul_i32 s2, s2, s14
	s_cselect_b32 s23, -1, 0
	s_bitcmp1_b32 s3, 0
	s_cselect_b32 s24, -1, 0
	s_add_i32 s14, s16, -1
	s_lshl_b32 s25, s2, 2
	s_lshl_b64 s[2:3], s[14:15], 2
	s_add_i32 s26, s16, 1
	s_add_u32 s0, s2, s0
	s_addc_u32 s1, s3, s1
	s_add_u32 s16, s0, 8
	s_addc_u32 s17, s1, 0
                                        ; implicit-def: $sgpr14
	s_branch .LBB61_3
.LBB61_2:                               ;   in Loop: Header=BB61_3 Depth=1
	s_or_b32 exec_lo, exec_lo, s1
	s_delay_alu instid0(SALU_CYCLE_1) | instskip(NEXT) | instid1(SALU_CYCLE_1)
	s_and_b32 s0, exec_lo, s0
	s_or_b32 s15, s0, s15
	s_and_not1_b32 s0, s14, exec_lo
	s_and_b32 s1, s34, exec_lo
	s_and_not1_b32 s2, s28, exec_lo
	s_and_b32 s3, s31, exec_lo
	s_or_b32 s14, s0, s1
	s_or_b32 s28, s2, s3
	s_and_not1_b32 s0, s29, exec_lo
	s_and_b32 s1, s33, exec_lo
	s_and_not1_b32 s2, s27, exec_lo
	s_and_b32 s3, s30, exec_lo
	s_or_b32 s29, s0, s1
	s_or_b32 s27, s2, s3
	s_and_not1_b32 exec_lo, exec_lo, s15
	s_cbranch_execz .LBB61_61
.LBB61_3:                               ; =>This Loop Header: Depth=1
                                        ;     Child Loop BB61_6 Depth 2
                                        ;     Child Loop BB61_11 Depth 2
	;; [unrolled: 1-line block ×4, first 2 shown]
	v_sub_nc_u32_e32 v31, s20, v29
	v_mov_b32_e32 v5, 0
	s_delay_alu instid0(VALU_DEP_2) | instskip(NEXT) | instid1(VALU_DEP_1)
	v_cmp_lt_i32_e64 s0, 0, v31
	s_and_saveexec_b32 s1, s0
	s_cbranch_execz .LBB61_8
; %bb.4:                                ;   in Loop: Header=BB61_3 Depth=1
	v_dual_mov_b32 v0, 0 :: v_dual_mov_b32 v3, v29
	s_and_not1_b32 vcc_lo, exec_lo, s23
	s_cbranch_vccnz .LBB61_7
; %bb.5:                                ;   in Loop: Header=BB61_3 Depth=1
	v_dual_mov_b32 v0, 0 :: v_dual_mov_b32 v3, v29
	s_mov_b64 s[2:3], s[16:17]
	s_mov_b32 s18, s26
	s_set_inst_prefetch_distance 0x1
	.p2align	6
.LBB61_6:                               ;   Parent Loop BB61_3 Depth=1
                                        ; =>  This Inner Loop Header: Depth=2
	s_clause 0x1
	s_load_b32 s19, s[2:3], 0x0
	s_load_b32 s35, s[2:3], 0x64
	v_mov_b32_e32 v7, v3
	s_add_i32 s18, s18, -1
	s_waitcnt lgkmcnt(0)
	v_cvt_f32_u32_e32 v5, s19
	s_sub_i32 s36, 0, s19
	s_add_u32 s2, s2, -4
	s_addc_u32 s3, s3, -1
	s_cmp_gt_u32 s18, 2
	v_rcp_iflag_f32_e32 v5, v5
	s_waitcnt_depctr 0xfff
	v_mul_f32_e32 v5, 0x4f7ffffe, v5
	s_delay_alu instid0(VALU_DEP_1) | instskip(NEXT) | instid1(VALU_DEP_1)
	v_cvt_u32_f32_e32 v5, v5
	v_mul_lo_u32 v6, s36, v5
	s_delay_alu instid0(VALU_DEP_1) | instskip(NEXT) | instid1(VALU_DEP_1)
	v_mul_hi_u32 v6, v5, v6
	v_add_nc_u32_e32 v3, v5, v6
	s_delay_alu instid0(VALU_DEP_1) | instskip(NEXT) | instid1(VALU_DEP_1)
	v_mul_hi_u32 v3, v7, v3
	v_add_nc_u32_e32 v6, 1, v3
	v_mul_lo_u32 v5, v3, s19
	s_delay_alu instid0(VALU_DEP_1) | instskip(NEXT) | instid1(VALU_DEP_1)
	v_sub_nc_u32_e32 v5, v7, v5
	v_subrev_nc_u32_e32 v8, s19, v5
	v_cmp_le_u32_e32 vcc_lo, s19, v5
	v_cndmask_b32_e32 v3, v3, v6, vcc_lo
	s_delay_alu instid0(VALU_DEP_1) | instskip(NEXT) | instid1(VALU_DEP_1)
	v_dual_cndmask_b32 v5, v5, v8 :: v_dual_add_nc_u32 v6, 1, v3
	v_cmp_le_u32_e32 vcc_lo, s19, v5
	s_delay_alu instid0(VALU_DEP_2) | instskip(NEXT) | instid1(VALU_DEP_1)
	v_cndmask_b32_e32 v3, v3, v6, vcc_lo
	v_mul_lo_u32 v5, v3, s19
	s_delay_alu instid0(VALU_DEP_1) | instskip(NEXT) | instid1(VALU_DEP_1)
	v_sub_nc_u32_e32 v7, v7, v5
	v_mad_u64_u32 v[5:6], null, s35, v7, v[0:1]
	s_delay_alu instid0(VALU_DEP_1)
	v_mov_b32_e32 v0, v5
	s_cbranch_scc1 .LBB61_6
.LBB61_7:                               ;   in Loop: Header=BB61_3 Depth=1
	s_set_inst_prefetch_distance 0x2
	s_delay_alu instid0(VALU_DEP_1)
	v_mad_u64_u32 v[5:6], null, s22, v3, v[0:1]
.LBB61_8:                               ;   in Loop: Header=BB61_3 Depth=1
	s_or_b32 exec_lo, exec_lo, s1
	v_mov_b32_e32 v6, 0
	v_mov_b32_e32 v7, 0
	v_cmp_lt_i32_e64 s1, 1, v31
	s_delay_alu instid0(VALU_DEP_1)
	s_and_saveexec_b32 s18, s1
	s_cbranch_execz .LBB61_13
; %bb.9:                                ;   in Loop: Header=BB61_3 Depth=1
	v_or_b32_e32 v3, 1, v29
	v_mov_b32_e32 v0, 0
	s_and_not1_b32 vcc_lo, exec_lo, s23
	s_cbranch_vccnz .LBB61_12
; %bb.10:                               ;   in Loop: Header=BB61_3 Depth=1
	v_mov_b32_e32 v0, 0
	s_mov_b64 s[2:3], s[16:17]
	s_mov_b32 s19, s26
	s_set_inst_prefetch_distance 0x1
	.p2align	6
.LBB61_11:                              ;   Parent Loop BB61_3 Depth=1
                                        ; =>  This Inner Loop Header: Depth=2
	s_clause 0x1
	s_load_b32 s35, s[2:3], 0x0
	s_load_b32 s36, s[2:3], 0x64
	s_add_i32 s19, s19, -1
	s_waitcnt lgkmcnt(0)
	v_cvt_f32_u32_e32 v6, s35
	s_sub_i32 s37, 0, s35
	s_add_u32 s2, s2, -4
	s_addc_u32 s3, s3, -1
	s_cmp_gt_u32 s19, 2
	v_rcp_iflag_f32_e32 v6, v6
	s_waitcnt_depctr 0xfff
	v_mul_f32_e32 v6, 0x4f7ffffe, v6
	s_delay_alu instid0(VALU_DEP_1) | instskip(NEXT) | instid1(VALU_DEP_1)
	v_cvt_u32_f32_e32 v6, v6
	v_mul_lo_u32 v7, s37, v6
	s_delay_alu instid0(VALU_DEP_1) | instskip(NEXT) | instid1(VALU_DEP_1)
	v_mul_hi_u32 v7, v6, v7
	v_dual_mov_b32 v8, v3 :: v_dual_add_nc_u32 v3, v6, v7
	s_delay_alu instid0(VALU_DEP_1) | instskip(NEXT) | instid1(VALU_DEP_1)
	v_mul_hi_u32 v3, v8, v3
	v_mul_lo_u32 v6, v3, s35
	v_add_nc_u32_e32 v7, 1, v3
	s_delay_alu instid0(VALU_DEP_2) | instskip(NEXT) | instid1(VALU_DEP_1)
	v_sub_nc_u32_e32 v6, v8, v6
	v_subrev_nc_u32_e32 v9, s35, v6
	v_cmp_le_u32_e32 vcc_lo, s35, v6
	s_delay_alu instid0(VALU_DEP_2) | instskip(NEXT) | instid1(VALU_DEP_1)
	v_dual_cndmask_b32 v3, v3, v7 :: v_dual_cndmask_b32 v6, v6, v9
	v_add_nc_u32_e32 v7, 1, v3
	s_delay_alu instid0(VALU_DEP_2) | instskip(NEXT) | instid1(VALU_DEP_2)
	v_cmp_le_u32_e32 vcc_lo, s35, v6
	v_cndmask_b32_e32 v3, v3, v7, vcc_lo
	s_delay_alu instid0(VALU_DEP_1) | instskip(NEXT) | instid1(VALU_DEP_1)
	v_mul_lo_u32 v6, v3, s35
	v_sub_nc_u32_e32 v8, v8, v6
	s_delay_alu instid0(VALU_DEP_1) | instskip(NEXT) | instid1(VALU_DEP_1)
	v_mad_u64_u32 v[6:7], null, s36, v8, v[0:1]
	v_mov_b32_e32 v0, v6
	s_cbranch_scc1 .LBB61_11
.LBB61_12:                              ;   in Loop: Header=BB61_3 Depth=1
	s_set_inst_prefetch_distance 0x2
	s_delay_alu instid0(VALU_DEP_1)
	v_mad_u64_u32 v[6:7], null, s22, v3, v[0:1]
	v_mov_b32_e32 v7, v4
.LBB61_13:                              ;   in Loop: Header=BB61_3 Depth=1
	s_or_b32 exec_lo, exec_lo, s18
	v_mov_b32_e32 v8, 0
	v_mov_b32_e32 v9, 0
	v_cmp_lt_i32_e64 s2, 2, v31
	s_delay_alu instid0(VALU_DEP_1)
	s_and_saveexec_b32 s3, s2
	s_cbranch_execz .LBB61_18
; %bb.14:                               ;   in Loop: Header=BB61_3 Depth=1
	v_or_b32_e32 v3, 2, v29
	v_mov_b32_e32 v0, 0
	s_and_not1_b32 vcc_lo, exec_lo, s23
	s_cbranch_vccnz .LBB61_17
; %bb.15:                               ;   in Loop: Header=BB61_3 Depth=1
	v_mov_b32_e32 v0, 0
	s_mov_b64 s[18:19], s[16:17]
	s_mov_b32 s35, s26
	s_set_inst_prefetch_distance 0x1
	.p2align	6
.LBB61_16:                              ;   Parent Loop BB61_3 Depth=1
                                        ; =>  This Inner Loop Header: Depth=2
	s_clause 0x1
	s_load_b32 s36, s[18:19], 0x0
	s_load_b32 s37, s[18:19], 0x64
	s_add_i32 s35, s35, -1
	s_waitcnt lgkmcnt(0)
	v_cvt_f32_u32_e32 v8, s36
	s_sub_i32 s38, 0, s36
	s_add_u32 s18, s18, -4
	s_addc_u32 s19, s19, -1
	s_cmp_gt_u32 s35, 2
	v_rcp_iflag_f32_e32 v8, v8
	s_waitcnt_depctr 0xfff
	v_mul_f32_e32 v8, 0x4f7ffffe, v8
	s_delay_alu instid0(VALU_DEP_1) | instskip(NEXT) | instid1(VALU_DEP_1)
	v_cvt_u32_f32_e32 v8, v8
	v_mul_lo_u32 v9, s38, v8
	s_delay_alu instid0(VALU_DEP_1) | instskip(NEXT) | instid1(VALU_DEP_1)
	v_mul_hi_u32 v9, v8, v9
	v_dual_mov_b32 v10, v3 :: v_dual_add_nc_u32 v3, v8, v9
	s_delay_alu instid0(VALU_DEP_1) | instskip(NEXT) | instid1(VALU_DEP_1)
	v_mul_hi_u32 v3, v10, v3
	v_mul_lo_u32 v8, v3, s36
	v_add_nc_u32_e32 v9, 1, v3
	s_delay_alu instid0(VALU_DEP_2) | instskip(NEXT) | instid1(VALU_DEP_1)
	v_sub_nc_u32_e32 v8, v10, v8
	v_subrev_nc_u32_e32 v11, s36, v8
	v_cmp_le_u32_e32 vcc_lo, s36, v8
	s_delay_alu instid0(VALU_DEP_2) | instskip(NEXT) | instid1(VALU_DEP_1)
	v_dual_cndmask_b32 v3, v3, v9 :: v_dual_cndmask_b32 v8, v8, v11
	v_add_nc_u32_e32 v9, 1, v3
	s_delay_alu instid0(VALU_DEP_2) | instskip(NEXT) | instid1(VALU_DEP_2)
	v_cmp_le_u32_e32 vcc_lo, s36, v8
	v_cndmask_b32_e32 v3, v3, v9, vcc_lo
	s_delay_alu instid0(VALU_DEP_1) | instskip(NEXT) | instid1(VALU_DEP_1)
	v_mul_lo_u32 v8, v3, s36
	v_sub_nc_u32_e32 v10, v10, v8
	s_delay_alu instid0(VALU_DEP_1) | instskip(NEXT) | instid1(VALU_DEP_1)
	v_mad_u64_u32 v[8:9], null, s37, v10, v[0:1]
	v_mov_b32_e32 v0, v8
	s_cbranch_scc1 .LBB61_16
.LBB61_17:                              ;   in Loop: Header=BB61_3 Depth=1
	s_set_inst_prefetch_distance 0x2
	s_delay_alu instid0(VALU_DEP_1)
	v_mad_u64_u32 v[8:9], null, s22, v3, v[0:1]
	v_mov_b32_e32 v9, v4
.LBB61_18:                              ;   in Loop: Header=BB61_3 Depth=1
	s_or_b32 exec_lo, exec_lo, s3
	v_mov_b32_e32 v12, 0
	v_mov_b32_e32 v13, 0
	v_cmp_lt_i32_e64 s3, 3, v31
	s_delay_alu instid0(VALU_DEP_1)
	s_and_saveexec_b32 s35, s3
	s_cbranch_execz .LBB61_23
; %bb.19:                               ;   in Loop: Header=BB61_3 Depth=1
	v_or_b32_e32 v3, 3, v29
	v_mov_b32_e32 v0, 0
	s_and_not1_b32 vcc_lo, exec_lo, s23
	s_cbranch_vccnz .LBB61_22
; %bb.20:                               ;   in Loop: Header=BB61_3 Depth=1
	v_mov_b32_e32 v0, 0
	s_mov_b64 s[18:19], s[16:17]
	s_mov_b32 s36, s26
	s_set_inst_prefetch_distance 0x1
	.p2align	6
.LBB61_21:                              ;   Parent Loop BB61_3 Depth=1
                                        ; =>  This Inner Loop Header: Depth=2
	s_clause 0x1
	s_load_b32 s37, s[18:19], 0x0
	s_load_b32 s38, s[18:19], 0x64
	s_add_i32 s36, s36, -1
	s_waitcnt lgkmcnt(0)
	v_cvt_f32_u32_e32 v10, s37
	s_sub_i32 s39, 0, s37
	s_add_u32 s18, s18, -4
	s_addc_u32 s19, s19, -1
	s_cmp_gt_u32 s36, 2
	v_rcp_iflag_f32_e32 v10, v10
	s_waitcnt_depctr 0xfff
	v_mul_f32_e32 v10, 0x4f7ffffe, v10
	s_delay_alu instid0(VALU_DEP_1) | instskip(NEXT) | instid1(VALU_DEP_1)
	v_cvt_u32_f32_e32 v10, v10
	v_mul_lo_u32 v11, s39, v10
	s_delay_alu instid0(VALU_DEP_1) | instskip(NEXT) | instid1(VALU_DEP_1)
	v_mul_hi_u32 v11, v10, v11
	v_dual_mov_b32 v12, v3 :: v_dual_add_nc_u32 v3, v10, v11
	s_delay_alu instid0(VALU_DEP_1) | instskip(NEXT) | instid1(VALU_DEP_1)
	v_mul_hi_u32 v3, v12, v3
	v_mul_lo_u32 v10, v3, s37
	v_add_nc_u32_e32 v11, 1, v3
	s_delay_alu instid0(VALU_DEP_2) | instskip(NEXT) | instid1(VALU_DEP_1)
	v_sub_nc_u32_e32 v10, v12, v10
	v_subrev_nc_u32_e32 v13, s37, v10
	v_cmp_le_u32_e32 vcc_lo, s37, v10
	s_delay_alu instid0(VALU_DEP_2) | instskip(NEXT) | instid1(VALU_DEP_1)
	v_dual_cndmask_b32 v3, v3, v11 :: v_dual_cndmask_b32 v10, v10, v13
	v_add_nc_u32_e32 v11, 1, v3
	s_delay_alu instid0(VALU_DEP_2) | instskip(NEXT) | instid1(VALU_DEP_2)
	v_cmp_le_u32_e32 vcc_lo, s37, v10
	v_cndmask_b32_e32 v3, v3, v11, vcc_lo
	s_delay_alu instid0(VALU_DEP_1) | instskip(NEXT) | instid1(VALU_DEP_1)
	v_mul_lo_u32 v10, v3, s37
	v_sub_nc_u32_e32 v12, v12, v10
	s_delay_alu instid0(VALU_DEP_1) | instskip(NEXT) | instid1(VALU_DEP_1)
	v_mad_u64_u32 v[10:11], null, s38, v12, v[0:1]
	v_mov_b32_e32 v0, v10
	s_cbranch_scc1 .LBB61_21
.LBB61_22:                              ;   in Loop: Header=BB61_3 Depth=1
	s_set_inst_prefetch_distance 0x2
	s_delay_alu instid0(VALU_DEP_1)
	v_mad_u64_u32 v[12:13], null, s22, v3, v[0:1]
	v_mov_b32_e32 v13, v4
.LBB61_23:                              ;   in Loop: Header=BB61_3 Depth=1
	s_or_b32 exec_lo, exec_lo, s35
	v_mul_lo_u32 v0, v29, s21
	s_delay_alu instid0(VALU_DEP_1) | instskip(SKIP_1) | instid1(VALU_DEP_2)
	v_add_nc_u32_e32 v14, s21, v0
	v_cndmask_b32_e64 v3, 0, v0, s0
	v_add_nc_u32_e32 v0, s21, v14
	s_delay_alu instid0(VALU_DEP_2) | instskip(SKIP_1) | instid1(VALU_DEP_3)
	v_lshlrev_b64 v[10:11], 2, v[3:4]
	v_cndmask_b32_e64 v3, 0, v14, s1
	v_add_nc_u32_e32 v18, s21, v0
	s_delay_alu instid0(VALU_DEP_2) | instskip(SKIP_3) | instid1(VALU_DEP_3)
	v_lshlrev_b64 v[14:15], 2, v[3:4]
	v_cndmask_b32_e64 v3, 0, v0, s2
	v_add_co_u32 v10, vcc_lo, s8, v10
	v_add_co_ci_u32_e32 v11, vcc_lo, s9, v11, vcc_lo
	v_lshlrev_b64 v[16:17], 2, v[3:4]
	v_cndmask_b32_e64 v3, 0, v18, s3
	v_add_co_u32 v14, vcc_lo, s8, v14
	v_add_co_ci_u32_e32 v15, vcc_lo, s9, v15, vcc_lo
	s_delay_alu instid0(VALU_DEP_3) | instskip(SKIP_2) | instid1(VALU_DEP_3)
	v_lshlrev_b64 v[18:19], 2, v[3:4]
	v_add_co_u32 v16, vcc_lo, s8, v16
	v_add_co_ci_u32_e32 v17, vcc_lo, s9, v17, vcc_lo
	v_add_co_u32 v18, vcc_lo, s8, v18
	s_delay_alu instid0(VALU_DEP_4)
	v_add_co_ci_u32_e32 v19, vcc_lo, s9, v19, vcc_lo
	s_clause 0x3
	global_load_b32 v0, v[10:11], off
	global_load_b32 v3, v[14:15], off
	;; [unrolled: 1-line block ×4, first 2 shown]
	v_mov_b32_e32 v19, s5
	v_dual_mov_b32 v17, s7 :: v_dual_mov_b32 v16, s6
	v_mov_b32_e32 v18, s4
	s_and_not1_b32 vcc_lo, exec_lo, s24
	s_cbranch_vccnz .LBB61_25
; %bb.24:                               ;   in Loop: Header=BB61_3 Depth=1
	v_dual_mov_b32 v11, s7 :: v_dual_mov_b32 v10, s6
	v_dual_mov_b32 v15, s5 :: v_dual_mov_b32 v14, s4
	flat_load_b64 v[10:11], v[10:11]
	flat_load_b64 v[18:19], v[14:15]
	s_waitcnt vmcnt(1) lgkmcnt(1)
	v_add_co_u32 v16, vcc_lo, v10, s10
	v_add_co_ci_u32_e32 v17, vcc_lo, s11, v11, vcc_lo
.LBB61_25:                              ;   in Loop: Header=BB61_3 Depth=1
	s_delay_alu instid0(VALU_DEP_1)
	v_alignbit_b32 v20, v17, v16, 2
	v_lshrrev_b32_e32 v14, 2, v17
	s_waitcnt vmcnt(0) lgkmcnt(0)
	v_add_nc_u32_e32 v35, 0xbb67ae85, v19
	v_add_nc_u32_e32 v36, 0x3c6ef372, v18
	;; [unrolled: 1-line block ×3, first 2 shown]
	v_add_co_u32 v15, vcc_lo, v20, 1
	s_delay_alu instid0(VALU_DEP_1) | instskip(SKIP_4) | instid1(VALU_DEP_4)
	v_cndmask_b32_e64 v10, 0, 1, vcc_lo
	v_add_co_ci_u32_e32 v17, vcc_lo, 0, v14, vcc_lo
	v_xor3_b32 v22, v30, v18, v14
	v_add_nc_u32_e32 v39, 0xed9eba14, v19
	v_add_nc_u32_e32 v40, 0x1fd5c5a3, v19
	v_cmp_eq_u32_e32 vcc_lo, 0, v17
	s_mov_b32 s0, exec_lo
	v_dual_cndmask_b32 v21, 0, v10 :: v_dual_add_nc_u32 v38, 0x32370b8f, v19
	v_mad_u64_u32 v[10:11], null, 0xd2511f53, v15, 0
	v_mad_u64_u32 v[14:15], null, 0xd2511f53, v20, 0
	s_delay_alu instid0(VALU_DEP_3) | instskip(NEXT) | instid1(VALU_DEP_3)
	v_add_nc_u32_e32 v24, v21, v1
	v_xor_b32_e32 v11, v11, v19
	s_delay_alu instid0(VALU_DEP_2) | instskip(SKIP_1) | instid1(VALU_DEP_1)
	v_cmp_eq_u32_e32 vcc_lo, 0, v24
	v_dual_cndmask_b32 v21, 0, v21 :: v_dual_add_nc_u32 v34, 0x9e3779b9, v18
	v_xor_b32_e32 v11, v21, v11
	v_mad_u64_u32 v[20:21], null, 0xd2511f53, v22, 0
	v_mad_u64_u32 v[22:23], null, 0xcd9e8d57, v24, 0
	s_delay_alu instid0(VALU_DEP_3) | instskip(SKIP_1) | instid1(VALU_DEP_4)
	v_mad_u64_u32 v[24:25], null, 0xcd9e8d57, v11, 0
	v_xor_b32_e32 v11, v15, v19
	v_xor3_b32 v26, v35, v21, v14
	s_delay_alu instid0(VALU_DEP_2) | instskip(SKIP_2) | instid1(VALU_DEP_4)
	v_mad_u64_u32 v[14:15], null, 0xcd9e8d57, v11, 0
	v_xor3_b32 v11, v23, v18, v17
	v_xor3_b32 v17, v34, v25, v22
	v_mad_u64_u32 v[21:22], null, 0xcd9e8d57, v26, 0
	s_delay_alu instid0(VALU_DEP_3) | instskip(NEXT) | instid1(VALU_DEP_3)
	v_mad_u64_u32 v[25:26], null, 0xd2511f53, v11, 0
	v_mad_u64_u32 v[27:28], null, 0xd2511f53, v17, 0
	v_xor3_b32 v11, v2, v15, v34
	s_delay_alu instid0(VALU_DEP_4) | instskip(SKIP_2) | instid1(VALU_DEP_4)
	v_xor3_b32 v22, v36, v22, v14
	v_add_nc_u32_e32 v17, 0xdaa66d2b, v18
	v_xor3_b32 v26, v35, v26, v10
	v_mad_u64_u32 v[14:15], null, 0xd2511f53, v11, 0
	v_xor3_b32 v28, v37, v28, v25
	v_mad_u64_u32 v[10:11], null, 0xd2511f53, v22, 0
	s_delay_alu instid0(VALU_DEP_4) | instskip(NEXT) | instid1(VALU_DEP_3)
	v_mad_u64_u32 v[22:23], null, 0xcd9e8d57, v26, 0
	v_mad_u64_u32 v[25:26], null, 0xcd9e8d57, v28, 0
	v_xor3_b32 v20, v37, v15, v20
	v_add_nc_u32_e32 v28, 0x78dde6e4, v18
	v_xor3_b32 v11, v38, v11, v14
	s_delay_alu instid0(VALU_DEP_3) | instskip(SKIP_2) | instid1(VALU_DEP_4)
	v_mad_u64_u32 v[14:15], null, 0xcd9e8d57, v20, 0
	v_xor3_b32 v20, v36, v23, v24
	v_xor3_b32 v24, v17, v26, v22
	v_mad_u64_u32 v[22:23], null, 0xcd9e8d57, v11, 0
	s_delay_alu instid0(VALU_DEP_3) | instskip(NEXT) | instid1(VALU_DEP_3)
	v_mad_u64_u32 v[34:35], null, 0xd2511f53, v20, 0
	v_mad_u64_u32 v[36:37], null, 0xd2511f53, v24, 0
	v_xor3_b32 v11, v17, v15, v21
	s_delay_alu instid0(VALU_DEP_4) | instskip(SKIP_2) | instid1(VALU_DEP_4)
	v_xor3_b32 v20, v28, v23, v14
	v_add_nc_u32_e32 v17, 0x1715609d, v18
	v_add_nc_u32_e32 v24, 0xa9066899, v19
	v_mad_u64_u32 v[14:15], null, 0xd2511f53, v11, 0
	v_xor3_b32 v11, v38, v35, v27
	v_xor3_b32 v23, v39, v37, v34
	v_mad_u64_u32 v[26:27], null, 0xd2511f53, v20, 0
	v_add_nc_u32_e32 v35, 0xb54cda56, v18
	s_delay_alu instid0(VALU_DEP_4) | instskip(NEXT) | instid1(VALU_DEP_4)
	v_mad_u64_u32 v[20:21], null, 0xcd9e8d57, v11, 0
	v_mad_u64_u32 v[37:38], null, 0xcd9e8d57, v23, 0
	v_xor3_b32 v15, v39, v15, v10
	v_xor3_b32 v23, v24, v27, v14
	v_add_nc_u32_e32 v34, 0x646e171e, v19
	v_xor3_b32 v25, v28, v21, v25
	s_delay_alu instid0(VALU_DEP_4) | instskip(SKIP_2) | instid1(VALU_DEP_4)
	v_mad_u64_u32 v[10:11], null, 0xcd9e8d57, v15, 0
	v_xor3_b32 v27, v17, v38, v20
	v_mad_u64_u32 v[14:15], null, 0xcd9e8d57, v23, 0
	v_mad_u64_u32 v[20:21], null, 0xd2511f53, v25, 0
	s_delay_alu instid0(VALU_DEP_3) | instskip(SKIP_3) | instid1(VALU_DEP_3)
	v_mad_u64_u32 v[38:39], null, 0xd2511f53, v27, 0
	v_xor3_b32 v17, v17, v11, v22
	v_add_nc_u32_e32 v25, 0x5384540f, v18
	v_xor3_b32 v15, v35, v15, v10
	v_mad_u64_u32 v[10:11], null, 0xd2511f53, v17, 0
	v_xor3_b32 v17, v24, v21, v36
	v_xor3_b32 v22, v34, v39, v20
	s_delay_alu instid0(VALU_DEP_4) | instskip(NEXT) | instid1(VALU_DEP_3)
	v_mad_u64_u32 v[20:21], null, 0xd2511f53, v15, 0
	v_mad_u64_u32 v[27:28], null, 0xcd9e8d57, v17, 0
	s_delay_alu instid0(VALU_DEP_3) | instskip(SKIP_1) | instid1(VALU_DEP_4)
	v_mad_u64_u32 v[23:24], null, 0xcd9e8d57, v22, 0
	v_xor3_b32 v15, v34, v11, v26
	v_xor3_b32 v17, v40, v21, v10
	v_add_co_u32 v34, null, 0xf1bbcdc8, v18
	s_delay_alu instid0(VALU_DEP_3) | instskip(SKIP_4) | instid1(VALU_DEP_4)
	v_mad_u64_u32 v[10:11], null, 0xcd9e8d57, v15, 0
	v_xor3_b32 v15, v35, v28, v37
	v_xor3_b32 v24, v25, v24, v27
	v_mad_u64_u32 v[21:22], null, 0xcd9e8d57, v17, 0
	v_add_nc_u32_e32 v35, 0xdb3d7428, v19
	v_mad_u64_u32 v[36:37], null, 0xd2511f53, v15, 0
	s_delay_alu instid0(VALU_DEP_4) | instskip(SKIP_4) | instid1(VALU_DEP_4)
	v_mad_u64_u32 v[26:27], null, 0xd2511f53, v24, 0
	v_xor3_b32 v11, v25, v11, v14
	v_xor3_b32 v14, v34, v22, v10
	v_add_nc_u32_e32 v22, 0x8ff34781, v18
	v_xor3_b32 v15, v40, v37, v38
	v_mad_u64_u32 v[24:25], null, 0xd2511f53, v11, 0
	v_xor3_b32 v17, v35, v27, v36
	v_mad_u64_u32 v[10:11], null, 0xd2511f53, v14, 0
	s_delay_alu instid0(VALU_DEP_4) | instskip(NEXT) | instid1(VALU_DEP_3)
	v_mad_u64_u32 v[27:28], null, 0xcd9e8d57, v15, 0
	v_mad_u64_u32 v[14:15], null, 0xcd9e8d57, v17, 0
	v_add_nc_u32_e32 v36, 0x96a522ad, v19
	v_and_b32_e32 v19, 3, v16
                                        ; implicit-def: $vgpr17
	s_delay_alu instid0(VALU_DEP_2) | instskip(NEXT) | instid1(VALU_DEP_4)
	v_xor3_b32 v18, v11, v24, v36
	v_xor3_b32 v11, v15, v27, v22
	s_delay_alu instid0(VALU_DEP_3)
	v_cmpx_lt_i32_e32 1, v19
	s_xor_b32 s0, exec_lo, s0
	s_cbranch_execz .LBB61_31
; %bb.26:                               ;   in Loop: Header=BB61_3 Depth=1
	s_mov_b32 s1, exec_lo
                                        ; implicit-def: $vgpr17
	v_cmpx_lt_i32_e32 2, v19
	s_xor_b32 s1, exec_lo, s1
; %bb.27:                               ;   in Loop: Header=BB61_3 Depth=1
	v_xor3_b32 v15, v34, v28, v23
                                        ; implicit-def: $vgpr18
	s_delay_alu instid0(VALU_DEP_1) | instskip(NEXT) | instid1(VALU_DEP_1)
	v_mul_hi_u32 v15, 0xd2511f53, v15
	v_xor3_b32 v17, v15, v26, v36
; %bb.28:                               ;   in Loop: Header=BB61_3 Depth=1
	s_and_not1_saveexec_b32 s1, s1
; %bb.29:                               ;   in Loop: Header=BB61_3 Depth=1
	v_dual_mov_b32 v17, v14 :: v_dual_mov_b32 v14, v11
	v_mov_b32_e32 v11, v10
	v_mov_b32_e32 v10, v18
; %bb.30:                               ;   in Loop: Header=BB61_3 Depth=1
	s_or_b32 exec_lo, exec_lo, s1
                                        ; implicit-def: $vgpr20_vgpr21
                                        ; implicit-def: $vgpr19
                                        ; implicit-def: $vgpr18
                                        ; implicit-def: $vgpr35
                                        ; implicit-def: $vgpr24_vgpr25
                                        ; implicit-def: $vgpr21_vgpr22
                                        ; implicit-def: $vgpr22
.LBB61_31:                              ;   in Loop: Header=BB61_3 Depth=1
	s_and_not1_saveexec_b32 s0, s0
	s_cbranch_execz .LBB61_35
; %bb.32:                               ;   in Loop: Header=BB61_3 Depth=1
	v_xor3_b32 v14, v35, v25, v20
	v_cmp_eq_u32_e32 vcc_lo, 1, v19
	s_delay_alu instid0(VALU_DEP_2) | instskip(SKIP_2) | instid1(VALU_DEP_3)
	v_mad_u64_u32 v[15:16], null, 0xcd9e8d57, v14, 0
	v_mov_b32_e32 v17, v10
	v_mov_b32_e32 v14, v18
	v_xor3_b32 v19, v16, v21, v22
	s_delay_alu instid0(VALU_DEP_4)
	v_mov_b32_e32 v16, v15
	s_and_saveexec_b32 s1, vcc_lo
; %bb.33:                               ;   in Loop: Header=BB61_3 Depth=1
	v_dual_mov_b32 v17, v11 :: v_dual_mov_b32 v14, v10
	v_dual_mov_b32 v16, v18 :: v_dual_mov_b32 v19, v15
; %bb.34:                               ;   in Loop: Header=BB61_3 Depth=1
	s_or_b32 exec_lo, exec_lo, s1
	s_delay_alu instid0(VALU_DEP_1)
	v_dual_mov_b32 v10, v19 :: v_dual_mov_b32 v11, v16
.LBB61_35:                              ;   in Loop: Header=BB61_3 Depth=1
	s_or_b32 exec_lo, exec_lo, s0
	v_min_i32_e32 v15, 4, v31
	s_mov_b32 s1, 0
	s_mov_b32 s36, 0
	;; [unrolled: 1-line block ×3, first 2 shown]
                                        ; implicit-def: $sgpr3
                                        ; implicit-def: $sgpr18
                                        ; implicit-def: $sgpr19
	s_mov_b32 s0, exec_lo
	v_cmpx_lt_i32_e32 2, v15
	s_xor_b32 s35, exec_lo, s0
	s_cbranch_execz .LBB61_47
; %bb.36:                               ;   in Loop: Header=BB61_3 Depth=1
	s_mov_b32 s0, -1
	s_mov_b32 s37, 0
	s_mov_b32 s18, exec_lo
                                        ; implicit-def: $sgpr2
                                        ; implicit-def: $sgpr3
	v_cmpx_lt_i32_e32 3, v15
	s_cbranch_execz .LBB61_42
; %bb.37:                               ;   in Loop: Header=BB61_3 Depth=1
	s_mov_b32 s0, 0
	s_mov_b32 s37, -1
	s_mov_b32 s19, exec_lo
                                        ; implicit-def: $sgpr2
                                        ; implicit-def: $sgpr3
	v_cmpx_eq_u32_e32 4, v15
	s_cbranch_execz .LBB61_41
; %bb.38:                               ;   in Loop: Header=BB61_3 Depth=1
	v_cmp_le_f32_e32 vcc_lo, 0, v33
	v_cmp_ge_f32_e64 s0, 1.0, v33
	s_mov_b32 s2, 0
	s_delay_alu instid0(VALU_DEP_1)
	s_and_b32 s37, vcc_lo, s0
	s_mov_b32 s0, 0
	s_and_saveexec_b32 s3, s37
	s_cbranch_execz .LBB61_40
; %bb.39:                               ;   in Loop: Header=BB61_3 Depth=1
	v_cvt_f32_u32_e32 v16, v17
	v_lshlrev_b64 v[12:13], 1, v[12:13]
	s_mov_b32 s0, exec_lo
	s_delay_alu instid0(VALU_DEP_2) | instskip(NEXT) | instid1(VALU_DEP_2)
	v_fmaak_f32 v16, 0x2f800000, v16, 0x2f800000
	v_add_co_u32 v12, vcc_lo, s12, v12
	s_delay_alu instid0(VALU_DEP_3) | instskip(NEXT) | instid1(VALU_DEP_3)
	v_add_co_ci_u32_e32 v13, vcc_lo, s13, v13, vcc_lo
	v_cmp_le_f32_e32 vcc_lo, v16, v33
	v_cndmask_b32_e64 v16, 0, 1, vcc_lo
	global_store_b16 v[12:13], v16, off
.LBB61_40:                              ;   in Loop: Header=BB61_3 Depth=1
	s_or_b32 exec_lo, exec_lo, s3
	s_mov_b32 s3, -1
	s_xor_b32 s37, exec_lo, -1
	s_and_b32 s0, s0, exec_lo
.LBB61_41:                              ;   in Loop: Header=BB61_3 Depth=1
	s_or_b32 exec_lo, exec_lo, s19
	s_delay_alu instid0(SALU_CYCLE_1)
	s_and_b32 s37, s37, exec_lo
	s_or_not1_b32 s0, s0, exec_lo
.LBB61_42:                              ;   in Loop: Header=BB61_3 Depth=1
	s_or_b32 exec_lo, exec_lo, s18
	s_mov_b32 s19, s2
	s_and_saveexec_b32 s18, s0
	s_cbranch_execz .LBB61_46
; %bb.43:                               ;   in Loop: Header=BB61_3 Depth=1
	v_cmp_le_f32_e32 vcc_lo, 0, v32
	v_cmp_ge_f32_e64 s0, 1.0, v32
	s_delay_alu instid0(VALU_DEP_1) | instskip(SKIP_2) | instid1(SALU_CYCLE_1)
	s_and_b32 s19, vcc_lo, s0
	s_mov_b32 s0, 0
	s_and_saveexec_b32 s36, s19
	s_xor_b32 s19, exec_lo, s36
	s_cbranch_execz .LBB61_45
; %bb.44:                               ;   in Loop: Header=BB61_3 Depth=1
	v_cvt_f32_u32_e32 v12, v14
	v_lshlrev_b64 v[8:9], 1, v[8:9]
	s_mov_b32 s0, exec_lo
	s_delay_alu instid0(VALU_DEP_2) | instskip(NEXT) | instid1(VALU_DEP_2)
	v_fmaak_f32 v12, 0x2f800000, v12, 0x2f800000
	v_add_co_u32 v8, vcc_lo, s12, v8
	s_delay_alu instid0(VALU_DEP_3) | instskip(NEXT) | instid1(VALU_DEP_3)
	v_add_co_ci_u32_e32 v9, vcc_lo, s13, v9, vcc_lo
	v_cmp_le_f32_e32 vcc_lo, v12, v32
	v_cndmask_b32_e64 v12, 0, 1, vcc_lo
	global_store_b16 v[8:9], v12, off
.LBB61_45:                              ;   in Loop: Header=BB61_3 Depth=1
	s_or_b32 exec_lo, exec_lo, s19
	s_delay_alu instid0(SALU_CYCLE_1)
	s_and_not1_b32 s19, s2, exec_lo
	s_or_b32 s2, s2, exec_lo
	s_and_not1_b32 s3, s3, exec_lo
	s_and_b32 s36, s0, exec_lo
.LBB61_46:                              ;   in Loop: Header=BB61_3 Depth=1
	s_or_b32 exec_lo, exec_lo, s18
	s_delay_alu instid0(SALU_CYCLE_1)
	s_and_b32 s19, s19, exec_lo
	s_and_b32 s18, s2, exec_lo
	;; [unrolled: 1-line block ×5, first 2 shown]
.LBB61_47:                              ;   in Loop: Header=BB61_3 Depth=1
	s_and_not1_saveexec_b32 s0, s35
; %bb.48:                               ;   in Loop: Header=BB61_3 Depth=1
	v_cmp_lt_i32_e32 vcc_lo, 1, v15
	s_and_not1_b32 s35, s36, exec_lo
	s_mov_b32 s1, exec_lo
	s_and_not1_b32 s19, s19, exec_lo
	s_and_not1_b32 s18, s18, exec_lo
	s_and_b32 s36, vcc_lo, exec_lo
	s_and_not1_b32 s3, s3, exec_lo
	s_or_b32 s36, s35, s36
; %bb.49:                               ;   in Loop: Header=BB61_3 Depth=1
	s_or_b32 exec_lo, exec_lo, s0
	s_mov_b32 s0, 0
	s_mov_b32 s35, s19
	s_and_saveexec_b32 s37, s36
	s_cbranch_execnz .LBB61_52
; %bb.50:                               ;   in Loop: Header=BB61_3 Depth=1
	s_or_b32 exec_lo, exec_lo, s37
	s_and_saveexec_b32 s36, s1
	s_cbranch_execnz .LBB61_55
.LBB61_51:                              ;   in Loop: Header=BB61_3 Depth=1
	s_or_b32 exec_lo, exec_lo, s36
	s_and_saveexec_b32 s1, s0
	s_cbranch_execnz .LBB61_56
	s_branch .LBB61_59
.LBB61_52:                              ;   in Loop: Header=BB61_3 Depth=1
	v_cmp_le_f32_e32 vcc_lo, 0, v3
	v_cmp_ge_f32_e64 s0, 1.0, v3
	s_delay_alu instid0(VALU_DEP_1) | instskip(SKIP_2) | instid1(SALU_CYCLE_1)
	s_and_b32 s35, vcc_lo, s0
	s_mov_b32 s0, 0
	s_and_saveexec_b32 s36, s35
	s_xor_b32 s35, exec_lo, s36
	s_cbranch_execz .LBB61_54
; %bb.53:                               ;   in Loop: Header=BB61_3 Depth=1
	v_cvt_f32_u32_e32 v8, v11
	v_lshlrev_b64 v[6:7], 1, v[6:7]
	s_mov_b32 s0, exec_lo
	s_delay_alu instid0(VALU_DEP_2) | instskip(NEXT) | instid1(VALU_DEP_2)
	v_fmaak_f32 v8, 0x2f800000, v8, 0x2f800000
	v_add_co_u32 v6, vcc_lo, s12, v6
	s_delay_alu instid0(VALU_DEP_3) | instskip(NEXT) | instid1(VALU_DEP_3)
	v_add_co_ci_u32_e32 v7, vcc_lo, s13, v7, vcc_lo
	v_cmp_le_f32_e32 vcc_lo, v8, v3
	v_cndmask_b32_e64 v3, 0, 1, vcc_lo
	global_store_b16 v[6:7], v3, off
.LBB61_54:                              ;   in Loop: Header=BB61_3 Depth=1
	s_or_b32 exec_lo, exec_lo, s35
	s_delay_alu instid0(SALU_CYCLE_1)
	s_and_not1_b32 s35, s19, exec_lo
	s_or_b32 s19, s19, exec_lo
	s_and_not1_b32 s18, s18, exec_lo
	s_and_not1_b32 s3, s3, exec_lo
	s_and_b32 s0, s0, exec_lo
	s_and_not1_b32 s1, s1, exec_lo
	s_or_b32 exec_lo, exec_lo, s37
	s_and_saveexec_b32 s36, s1
	s_cbranch_execz .LBB61_51
.LBB61_55:                              ;   in Loop: Header=BB61_3 Depth=1
	v_cmp_eq_u32_e32 vcc_lo, 1, v15
	s_and_not1_b32 s0, s0, exec_lo
	s_and_not1_b32 s35, s35, exec_lo
	;; [unrolled: 1-line block ×4, first 2 shown]
	s_and_b32 s1, vcc_lo, exec_lo
	s_and_not1_b32 s3, s3, exec_lo
	s_or_b32 s2, s2, exec_lo
	s_or_b32 s0, s0, s1
	s_or_b32 exec_lo, exec_lo, s36
	s_and_saveexec_b32 s1, s0
	s_cbranch_execz .LBB61_59
.LBB61_56:                              ;   in Loop: Header=BB61_3 Depth=1
	v_cmp_le_f32_e32 vcc_lo, 0, v0
	v_cmp_ge_f32_e64 s0, 1.0, v0
	s_delay_alu instid0(VALU_DEP_1)
	s_and_b32 s37, vcc_lo, s0
	s_mov_b32 s0, 0
	s_and_saveexec_b32 s36, s37
	s_cbranch_execz .LBB61_58
; %bb.57:                               ;   in Loop: Header=BB61_3 Depth=1
	v_cvt_f32_u32_e32 v3, v10
	v_mov_b32_e32 v6, v4
	s_mov_b32 s0, exec_lo
	s_delay_alu instid0(VALU_DEP_2) | instskip(NEXT) | instid1(VALU_DEP_2)
	v_fmaak_f32 v3, 0x2f800000, v3, 0x2f800000
	v_lshlrev_b64 v[5:6], 1, v[5:6]
	s_delay_alu instid0(VALU_DEP_1) | instskip(NEXT) | instid1(VALU_DEP_2)
	v_add_co_u32 v5, vcc_lo, s12, v5
	v_add_co_ci_u32_e32 v6, vcc_lo, s13, v6, vcc_lo
	s_delay_alu instid0(VALU_DEP_4)
	v_cmp_le_f32_e32 vcc_lo, v3, v0
	v_cndmask_b32_e64 v0, 0, 1, vcc_lo
	global_store_b16 v[5:6], v0, off
.LBB61_58:                              ;   in Loop: Header=BB61_3 Depth=1
	s_or_b32 exec_lo, exec_lo, s36
	s_delay_alu instid0(SALU_CYCLE_1)
	s_and_not1_b32 s2, s2, exec_lo
	s_and_b32 s0, s0, exec_lo
	s_or_b32 s35, s35, exec_lo
	s_and_not1_b32 s19, s19, exec_lo
	s_and_not1_b32 s18, s18, exec_lo
	;; [unrolled: 1-line block ×3, first 2 shown]
	s_or_b32 s2, s2, s0
.LBB61_59:                              ;   in Loop: Header=BB61_3 Depth=1
	s_or_b32 exec_lo, exec_lo, s1
	s_delay_alu instid0(SALU_CYCLE_1)
	s_and_not1_b32 s1, s34, exec_lo
	s_and_b32 s34, s35, exec_lo
	s_and_not1_b32 s31, s31, exec_lo
	s_and_b32 s19, s19, exec_lo
	s_or_b32 s34, s1, s34
	s_or_b32 s31, s31, s19
	s_and_not1_b32 s1, s33, exec_lo
	s_and_b32 s18, s18, exec_lo
	s_and_not1_b32 s19, s30, exec_lo
	s_and_b32 s3, s3, exec_lo
	s_mov_b32 s0, -1
	s_or_b32 s33, s1, s18
	s_or_b32 s30, s19, s3
	s_and_saveexec_b32 s1, s2
	s_cbranch_execz .LBB61_2
; %bb.60:                               ;   in Loop: Header=BB61_3 Depth=1
	v_add_nc_u32_e32 v29, s25, v29
	s_and_not1_b32 s34, s34, exec_lo
	s_and_not1_b32 s31, s31, exec_lo
	;; [unrolled: 1-line block ×4, first 2 shown]
	v_cmp_le_u32_e32 vcc_lo, s20, v29
	s_or_not1_b32 s0, vcc_lo, exec_lo
	s_branch .LBB61_2
.LBB61_61:
	s_or_b32 exec_lo, exec_lo, s15
	s_xor_b32 s3, s28, -1
	s_xor_b32 s4, s29, -1
	;; [unrolled: 1-line block ×3, first 2 shown]
	s_mov_b32 s1, 0
	s_and_saveexec_b32 s2, s0
	s_delay_alu instid0(SALU_CYCLE_1)
	s_xor_b32 s0, exec_lo, s2
	s_cbranch_execz .LBB61_70
; %bb.62:
	s_mov_b32 s2, 0
	s_and_saveexec_b32 s1, s4
	s_delay_alu instid0(SALU_CYCLE_1)
	s_xor_b32 s1, exec_lo, s1
	s_cbranch_execz .LBB61_68
; %bb.63:
	s_and_saveexec_b32 s4, s3
	s_delay_alu instid0(SALU_CYCLE_1)
	s_xor_b32 s3, exec_lo, s4
	s_cbranch_execz .LBB61_66
; %bb.64:
	s_and_saveexec_b32 s4, s14
	s_delay_alu instid0(SALU_CYCLE_1)
	s_xor_b32 s4, exec_lo, s4
	s_cbranch_execnz .LBB61_84
.LBB61_65:
	s_or_b32 exec_lo, exec_lo, s4
	s_delay_alu instid0(SALU_CYCLE_1)
	s_and_b32 s2, s2, exec_lo
.LBB61_66:
	s_and_not1_saveexec_b32 s3, s3
	s_cbranch_execnz .LBB61_80
.LBB61_67:
	s_or_b32 exec_lo, exec_lo, s3
	s_delay_alu instid0(SALU_CYCLE_1)
	s_and_b32 s2, s2, exec_lo
.LBB61_68:
	s_and_not1_saveexec_b32 s1, s1
	s_cbranch_execnz .LBB61_76
.LBB61_69:
	s_or_b32 exec_lo, exec_lo, s1
	s_delay_alu instid0(SALU_CYCLE_1)
	s_and_b32 s1, s2, exec_lo
.LBB61_70:
	s_and_not1_saveexec_b32 s0, s0
	s_cbranch_execnz .LBB61_74
; %bb.71:
	s_or_b32 exec_lo, exec_lo, s0
	s_delay_alu instid0(SALU_CYCLE_1)
	s_and_b32 exec_lo, exec_lo, s1
.LBB61_72:
	; divergent unreachable
.LBB61_73:
	s_nop 0
	s_sendmsg sendmsg(MSG_DEALLOC_VGPRS)
	s_endpgm
.LBB61_74:
	s_cbranch_execnz .LBB61_78
; %bb.75:
	s_or_b32 s1, s1, exec_lo
	s_or_b32 exec_lo, exec_lo, s0
	s_delay_alu instid0(SALU_CYCLE_1)
	s_and_b32 exec_lo, exec_lo, s1
	s_cbranch_execnz .LBB61_72
	s_branch .LBB61_73
.LBB61_76:
	s_cbranch_execnz .LBB61_82
; %bb.77:
	s_or_b32 s2, s2, exec_lo
	s_branch .LBB61_69
.LBB61_78:
	s_trap 2
	s_sendmsg_rtn_b32 s0, sendmsg(MSG_RTN_GET_DOORBELL)
	s_mov_b32 ttmp2, m0
	s_waitcnt lgkmcnt(0)
	s_and_b32 s0, s0, 0x3ff
	s_delay_alu instid0(SALU_CYCLE_1) | instskip(NEXT) | instid1(SALU_CYCLE_1)
	s_bitset1_b32 s0, 10
	s_mov_b32 m0, s0
	s_sendmsg sendmsg(MSG_INTERRUPT)
	s_mov_b32 m0, ttmp2
.LBB61_79:                              ; =>This Inner Loop Header: Depth=1
	s_sethalt 5
	s_branch .LBB61_79
.LBB61_80:
	s_cbranch_execnz .LBB61_86
; %bb.81:
	s_or_b32 s2, s2, exec_lo
	s_branch .LBB61_67
.LBB61_82:
	s_trap 2
	s_sendmsg_rtn_b32 s0, sendmsg(MSG_RTN_GET_DOORBELL)
	s_mov_b32 ttmp2, m0
	s_waitcnt lgkmcnt(0)
	s_and_b32 s0, s0, 0x3ff
	s_delay_alu instid0(SALU_CYCLE_1) | instskip(NEXT) | instid1(SALU_CYCLE_1)
	s_bitset1_b32 s0, 10
	s_mov_b32 m0, s0
	s_sendmsg sendmsg(MSG_INTERRUPT)
	s_mov_b32 m0, ttmp2
.LBB61_83:                              ; =>This Inner Loop Header: Depth=1
	s_sethalt 5
	s_branch .LBB61_83
.LBB61_84:
	s_cbranch_execnz .LBB61_88
; %bb.85:
	s_mov_b32 s2, exec_lo
	s_branch .LBB61_65
.LBB61_86:
	s_trap 2
	s_sendmsg_rtn_b32 s0, sendmsg(MSG_RTN_GET_DOORBELL)
	s_mov_b32 ttmp2, m0
	s_waitcnt lgkmcnt(0)
	s_and_b32 s0, s0, 0x3ff
	s_delay_alu instid0(SALU_CYCLE_1) | instskip(NEXT) | instid1(SALU_CYCLE_1)
	s_bitset1_b32 s0, 10
	s_mov_b32 m0, s0
	s_sendmsg sendmsg(MSG_INTERRUPT)
	s_mov_b32 m0, ttmp2
.LBB61_87:                              ; =>This Inner Loop Header: Depth=1
	s_sethalt 5
	s_branch .LBB61_87
.LBB61_88:
	s_trap 2
	s_sendmsg_rtn_b32 s0, sendmsg(MSG_RTN_GET_DOORBELL)
	s_mov_b32 ttmp2, m0
	s_waitcnt lgkmcnt(0)
	s_and_b32 s0, s0, 0x3ff
	s_delay_alu instid0(SALU_CYCLE_1) | instskip(NEXT) | instid1(SALU_CYCLE_1)
	s_bitset1_b32 s0, 10
	s_mov_b32 m0, s0
	s_sendmsg sendmsg(MSG_INTERRUPT)
	s_mov_b32 m0, ttmp2
.LBB61_89:                              ; =>This Inner Loop Header: Depth=1
	s_sethalt 5
	s_branch .LBB61_89
	.section	.rodata,"a",@progbits
	.p2align	6, 0x0
	.amdhsa_kernel _ZN2at4cuda12_GLOBAL__N_121kernelPointwiseApply2IZNS_6native9templates4cuda28bernoulli_tensor_cuda_kernelIsfEEvRKNS_10TensorBaseES9_NS_15PhiloxCudaStateEEUliRsSB_SB_SB_RKfSD_SD_SD_E_sSC_jLin1ELi1ELi4ELi512ELi2EEEvNS0_6detail10TensorInfoIT0_T2_EENSG_IT1_SI_EESI_T_
		.amdhsa_group_segment_fixed_size 0
		.amdhsa_private_segment_fixed_size 0
		.amdhsa_kernarg_size 728
		.amdhsa_user_sgpr_count 15
		.amdhsa_user_sgpr_dispatch_ptr 0
		.amdhsa_user_sgpr_queue_ptr 0
		.amdhsa_user_sgpr_kernarg_segment_ptr 1
		.amdhsa_user_sgpr_dispatch_id 0
		.amdhsa_user_sgpr_private_segment_size 0
		.amdhsa_wavefront_size32 1
		.amdhsa_uses_dynamic_stack 0
		.amdhsa_enable_private_segment 0
		.amdhsa_system_sgpr_workgroup_id_x 1
		.amdhsa_system_sgpr_workgroup_id_y 0
		.amdhsa_system_sgpr_workgroup_id_z 0
		.amdhsa_system_sgpr_workgroup_info 0
		.amdhsa_system_vgpr_workitem_id 0
		.amdhsa_next_free_vgpr 41
		.amdhsa_next_free_sgpr 40
		.amdhsa_reserve_vcc 1
		.amdhsa_float_round_mode_32 0
		.amdhsa_float_round_mode_16_64 0
		.amdhsa_float_denorm_mode_32 3
		.amdhsa_float_denorm_mode_16_64 3
		.amdhsa_dx10_clamp 1
		.amdhsa_ieee_mode 1
		.amdhsa_fp16_overflow 0
		.amdhsa_workgroup_processor_mode 1
		.amdhsa_memory_ordered 1
		.amdhsa_forward_progress 0
		.amdhsa_shared_vgpr_count 0
		.amdhsa_exception_fp_ieee_invalid_op 0
		.amdhsa_exception_fp_denorm_src 0
		.amdhsa_exception_fp_ieee_div_zero 0
		.amdhsa_exception_fp_ieee_overflow 0
		.amdhsa_exception_fp_ieee_underflow 0
		.amdhsa_exception_fp_ieee_inexact 0
		.amdhsa_exception_int_div_zero 0
	.end_amdhsa_kernel
	.section	.text._ZN2at4cuda12_GLOBAL__N_121kernelPointwiseApply2IZNS_6native9templates4cuda28bernoulli_tensor_cuda_kernelIsfEEvRKNS_10TensorBaseES9_NS_15PhiloxCudaStateEEUliRsSB_SB_SB_RKfSD_SD_SD_E_sSC_jLin1ELi1ELi4ELi512ELi2EEEvNS0_6detail10TensorInfoIT0_T2_EENSG_IT1_SI_EESI_T_,"axG",@progbits,_ZN2at4cuda12_GLOBAL__N_121kernelPointwiseApply2IZNS_6native9templates4cuda28bernoulli_tensor_cuda_kernelIsfEEvRKNS_10TensorBaseES9_NS_15PhiloxCudaStateEEUliRsSB_SB_SB_RKfSD_SD_SD_E_sSC_jLin1ELi1ELi4ELi512ELi2EEEvNS0_6detail10TensorInfoIT0_T2_EENSG_IT1_SI_EESI_T_,comdat
.Lfunc_end61:
	.size	_ZN2at4cuda12_GLOBAL__N_121kernelPointwiseApply2IZNS_6native9templates4cuda28bernoulli_tensor_cuda_kernelIsfEEvRKNS_10TensorBaseES9_NS_15PhiloxCudaStateEEUliRsSB_SB_SB_RKfSD_SD_SD_E_sSC_jLin1ELi1ELi4ELi512ELi2EEEvNS0_6detail10TensorInfoIT0_T2_EENSG_IT1_SI_EESI_T_, .Lfunc_end61-_ZN2at4cuda12_GLOBAL__N_121kernelPointwiseApply2IZNS_6native9templates4cuda28bernoulli_tensor_cuda_kernelIsfEEvRKNS_10TensorBaseES9_NS_15PhiloxCudaStateEEUliRsSB_SB_SB_RKfSD_SD_SD_E_sSC_jLin1ELi1ELi4ELi512ELi2EEEvNS0_6detail10TensorInfoIT0_T2_EENSG_IT1_SI_EESI_T_
                                        ; -- End function
	.section	.AMDGPU.csdata,"",@progbits
; Kernel info:
; codeLenInByte = 4264
; NumSgprs: 42
; NumVgprs: 41
; ScratchSize: 0
; MemoryBound: 0
; FloatMode: 240
; IeeeMode: 1
; LDSByteSize: 0 bytes/workgroup (compile time only)
; SGPRBlocks: 5
; VGPRBlocks: 5
; NumSGPRsForWavesPerEU: 42
; NumVGPRsForWavesPerEU: 41
; Occupancy: 16
; WaveLimiterHint : 1
; COMPUTE_PGM_RSRC2:SCRATCH_EN: 0
; COMPUTE_PGM_RSRC2:USER_SGPR: 15
; COMPUTE_PGM_RSRC2:TRAP_HANDLER: 0
; COMPUTE_PGM_RSRC2:TGID_X_EN: 1
; COMPUTE_PGM_RSRC2:TGID_Y_EN: 0
; COMPUTE_PGM_RSRC2:TGID_Z_EN: 0
; COMPUTE_PGM_RSRC2:TIDIG_COMP_CNT: 0
	.section	.text._ZN2at4cuda12_GLOBAL__N_121kernelPointwiseApply2IZNS_6native9templates4cuda28bernoulli_tensor_cuda_kernelIsfEEvRKNS_10TensorBaseES9_NS_15PhiloxCudaStateEEUliRsSB_SB_SB_RKfSD_SD_SD_E_sSC_jLin1ELi2ELi4ELi512ELi2EEEvNS0_6detail10TensorInfoIT0_T2_EENSG_IT1_SI_EESI_T_,"axG",@progbits,_ZN2at4cuda12_GLOBAL__N_121kernelPointwiseApply2IZNS_6native9templates4cuda28bernoulli_tensor_cuda_kernelIsfEEvRKNS_10TensorBaseES9_NS_15PhiloxCudaStateEEUliRsSB_SB_SB_RKfSD_SD_SD_E_sSC_jLin1ELi2ELi4ELi512ELi2EEEvNS0_6detail10TensorInfoIT0_T2_EENSG_IT1_SI_EESI_T_,comdat
	.globl	_ZN2at4cuda12_GLOBAL__N_121kernelPointwiseApply2IZNS_6native9templates4cuda28bernoulli_tensor_cuda_kernelIsfEEvRKNS_10TensorBaseES9_NS_15PhiloxCudaStateEEUliRsSB_SB_SB_RKfSD_SD_SD_E_sSC_jLin1ELi2ELi4ELi512ELi2EEEvNS0_6detail10TensorInfoIT0_T2_EENSG_IT1_SI_EESI_T_ ; -- Begin function _ZN2at4cuda12_GLOBAL__N_121kernelPointwiseApply2IZNS_6native9templates4cuda28bernoulli_tensor_cuda_kernelIsfEEvRKNS_10TensorBaseES9_NS_15PhiloxCudaStateEEUliRsSB_SB_SB_RKfSD_SD_SD_E_sSC_jLin1ELi2ELi4ELi512ELi2EEEvNS0_6detail10TensorInfoIT0_T2_EENSG_IT1_SI_EESI_T_
	.p2align	8
	.type	_ZN2at4cuda12_GLOBAL__N_121kernelPointwiseApply2IZNS_6native9templates4cuda28bernoulli_tensor_cuda_kernelIsfEEvRKNS_10TensorBaseES9_NS_15PhiloxCudaStateEEUliRsSB_SB_SB_RKfSD_SD_SD_E_sSC_jLin1ELi2ELi4ELi512ELi2EEEvNS0_6detail10TensorInfoIT0_T2_EENSG_IT1_SI_EESI_T_,@function
_ZN2at4cuda12_GLOBAL__N_121kernelPointwiseApply2IZNS_6native9templates4cuda28bernoulli_tensor_cuda_kernelIsfEEvRKNS_10TensorBaseES9_NS_15PhiloxCudaStateEEUliRsSB_SB_SB_RKfSD_SD_SD_E_sSC_jLin1ELi2ELi4ELi512ELi2EEEvNS0_6detail10TensorInfoIT0_T2_EENSG_IT1_SI_EESI_T_: ; @_ZN2at4cuda12_GLOBAL__N_121kernelPointwiseApply2IZNS_6native9templates4cuda28bernoulli_tensor_cuda_kernelIsfEEvRKNS_10TensorBaseES9_NS_15PhiloxCudaStateEEUliRsSB_SB_SB_RKfSD_SD_SD_E_sSC_jLin1ELi2ELi4ELi512ELi2EEEvNS0_6detail10TensorInfoIT0_T2_EENSG_IT1_SI_EESI_T_
; %bb.0:
	s_clause 0x1
	s_load_b32 s2, s[0:1], 0x1e4
	s_load_b32 s20, s[0:1], 0x1b0
	s_add_u32 s4, s0, 0x1d8
	s_addc_u32 s5, s1, 0
	s_waitcnt lgkmcnt(0)
	s_and_b32 s12, s2, 0xffff
	s_mov_b32 s2, exec_lo
	v_mad_u64_u32 v[1:2], null, s15, s12, v[0:1]
	s_delay_alu instid0(VALU_DEP_1) | instskip(NEXT) | instid1(VALU_DEP_1)
	v_lshlrev_b32_e32 v28, 2, v1
	v_cmpx_gt_u32_e64 s20, v28
	s_cbranch_execz .LBB62_81
; %bb.1:
	s_clause 0x3
	s_load_b32 s21, s[0:1], 0xe4
	s_load_b32 s18, s[0:1], 0xd0
	s_load_b64 s[2:3], s[0:1], 0x144
	s_load_b32 s6, s[0:1], 0x1d0
	v_mad_u64_u32 v[2:3], null, 0xcd9e8d57, v1, 0
	s_load_b32 s16, s[4:5], 0x0
	s_clause 0x2
	s_load_b32 s22, s[0:1], 0x6c
	s_load_b64 s[8:9], s[0:1], 0xd8
	s_load_b64 s[14:15], s[0:1], 0x0
	v_mov_b32_e32 v4, 0
                                        ; implicit-def: $sgpr26
                                        ; implicit-def: $sgpr28
                                        ; implicit-def: $sgpr27
                                        ; implicit-def: $sgpr29
                                        ; implicit-def: $sgpr31
                                        ; implicit-def: $sgpr30
                                        ; implicit-def: $sgpr33
	s_delay_alu instid0(VALU_DEP_2)
	v_mov_b32_e32 v29, v3
	s_waitcnt lgkmcnt(0)
	v_cvt_f32_u32_e32 v0, s21
	s_cmp_gt_i32 s18, 1
	s_cselect_b32 s23, -1, 0
	s_bitcmp1_b32 s6, 0
	s_delay_alu instid0(VALU_DEP_1)
	v_rcp_iflag_f32_e32 v0, v0
	s_cselect_b32 s24, -1, 0
	s_sub_i32 s13, 0, s21
	s_clause 0x1
	s_load_b64 s[10:11], s[0:1], 0x1c8
	s_load_b128 s[4:7], s[0:1], 0x1b8
	s_mul_i32 s16, s16, s12
	s_add_i32 s12, s18, -1
	s_lshl_b32 s25, s16, 2
	s_waitcnt_depctr 0xfff
	v_mul_f32_e32 v0, 0x4f7ffffe, v0
	s_delay_alu instid0(VALU_DEP_1) | instskip(NEXT) | instid1(VALU_DEP_1)
	v_cvt_u32_f32_e32 v0, v0
	v_mul_lo_u32 v5, s13, v0
	s_mov_b32 s13, 0
	s_delay_alu instid0(SALU_CYCLE_1) | instskip(SKIP_4) | instid1(VALU_DEP_1)
	s_lshl_b64 s[16:17], s[12:13], 2
	s_add_i32 s12, s18, 1
	s_add_u32 s0, s16, s0
	s_addc_u32 s1, s17, s1
	s_add_u32 s16, s0, 8
	v_mul_hi_u32 v5, v0, v5
	s_addc_u32 s17, s1, 0
                                        ; implicit-def: $sgpr1
	s_delay_alu instid0(VALU_DEP_1)
	v_add_nc_u32_e32 v30, v0, v5
	s_branch .LBB62_3
.LBB62_2:                               ;   in Loop: Header=BB62_3 Depth=1
	s_or_b32 exec_lo, exec_lo, s18
	s_delay_alu instid0(SALU_CYCLE_1) | instskip(NEXT) | instid1(SALU_CYCLE_1)
	s_and_b32 s0, exec_lo, s0
	s_or_b32 s13, s0, s13
	s_and_not1_b32 s0, s1, exec_lo
	s_and_b32 s1, s33, exec_lo
	s_and_not1_b32 s18, s27, exec_lo
	s_and_b32 s19, s30, exec_lo
	s_or_b32 s1, s0, s1
	s_or_b32 s27, s18, s19
	s_and_not1_b32 s0, s28, exec_lo
	s_and_b32 s18, s31, exec_lo
	s_and_not1_b32 s19, s26, exec_lo
	s_and_b32 s26, s29, exec_lo
	s_or_b32 s28, s0, s18
	s_or_b32 s26, s19, s26
	s_and_not1_b32 exec_lo, exec_lo, s13
	s_cbranch_execz .LBB62_69
.LBB62_3:                               ; =>This Loop Header: Depth=1
                                        ;     Child Loop BB62_6 Depth 2
                                        ;     Child Loop BB62_13 Depth 2
	;; [unrolled: 1-line block ×4, first 2 shown]
	v_sub_nc_u32_e32 v31, s20, v28
	v_mov_b32_e32 v5, 0
	s_delay_alu instid0(VALU_DEP_2) | instskip(NEXT) | instid1(VALU_DEP_1)
	v_cmp_lt_i32_e64 s0, 0, v31
	s_and_saveexec_b32 s34, s0
	s_cbranch_execz .LBB62_8
; %bb.4:                                ;   in Loop: Header=BB62_3 Depth=1
	v_dual_mov_b32 v0, 0 :: v_dual_mov_b32 v3, v28
	s_and_not1_b32 vcc_lo, exec_lo, s23
	s_cbranch_vccnz .LBB62_7
; %bb.5:                                ;   in Loop: Header=BB62_3 Depth=1
	v_dual_mov_b32 v0, 0 :: v_dual_mov_b32 v3, v28
	s_mov_b64 s[18:19], s[16:17]
	s_mov_b32 s35, s12
	s_set_inst_prefetch_distance 0x1
	.p2align	6
.LBB62_6:                               ;   Parent Loop BB62_3 Depth=1
                                        ; =>  This Inner Loop Header: Depth=2
	s_clause 0x1
	s_load_b32 s36, s[18:19], 0x0
	s_load_b32 s37, s[18:19], 0x64
	v_mov_b32_e32 v7, v3
	s_add_i32 s35, s35, -1
	s_waitcnt lgkmcnt(0)
	v_cvt_f32_u32_e32 v5, s36
	s_sub_i32 s38, 0, s36
	s_add_u32 s18, s18, -4
	s_addc_u32 s19, s19, -1
	s_cmp_gt_u32 s35, 2
	v_rcp_iflag_f32_e32 v5, v5
	s_waitcnt_depctr 0xfff
	v_mul_f32_e32 v5, 0x4f7ffffe, v5
	s_delay_alu instid0(VALU_DEP_1) | instskip(NEXT) | instid1(VALU_DEP_1)
	v_cvt_u32_f32_e32 v5, v5
	v_mul_lo_u32 v6, s38, v5
	s_delay_alu instid0(VALU_DEP_1) | instskip(NEXT) | instid1(VALU_DEP_1)
	v_mul_hi_u32 v6, v5, v6
	v_add_nc_u32_e32 v3, v5, v6
	s_delay_alu instid0(VALU_DEP_1) | instskip(NEXT) | instid1(VALU_DEP_1)
	v_mul_hi_u32 v3, v7, v3
	v_add_nc_u32_e32 v6, 1, v3
	v_mul_lo_u32 v5, v3, s36
	s_delay_alu instid0(VALU_DEP_1) | instskip(NEXT) | instid1(VALU_DEP_1)
	v_sub_nc_u32_e32 v5, v7, v5
	v_subrev_nc_u32_e32 v8, s36, v5
	v_cmp_le_u32_e32 vcc_lo, s36, v5
	v_cndmask_b32_e32 v3, v3, v6, vcc_lo
	s_delay_alu instid0(VALU_DEP_1) | instskip(NEXT) | instid1(VALU_DEP_1)
	v_dual_cndmask_b32 v5, v5, v8 :: v_dual_add_nc_u32 v6, 1, v3
	v_cmp_le_u32_e32 vcc_lo, s36, v5
	s_delay_alu instid0(VALU_DEP_2) | instskip(NEXT) | instid1(VALU_DEP_1)
	v_cndmask_b32_e32 v3, v3, v6, vcc_lo
	v_mul_lo_u32 v5, v3, s36
	s_delay_alu instid0(VALU_DEP_1) | instskip(NEXT) | instid1(VALU_DEP_1)
	v_sub_nc_u32_e32 v7, v7, v5
	v_mad_u64_u32 v[5:6], null, s37, v7, v[0:1]
	s_delay_alu instid0(VALU_DEP_1)
	v_mov_b32_e32 v0, v5
	s_cbranch_scc1 .LBB62_6
.LBB62_7:                               ;   in Loop: Header=BB62_3 Depth=1
	s_set_inst_prefetch_distance 0x2
	s_delay_alu instid0(VALU_DEP_1)
	v_mad_u64_u32 v[5:6], null, s22, v3, v[0:1]
.LBB62_8:                               ;   in Loop: Header=BB62_3 Depth=1
	s_or_b32 exec_lo, exec_lo, s34
	v_dual_mov_b32 v6, 0 :: v_dual_mov_b32 v3, 0
	s_and_saveexec_b32 s18, s0
	s_cbranch_execz .LBB62_10
; %bb.9:                                ;   in Loop: Header=BB62_3 Depth=1
	v_mul_hi_u32 v0, v28, v30
	s_delay_alu instid0(VALU_DEP_1) | instskip(SKIP_1) | instid1(VALU_DEP_2)
	v_mul_lo_u32 v3, v0, s21
	v_add_nc_u32_e32 v7, 1, v0
	v_sub_nc_u32_e32 v3, v28, v3
	s_delay_alu instid0(VALU_DEP_1) | instskip(SKIP_1) | instid1(VALU_DEP_2)
	v_subrev_nc_u32_e32 v8, s21, v3
	v_cmp_le_u32_e32 vcc_lo, s21, v3
	v_dual_cndmask_b32 v0, v0, v7 :: v_dual_cndmask_b32 v3, v3, v8
	s_delay_alu instid0(VALU_DEP_1) | instskip(NEXT) | instid1(VALU_DEP_2)
	v_add_nc_u32_e32 v7, 1, v0
	v_cmp_le_u32_e32 vcc_lo, s21, v3
	s_delay_alu instid0(VALU_DEP_2) | instskip(NEXT) | instid1(VALU_DEP_1)
	v_cndmask_b32_e32 v3, v0, v7, vcc_lo
	v_mul_lo_u32 v0, v3, s21
	s_delay_alu instid0(VALU_DEP_1) | instskip(NEXT) | instid1(VALU_DEP_1)
	v_sub_nc_u32_e32 v0, v28, v0
	v_mul_lo_u32 v0, v0, s3
	s_delay_alu instid0(VALU_DEP_1) | instskip(NEXT) | instid1(VALU_DEP_1)
	v_mad_u64_u32 v[7:8], null, v3, s2, v[0:1]
	v_mov_b32_e32 v3, v7
.LBB62_10:                              ;   in Loop: Header=BB62_3 Depth=1
	s_or_b32 exec_lo, exec_lo, s18
	v_or_b32_e32 v8, 1, v28
	v_cmp_lt_i32_e64 s0, 1, v31
	s_delay_alu instid0(VALU_DEP_1)
	s_and_saveexec_b32 s34, s0
	s_cbranch_execz .LBB62_15
; %bb.11:                               ;   in Loop: Header=BB62_3 Depth=1
	s_delay_alu instid0(VALU_DEP_2)
	v_dual_mov_b32 v0, 0 :: v_dual_mov_b32 v9, v8
	s_and_not1_b32 vcc_lo, exec_lo, s23
	s_cbranch_vccnz .LBB62_14
; %bb.12:                               ;   in Loop: Header=BB62_3 Depth=1
	v_dual_mov_b32 v0, 0 :: v_dual_mov_b32 v9, v8
	s_mov_b64 s[18:19], s[16:17]
	s_mov_b32 s35, s12
	s_set_inst_prefetch_distance 0x1
	.p2align	6
.LBB62_13:                              ;   Parent Loop BB62_3 Depth=1
                                        ; =>  This Inner Loop Header: Depth=2
	s_clause 0x1
	s_load_b32 s36, s[18:19], 0x0
	s_load_b32 s37, s[18:19], 0x64
	v_mov_b32_e32 v10, v9
	s_add_i32 s35, s35, -1
	s_waitcnt lgkmcnt(0)
	v_cvt_f32_u32_e32 v6, s36
	s_sub_i32 s38, 0, s36
	s_add_u32 s18, s18, -4
	s_addc_u32 s19, s19, -1
	s_cmp_gt_u32 s35, 2
	v_rcp_iflag_f32_e32 v6, v6
	s_waitcnt_depctr 0xfff
	v_mul_f32_e32 v6, 0x4f7ffffe, v6
	s_delay_alu instid0(VALU_DEP_1) | instskip(NEXT) | instid1(VALU_DEP_1)
	v_cvt_u32_f32_e32 v6, v6
	v_mul_lo_u32 v7, s38, v6
	s_delay_alu instid0(VALU_DEP_1) | instskip(NEXT) | instid1(VALU_DEP_1)
	v_mul_hi_u32 v7, v6, v7
	v_add_nc_u32_e32 v6, v6, v7
	s_delay_alu instid0(VALU_DEP_1) | instskip(NEXT) | instid1(VALU_DEP_1)
	v_mul_hi_u32 v6, v10, v6
	v_mul_lo_u32 v7, v6, s36
	v_add_nc_u32_e32 v9, 1, v6
	s_delay_alu instid0(VALU_DEP_2) | instskip(NEXT) | instid1(VALU_DEP_1)
	v_sub_nc_u32_e32 v7, v10, v7
	v_subrev_nc_u32_e32 v11, s36, v7
	v_cmp_le_u32_e32 vcc_lo, s36, v7
	s_delay_alu instid0(VALU_DEP_2) | instskip(NEXT) | instid1(VALU_DEP_1)
	v_dual_cndmask_b32 v7, v7, v11 :: v_dual_cndmask_b32 v6, v6, v9
	v_cmp_le_u32_e32 vcc_lo, s36, v7
	s_delay_alu instid0(VALU_DEP_2) | instskip(NEXT) | instid1(VALU_DEP_1)
	v_add_nc_u32_e32 v9, 1, v6
	v_cndmask_b32_e32 v9, v6, v9, vcc_lo
	s_delay_alu instid0(VALU_DEP_1) | instskip(NEXT) | instid1(VALU_DEP_1)
	v_mul_lo_u32 v6, v9, s36
	v_sub_nc_u32_e32 v10, v10, v6
	s_delay_alu instid0(VALU_DEP_1) | instskip(NEXT) | instid1(VALU_DEP_1)
	v_mad_u64_u32 v[6:7], null, s37, v10, v[0:1]
	v_mov_b32_e32 v0, v6
	s_cbranch_scc1 .LBB62_13
.LBB62_14:                              ;   in Loop: Header=BB62_3 Depth=1
	s_set_inst_prefetch_distance 0x2
	s_delay_alu instid0(VALU_DEP_1)
	v_mad_u64_u32 v[6:7], null, s22, v9, v[0:1]
.LBB62_15:                              ;   in Loop: Header=BB62_3 Depth=1
	s_or_b32 exec_lo, exec_lo, s34
	v_mov_b32_e32 v11, 0
	s_and_saveexec_b32 s18, s0
	s_cbranch_execz .LBB62_17
; %bb.16:                               ;   in Loop: Header=BB62_3 Depth=1
	v_mul_hi_u32 v0, v8, v30
	s_delay_alu instid0(VALU_DEP_1) | instskip(SKIP_1) | instid1(VALU_DEP_2)
	v_mul_lo_u32 v7, v0, s21
	v_add_nc_u32_e32 v9, 1, v0
	v_sub_nc_u32_e32 v7, v8, v7
	s_delay_alu instid0(VALU_DEP_1) | instskip(SKIP_1) | instid1(VALU_DEP_2)
	v_subrev_nc_u32_e32 v10, s21, v7
	v_cmp_le_u32_e32 vcc_lo, s21, v7
	v_dual_cndmask_b32 v0, v0, v9 :: v_dual_cndmask_b32 v7, v7, v10
	s_delay_alu instid0(VALU_DEP_1) | instskip(NEXT) | instid1(VALU_DEP_2)
	v_add_nc_u32_e32 v9, 1, v0
	v_cmp_le_u32_e32 vcc_lo, s21, v7
	s_delay_alu instid0(VALU_DEP_2) | instskip(NEXT) | instid1(VALU_DEP_1)
	v_cndmask_b32_e32 v7, v0, v9, vcc_lo
	v_mul_lo_u32 v0, v7, s21
	s_delay_alu instid0(VALU_DEP_1) | instskip(NEXT) | instid1(VALU_DEP_1)
	v_sub_nc_u32_e32 v0, v8, v0
	v_mul_lo_u32 v0, v0, s3
	s_delay_alu instid0(VALU_DEP_1)
	v_mad_u64_u32 v[11:12], null, v7, s2, v[0:1]
.LBB62_17:                              ;   in Loop: Header=BB62_3 Depth=1
	s_or_b32 exec_lo, exec_lo, s18
	v_mov_b32_e32 v7, 0
	v_or_b32_e32 v12, 2, v28
	v_mov_b32_e32 v8, 0
	v_cmp_lt_i32_e64 s0, 2, v31
	s_delay_alu instid0(VALU_DEP_1)
	s_and_saveexec_b32 s34, s0
	s_cbranch_execz .LBB62_22
; %bb.18:                               ;   in Loop: Header=BB62_3 Depth=1
	v_dual_mov_b32 v0, 0 :: v_dual_mov_b32 v9, v12
	s_and_not1_b32 vcc_lo, exec_lo, s23
	s_cbranch_vccnz .LBB62_21
; %bb.19:                               ;   in Loop: Header=BB62_3 Depth=1
	v_dual_mov_b32 v0, 0 :: v_dual_mov_b32 v9, v12
	s_mov_b64 s[18:19], s[16:17]
	s_mov_b32 s35, s12
	s_set_inst_prefetch_distance 0x1
	.p2align	6
.LBB62_20:                              ;   Parent Loop BB62_3 Depth=1
                                        ; =>  This Inner Loop Header: Depth=2
	s_clause 0x1
	s_load_b32 s36, s[18:19], 0x0
	s_load_b32 s37, s[18:19], 0x64
	s_add_i32 s35, s35, -1
	v_mov_b32_e32 v10, v9
	s_waitcnt lgkmcnt(0)
	v_cvt_f32_u32_e32 v7, s36
	s_sub_i32 s38, 0, s36
	s_add_u32 s18, s18, -4
	s_addc_u32 s19, s19, -1
	s_cmp_gt_u32 s35, 2
	v_rcp_iflag_f32_e32 v7, v7
	s_waitcnt_depctr 0xfff
	v_mul_f32_e32 v7, 0x4f7ffffe, v7
	s_delay_alu instid0(VALU_DEP_1) | instskip(NEXT) | instid1(VALU_DEP_1)
	v_cvt_u32_f32_e32 v7, v7
	v_mul_lo_u32 v8, s38, v7
	s_delay_alu instid0(VALU_DEP_1) | instskip(NEXT) | instid1(VALU_DEP_1)
	v_mul_hi_u32 v8, v7, v8
	v_add_nc_u32_e32 v7, v7, v8
	s_delay_alu instid0(VALU_DEP_1) | instskip(NEXT) | instid1(VALU_DEP_1)
	v_mul_hi_u32 v7, v10, v7
	v_mul_lo_u32 v8, v7, s36
	v_add_nc_u32_e32 v9, 1, v7
	s_delay_alu instid0(VALU_DEP_2) | instskip(NEXT) | instid1(VALU_DEP_1)
	v_sub_nc_u32_e32 v8, v10, v8
	v_subrev_nc_u32_e32 v13, s36, v8
	v_cmp_le_u32_e32 vcc_lo, s36, v8
	s_delay_alu instid0(VALU_DEP_4) | instskip(NEXT) | instid1(VALU_DEP_1)
	v_cndmask_b32_e32 v7, v7, v9, vcc_lo
	v_dual_cndmask_b32 v8, v8, v13 :: v_dual_add_nc_u32 v9, 1, v7
	s_delay_alu instid0(VALU_DEP_1) | instskip(NEXT) | instid1(VALU_DEP_2)
	v_cmp_le_u32_e32 vcc_lo, s36, v8
	v_cndmask_b32_e32 v9, v7, v9, vcc_lo
	s_delay_alu instid0(VALU_DEP_1) | instskip(NEXT) | instid1(VALU_DEP_1)
	v_mul_lo_u32 v7, v9, s36
	v_sub_nc_u32_e32 v10, v10, v7
	s_delay_alu instid0(VALU_DEP_1) | instskip(NEXT) | instid1(VALU_DEP_1)
	v_mad_u64_u32 v[7:8], null, s37, v10, v[0:1]
	v_mov_b32_e32 v0, v7
	s_cbranch_scc1 .LBB62_20
.LBB62_21:                              ;   in Loop: Header=BB62_3 Depth=1
	s_set_inst_prefetch_distance 0x2
	s_delay_alu instid0(VALU_DEP_1)
	v_mad_u64_u32 v[7:8], null, s22, v9, v[0:1]
	v_mov_b32_e32 v8, v4
.LBB62_22:                              ;   in Loop: Header=BB62_3 Depth=1
	s_or_b32 exec_lo, exec_lo, s34
	v_mov_b32_e32 v9, 0
	v_mov_b32_e32 v10, 0
	s_delay_alu instid0(VALU_DEP_1)
	v_dual_mov_b32 v14, v10 :: v_dual_mov_b32 v13, v9
	s_and_saveexec_b32 s18, s0
	s_cbranch_execz .LBB62_24
; %bb.23:                               ;   in Loop: Header=BB62_3 Depth=1
	v_mul_hi_u32 v0, v12, v30
	s_delay_alu instid0(VALU_DEP_1) | instskip(NEXT) | instid1(VALU_DEP_1)
	v_mul_lo_u32 v13, v0, s21
	v_sub_nc_u32_e32 v13, v12, v13
	s_delay_alu instid0(VALU_DEP_1) | instskip(SKIP_1) | instid1(VALU_DEP_2)
	v_subrev_nc_u32_e32 v15, s21, v13
	v_cmp_le_u32_e32 vcc_lo, s21, v13
	v_dual_cndmask_b32 v13, v13, v15 :: v_dual_add_nc_u32 v14, 1, v0
	s_delay_alu instid0(VALU_DEP_1) | instskip(NEXT) | instid1(VALU_DEP_2)
	v_cndmask_b32_e32 v0, v0, v14, vcc_lo
	v_cmp_le_u32_e32 vcc_lo, s21, v13
	s_delay_alu instid0(VALU_DEP_2) | instskip(NEXT) | instid1(VALU_DEP_1)
	v_add_nc_u32_e32 v14, 1, v0
	v_cndmask_b32_e32 v15, v0, v14, vcc_lo
	s_delay_alu instid0(VALU_DEP_1) | instskip(NEXT) | instid1(VALU_DEP_1)
	v_mul_lo_u32 v0, v15, s21
	v_sub_nc_u32_e32 v0, v12, v0
	s_delay_alu instid0(VALU_DEP_1) | instskip(NEXT) | instid1(VALU_DEP_1)
	v_mul_lo_u32 v0, v0, s3
	v_mad_u64_u32 v[13:14], null, v15, s2, v[0:1]
	v_mov_b32_e32 v14, v4
.LBB62_24:                              ;   in Loop: Header=BB62_3 Depth=1
	s_or_b32 exec_lo, exec_lo, s18
	v_or_b32_e32 v12, 3, v28
	v_cmp_lt_i32_e64 s0, 3, v31
	s_delay_alu instid0(VALU_DEP_1)
	s_and_saveexec_b32 s34, s0
	s_cbranch_execz .LBB62_29
; %bb.25:                               ;   in Loop: Header=BB62_3 Depth=1
	s_delay_alu instid0(VALU_DEP_2)
	v_dual_mov_b32 v0, 0 :: v_dual_mov_b32 v15, v12
	s_and_not1_b32 vcc_lo, exec_lo, s23
	s_cbranch_vccnz .LBB62_28
; %bb.26:                               ;   in Loop: Header=BB62_3 Depth=1
	v_dual_mov_b32 v0, 0 :: v_dual_mov_b32 v15, v12
	s_mov_b64 s[18:19], s[16:17]
	s_mov_b32 s35, s12
	s_set_inst_prefetch_distance 0x1
	.p2align	6
.LBB62_27:                              ;   Parent Loop BB62_3 Depth=1
                                        ; =>  This Inner Loop Header: Depth=2
	s_clause 0x1
	s_load_b32 s36, s[18:19], 0x0
	s_load_b32 s37, s[18:19], 0x64
	s_add_i32 s35, s35, -1
	v_mov_b32_e32 v16, v15
	s_waitcnt lgkmcnt(0)
	v_cvt_f32_u32_e32 v9, s36
	s_sub_i32 s38, 0, s36
	s_add_u32 s18, s18, -4
	s_addc_u32 s19, s19, -1
	s_cmp_gt_u32 s35, 2
	v_rcp_iflag_f32_e32 v9, v9
	s_waitcnt_depctr 0xfff
	v_mul_f32_e32 v9, 0x4f7ffffe, v9
	s_delay_alu instid0(VALU_DEP_1) | instskip(NEXT) | instid1(VALU_DEP_1)
	v_cvt_u32_f32_e32 v9, v9
	v_mul_lo_u32 v10, s38, v9
	s_delay_alu instid0(VALU_DEP_1) | instskip(NEXT) | instid1(VALU_DEP_1)
	v_mul_hi_u32 v10, v9, v10
	v_add_nc_u32_e32 v9, v9, v10
	s_delay_alu instid0(VALU_DEP_1) | instskip(NEXT) | instid1(VALU_DEP_1)
	v_mul_hi_u32 v9, v16, v9
	v_mul_lo_u32 v10, v9, s36
	v_add_nc_u32_e32 v15, 1, v9
	s_delay_alu instid0(VALU_DEP_2) | instskip(NEXT) | instid1(VALU_DEP_1)
	v_sub_nc_u32_e32 v10, v16, v10
	v_subrev_nc_u32_e32 v17, s36, v10
	v_cmp_le_u32_e32 vcc_lo, s36, v10
	s_delay_alu instid0(VALU_DEP_2) | instskip(NEXT) | instid1(VALU_DEP_1)
	v_dual_cndmask_b32 v9, v9, v15 :: v_dual_cndmask_b32 v10, v10, v17
	v_add_nc_u32_e32 v15, 1, v9
	s_delay_alu instid0(VALU_DEP_2) | instskip(NEXT) | instid1(VALU_DEP_2)
	v_cmp_le_u32_e32 vcc_lo, s36, v10
	v_cndmask_b32_e32 v15, v9, v15, vcc_lo
	s_delay_alu instid0(VALU_DEP_1) | instskip(NEXT) | instid1(VALU_DEP_1)
	v_mul_lo_u32 v9, v15, s36
	v_sub_nc_u32_e32 v16, v16, v9
	s_delay_alu instid0(VALU_DEP_1) | instskip(NEXT) | instid1(VALU_DEP_1)
	v_mad_u64_u32 v[9:10], null, s37, v16, v[0:1]
	v_mov_b32_e32 v0, v9
	s_cbranch_scc1 .LBB62_27
.LBB62_28:                              ;   in Loop: Header=BB62_3 Depth=1
	s_set_inst_prefetch_distance 0x2
	s_delay_alu instid0(VALU_DEP_1)
	v_mad_u64_u32 v[9:10], null, s22, v15, v[0:1]
	v_mov_b32_e32 v10, v4
.LBB62_29:                              ;   in Loop: Header=BB62_3 Depth=1
	s_or_b32 exec_lo, exec_lo, s34
	v_mov_b32_e32 v15, 0
	v_mov_b32_e32 v16, 0
	s_and_saveexec_b32 s18, s0
	s_cbranch_execz .LBB62_31
; %bb.30:                               ;   in Loop: Header=BB62_3 Depth=1
	v_mul_hi_u32 v0, v12, v30
	s_delay_alu instid0(VALU_DEP_1) | instskip(NEXT) | instid1(VALU_DEP_1)
	v_mul_lo_u32 v15, v0, s21
	v_sub_nc_u32_e32 v15, v12, v15
	s_delay_alu instid0(VALU_DEP_1) | instskip(SKIP_1) | instid1(VALU_DEP_2)
	v_subrev_nc_u32_e32 v17, s21, v15
	v_cmp_le_u32_e32 vcc_lo, s21, v15
	v_dual_cndmask_b32 v15, v15, v17 :: v_dual_add_nc_u32 v16, 1, v0
	s_delay_alu instid0(VALU_DEP_1) | instskip(NEXT) | instid1(VALU_DEP_2)
	v_cndmask_b32_e32 v0, v0, v16, vcc_lo
	v_cmp_le_u32_e32 vcc_lo, s21, v15
	s_delay_alu instid0(VALU_DEP_2) | instskip(NEXT) | instid1(VALU_DEP_1)
	v_add_nc_u32_e32 v16, 1, v0
	v_cndmask_b32_e32 v17, v0, v16, vcc_lo
	s_delay_alu instid0(VALU_DEP_1) | instskip(NEXT) | instid1(VALU_DEP_1)
	v_mul_lo_u32 v0, v17, s21
	v_sub_nc_u32_e32 v0, v12, v0
	s_delay_alu instid0(VALU_DEP_1) | instskip(NEXT) | instid1(VALU_DEP_1)
	v_mul_lo_u32 v0, v0, s3
	v_mad_u64_u32 v[15:16], null, v17, s2, v[0:1]
	v_mov_b32_e32 v16, v4
.LBB62_31:                              ;   in Loop: Header=BB62_3 Depth=1
	s_or_b32 exec_lo, exec_lo, s18
	v_mov_b32_e32 v12, v4
	v_lshlrev_b64 v[17:18], 2, v[3:4]
	v_lshlrev_b64 v[13:14], 2, v[13:14]
	;; [unrolled: 1-line block ×3, first 2 shown]
	s_delay_alu instid0(VALU_DEP_4) | instskip(NEXT) | instid1(VALU_DEP_4)
	v_lshlrev_b64 v[11:12], 2, v[11:12]
	v_add_co_u32 v17, vcc_lo, s8, v17
	v_add_co_ci_u32_e32 v18, vcc_lo, s9, v18, vcc_lo
	s_delay_alu instid0(VALU_DEP_3) | instskip(NEXT) | instid1(VALU_DEP_4)
	v_add_co_u32 v11, vcc_lo, s8, v11
	v_add_co_ci_u32_e32 v12, vcc_lo, s9, v12, vcc_lo
	v_add_co_u32 v13, vcc_lo, s8, v13
	v_add_co_ci_u32_e32 v14, vcc_lo, s9, v14, vcc_lo
	;; [unrolled: 2-line block ×3, first 2 shown]
	s_clause 0x3
	global_load_b32 v0, v[17:18], off
	global_load_b32 v3, v[11:12], off
	;; [unrolled: 1-line block ×4, first 2 shown]
	s_waitcnt lgkmcnt(0)
	v_mov_b32_e32 v16, s7
	v_dual_mov_b32 v18, s5 :: v_dual_mov_b32 v17, s4
	v_mov_b32_e32 v15, s6
	s_and_not1_b32 vcc_lo, exec_lo, s24
	s_cbranch_vccnz .LBB62_33
; %bb.32:                               ;   in Loop: Header=BB62_3 Depth=1
	v_dual_mov_b32 v12, s7 :: v_dual_mov_b32 v11, s6
	v_dual_mov_b32 v14, s5 :: v_dual_mov_b32 v13, s4
	flat_load_b64 v[11:12], v[11:12]
	flat_load_b64 v[17:18], v[13:14]
	s_waitcnt vmcnt(1) lgkmcnt(1)
	v_add_co_u32 v15, vcc_lo, v11, s10
	v_add_co_ci_u32_e32 v16, vcc_lo, s11, v12, vcc_lo
.LBB62_33:                              ;   in Loop: Header=BB62_3 Depth=1
	s_delay_alu instid0(VALU_DEP_1)
	v_alignbit_b32 v14, v16, v15, 2
	v_lshrrev_b32_e32 v13, 2, v16
	s_waitcnt vmcnt(0) lgkmcnt(0)
	v_add_nc_u32_e32 v35, 0xbb67ae85, v18
	v_add_nc_u32_e32 v36, 0x76cf5d0a, v18
	;; [unrolled: 1-line block ×3, first 2 shown]
	v_add_co_u32 v16, vcc_lo, v14, 1
	s_delay_alu instid0(VALU_DEP_1) | instskip(SKIP_4) | instid1(VALU_DEP_4)
	v_cndmask_b32_e64 v11, 0, 1, vcc_lo
	v_add_co_ci_u32_e32 v25, vcc_lo, 0, v13, vcc_lo
	v_xor3_b32 v21, v29, v17, v13
	v_add_nc_u32_e32 v38, 0x32370b8f, v18
	v_add_nc_u32_e32 v39, 0xed9eba14, v18
	v_cmp_eq_u32_e32 vcc_lo, 0, v25
	v_add_nc_u32_e32 v40, 0x1715609d, v17
	v_add_nc_u32_e32 v41, 0xa9066899, v18
	s_mov_b32 s0, exec_lo
	v_dual_cndmask_b32 v19, 0, v11 :: v_dual_add_nc_u32 v34, 0x9e3779b9, v17
	v_mad_u64_u32 v[11:12], null, 0xd2511f53, v16, 0
	s_delay_alu instid0(VALU_DEP_2) | instskip(NEXT) | instid1(VALU_DEP_2)
	v_add_nc_u32_e32 v16, v19, v1
	v_xor_b32_e32 v20, v12, v18
	s_delay_alu instid0(VALU_DEP_2) | instskip(SKIP_2) | instid1(VALU_DEP_1)
	v_cmp_eq_u32_e32 vcc_lo, 0, v16
	v_mad_u64_u32 v[12:13], null, 0xd2511f53, v14, 0
	v_cndmask_b32_e32 v19, 0, v19, vcc_lo
	v_xor_b32_e32 v14, v19, v20
	v_mad_u64_u32 v[19:20], null, 0xd2511f53, v21, 0
	v_mad_u64_u32 v[21:22], null, 0xcd9e8d57, v16, 0
	s_delay_alu instid0(VALU_DEP_3) | instskip(SKIP_3) | instid1(VALU_DEP_3)
	v_mad_u64_u32 v[23:24], null, 0xcd9e8d57, v14, 0
	v_xor_b32_e32 v14, v13, v18
	v_add_nc_u32_e32 v16, 0x3c6ef372, v17
	v_xor3_b32 v26, v35, v20, v12
	v_mad_u64_u32 v[12:13], null, 0xcd9e8d57, v14, 0
	v_xor3_b32 v14, v22, v17, v25
	v_xor3_b32 v22, v34, v24, v21
	s_delay_alu instid0(VALU_DEP_4) | instskip(NEXT) | instid1(VALU_DEP_3)
	v_mad_u64_u32 v[20:21], null, 0xcd9e8d57, v26, 0
	v_mad_u64_u32 v[24:25], null, 0xd2511f53, v14, 0
	s_delay_alu instid0(VALU_DEP_3) | instskip(SKIP_1) | instid1(VALU_DEP_4)
	v_mad_u64_u32 v[26:27], null, 0xd2511f53, v22, 0
	v_xor3_b32 v14, v2, v13, v34
	v_xor3_b32 v34, v16, v21, v12
	s_delay_alu instid0(VALU_DEP_4) | instskip(NEXT) | instid1(VALU_DEP_3)
	v_xor3_b32 v11, v35, v25, v11
	v_mad_u64_u32 v[12:13], null, 0xd2511f53, v14, 0
	v_xor3_b32 v14, v36, v27, v24
	s_delay_alu instid0(VALU_DEP_4) | instskip(NEXT) | instid1(VALU_DEP_4)
	v_mad_u64_u32 v[21:22], null, 0xd2511f53, v34, 0
	v_mad_u64_u32 v[24:25], null, 0xcd9e8d57, v11, 0
	s_delay_alu instid0(VALU_DEP_3) | instskip(SKIP_4) | instid1(VALU_DEP_4)
	v_mad_u64_u32 v[34:35], null, 0xcd9e8d57, v14, 0
	v_xor3_b32 v13, v36, v13, v19
	v_add_nc_u32_e32 v27, 0x78dde6e4, v17
	v_xor3_b32 v19, v38, v22, v12
	v_xor3_b32 v16, v16, v25, v23
	v_mad_u64_u32 v[11:12], null, 0xcd9e8d57, v13, 0
	v_xor3_b32 v35, v37, v35, v24
	s_delay_alu instid0(VALU_DEP_4) | instskip(NEXT) | instid1(VALU_DEP_4)
	v_mad_u64_u32 v[13:14], null, 0xcd9e8d57, v19, 0
	v_mad_u64_u32 v[22:23], null, 0xd2511f53, v16, 0
	s_delay_alu instid0(VALU_DEP_3) | instskip(SKIP_1) | instid1(VALU_DEP_4)
	v_mad_u64_u32 v[24:25], null, 0xd2511f53, v35, 0
	v_xor3_b32 v16, v37, v12, v20
	v_xor3_b32 v14, v27, v14, v11
	s_delay_alu instid0(VALU_DEP_2) | instskip(SKIP_2) | instid1(VALU_DEP_4)
	v_mad_u64_u32 v[11:12], null, 0xd2511f53, v16, 0
	v_xor3_b32 v16, v38, v23, v26
	v_xor3_b32 v22, v39, v25, v22
	v_mad_u64_u32 v[25:26], null, 0xd2511f53, v14, 0
	s_delay_alu instid0(VALU_DEP_3) | instskip(NEXT) | instid1(VALU_DEP_3)
	v_mad_u64_u32 v[19:20], null, 0xcd9e8d57, v16, 0
	v_mad_u64_u32 v[35:36], null, 0xcd9e8d57, v22, 0
	v_xor3_b32 v14, v39, v12, v21
	s_delay_alu instid0(VALU_DEP_4) | instskip(SKIP_2) | instid1(VALU_DEP_4)
	v_xor3_b32 v22, v41, v26, v11
	v_add_nc_u32_e32 v16, 0xb54cda56, v17
	v_add_nc_u32_e32 v21, 0x646e171e, v18
	v_mad_u64_u32 v[11:12], null, 0xcd9e8d57, v14, 0
	v_xor3_b32 v14, v27, v20, v34
	v_xor3_b32 v23, v40, v36, v19
	v_mad_u64_u32 v[36:37], null, 0xcd9e8d57, v22, 0
	v_add_nc_u32_e32 v27, 0x5384540f, v17
	s_delay_alu instid0(VALU_DEP_4) | instskip(NEXT) | instid1(VALU_DEP_4)
	v_mad_u64_u32 v[19:20], null, 0xd2511f53, v14, 0
	v_mad_u64_u32 v[38:39], null, 0xd2511f53, v23, 0
	v_xor3_b32 v13, v40, v12, v13
	v_xor3_b32 v14, v16, v37, v11
	v_add_nc_u32_e32 v40, 0x1fd5c5a3, v18
	v_add_co_u32 v34, null, 0xf1bbcdc8, v17
	v_xor3_b32 v22, v41, v20, v24
	v_xor3_b32 v24, v21, v39, v19
	v_mad_u64_u32 v[11:12], null, 0xd2511f53, v13, 0
	v_mad_u64_u32 v[19:20], null, 0xd2511f53, v14, 0
	s_delay_alu instid0(VALU_DEP_4) | instskip(NEXT) | instid1(VALU_DEP_4)
	v_mad_u64_u32 v[13:14], null, 0xcd9e8d57, v22, 0
	v_mad_u64_u32 v[22:23], null, 0xcd9e8d57, v24, 0
	s_delay_alu instid0(VALU_DEP_4) | instskip(NEXT) | instid1(VALU_DEP_4)
	v_xor3_b32 v21, v21, v12, v25
	v_xor3_b32 v24, v40, v20, v11
	s_delay_alu instid0(VALU_DEP_4) | instskip(NEXT) | instid1(VALU_DEP_3)
	v_xor3_b32 v16, v16, v14, v35
	v_mad_u64_u32 v[11:12], null, 0xcd9e8d57, v21, 0
	v_xor3_b32 v23, v27, v23, v13
	s_delay_alu instid0(VALU_DEP_4) | instskip(NEXT) | instid1(VALU_DEP_4)
	v_mad_u64_u32 v[20:21], null, 0xcd9e8d57, v24, 0
	v_mad_u64_u32 v[13:14], null, 0xd2511f53, v16, 0
	s_delay_alu instid0(VALU_DEP_3)
	v_mad_u64_u32 v[25:26], null, 0xd2511f53, v23, 0
	v_add_nc_u32_e32 v35, 0xdb3d7428, v18
	v_xor3_b32 v12, v27, v12, v36
	v_xor3_b32 v16, v34, v21, v11
	v_add_nc_u32_e32 v36, 0x96a522ad, v18
	v_xor3_b32 v14, v40, v14, v38
	v_and_b32_e32 v18, 3, v15
	v_xor3_b32 v21, v35, v26, v13
	v_mad_u64_u32 v[23:24], null, 0xd2511f53, v12, 0
	v_mad_u64_u32 v[11:12], null, 0xd2511f53, v16, 0
	;; [unrolled: 1-line block ×3, first 2 shown]
	s_delay_alu instid0(VALU_DEP_4) | instskip(SKIP_1) | instid1(VALU_DEP_4)
	v_mad_u64_u32 v[13:14], null, 0xcd9e8d57, v21, 0
	v_add_nc_u32_e32 v21, 0x8ff34781, v17
                                        ; implicit-def: $vgpr16
	v_xor3_b32 v17, v12, v23, v36
	s_delay_alu instid0(VALU_DEP_2)
	v_xor3_b32 v12, v14, v26, v21
	v_cmpx_lt_i32_e32 1, v18
	s_xor_b32 s0, exec_lo, s0
	s_cbranch_execz .LBB62_39
; %bb.34:                               ;   in Loop: Header=BB62_3 Depth=1
	s_mov_b32 s18, exec_lo
                                        ; implicit-def: $vgpr16
	v_cmpx_lt_i32_e32 2, v18
	s_xor_b32 s18, exec_lo, s18
; %bb.35:                               ;   in Loop: Header=BB62_3 Depth=1
	v_xor3_b32 v14, v34, v27, v22
                                        ; implicit-def: $vgpr17
	s_delay_alu instid0(VALU_DEP_1) | instskip(NEXT) | instid1(VALU_DEP_1)
	v_mul_hi_u32 v14, 0xd2511f53, v14
	v_xor3_b32 v16, v14, v25, v36
; %bb.36:                               ;   in Loop: Header=BB62_3 Depth=1
	s_and_not1_saveexec_b32 s18, s18
; %bb.37:                               ;   in Loop: Header=BB62_3 Depth=1
	v_dual_mov_b32 v16, v13 :: v_dual_mov_b32 v13, v12
	v_dual_mov_b32 v12, v11 :: v_dual_mov_b32 v11, v17
; %bb.38:                               ;   in Loop: Header=BB62_3 Depth=1
	s_or_b32 exec_lo, exec_lo, s18
                                        ; implicit-def: $vgpr19_vgpr20
                                        ; implicit-def: $vgpr18
                                        ; implicit-def: $vgpr17
                                        ; implicit-def: $vgpr35
                                        ; implicit-def: $vgpr23_vgpr24
                                        ; implicit-def: $vgpr20_vgpr21
                                        ; implicit-def: $vgpr21
.LBB62_39:                              ;   in Loop: Header=BB62_3 Depth=1
	s_and_not1_saveexec_b32 s0, s0
	s_cbranch_execz .LBB62_43
; %bb.40:                               ;   in Loop: Header=BB62_3 Depth=1
	v_xor3_b32 v13, v35, v24, v19
	v_cmp_eq_u32_e32 vcc_lo, 1, v18
	v_mov_b32_e32 v16, v11
	s_delay_alu instid0(VALU_DEP_3) | instskip(SKIP_1) | instid1(VALU_DEP_2)
	v_mad_u64_u32 v[14:15], null, 0xcd9e8d57, v13, 0
	v_mov_b32_e32 v13, v17
	v_xor3_b32 v18, v15, v20, v21
	s_delay_alu instid0(VALU_DEP_3)
	v_mov_b32_e32 v15, v14
	s_and_saveexec_b32 s18, vcc_lo
; %bb.41:                               ;   in Loop: Header=BB62_3 Depth=1
	v_dual_mov_b32 v16, v12 :: v_dual_mov_b32 v13, v11
	v_dual_mov_b32 v15, v17 :: v_dual_mov_b32 v18, v14
; %bb.42:                               ;   in Loop: Header=BB62_3 Depth=1
	s_or_b32 exec_lo, exec_lo, s18
	s_delay_alu instid0(VALU_DEP_1)
	v_dual_mov_b32 v11, v18 :: v_dual_mov_b32 v12, v15
.LBB62_43:                              ;   in Loop: Header=BB62_3 Depth=1
	s_or_b32 exec_lo, exec_lo, s0
	v_min_i32_e32 v14, 4, v31
	s_mov_b32 s18, 0
	s_mov_b32 s38, 0
	;; [unrolled: 1-line block ×3, first 2 shown]
                                        ; implicit-def: $sgpr34
                                        ; implicit-def: $sgpr35
                                        ; implicit-def: $sgpr36
	s_mov_b32 s0, exec_lo
	v_cmpx_lt_i32_e32 2, v14
	s_xor_b32 s37, exec_lo, s0
	s_cbranch_execz .LBB62_55
; %bb.44:                               ;   in Loop: Header=BB62_3 Depth=1
	s_mov_b32 s0, -1
	s_mov_b32 s39, 0
	s_mov_b32 s35, exec_lo
                                        ; implicit-def: $sgpr19
                                        ; implicit-def: $sgpr34
	v_cmpx_lt_i32_e32 3, v14
	s_cbranch_execz .LBB62_50
; %bb.45:                               ;   in Loop: Header=BB62_3 Depth=1
	s_mov_b32 s0, 0
	s_mov_b32 s39, -1
	s_mov_b32 s36, exec_lo
                                        ; implicit-def: $sgpr19
                                        ; implicit-def: $sgpr34
	v_cmpx_eq_u32_e32 4, v14
	s_cbranch_execz .LBB62_49
; %bb.46:                               ;   in Loop: Header=BB62_3 Depth=1
	v_cmp_le_f32_e32 vcc_lo, 0, v33
	v_cmp_ge_f32_e64 s0, 1.0, v33
	s_mov_b32 s19, 0
	s_delay_alu instid0(VALU_DEP_1)
	s_and_b32 s39, vcc_lo, s0
	s_mov_b32 s0, 0
	s_and_saveexec_b32 s34, s39
	s_cbranch_execz .LBB62_48
; %bb.47:                               ;   in Loop: Header=BB62_3 Depth=1
	v_cvt_f32_u32_e32 v15, v16
	v_lshlrev_b64 v[9:10], 1, v[9:10]
	s_mov_b32 s0, exec_lo
	s_delay_alu instid0(VALU_DEP_2) | instskip(NEXT) | instid1(VALU_DEP_2)
	v_fmaak_f32 v15, 0x2f800000, v15, 0x2f800000
	v_add_co_u32 v9, vcc_lo, s14, v9
	s_delay_alu instid0(VALU_DEP_3) | instskip(NEXT) | instid1(VALU_DEP_3)
	v_add_co_ci_u32_e32 v10, vcc_lo, s15, v10, vcc_lo
	v_cmp_le_f32_e32 vcc_lo, v15, v33
	v_cndmask_b32_e64 v15, 0, 1, vcc_lo
	global_store_b16 v[9:10], v15, off
.LBB62_48:                              ;   in Loop: Header=BB62_3 Depth=1
	s_or_b32 exec_lo, exec_lo, s34
	s_mov_b32 s34, -1
	s_xor_b32 s39, exec_lo, -1
	s_and_b32 s0, s0, exec_lo
.LBB62_49:                              ;   in Loop: Header=BB62_3 Depth=1
	s_or_b32 exec_lo, exec_lo, s36
	s_delay_alu instid0(SALU_CYCLE_1)
	s_and_b32 s39, s39, exec_lo
	s_or_not1_b32 s0, s0, exec_lo
.LBB62_50:                              ;   in Loop: Header=BB62_3 Depth=1
	s_or_b32 exec_lo, exec_lo, s35
	s_mov_b32 s36, s19
	s_and_saveexec_b32 s35, s0
	s_cbranch_execz .LBB62_54
; %bb.51:                               ;   in Loop: Header=BB62_3 Depth=1
	v_cmp_le_f32_e32 vcc_lo, 0, v32
	v_cmp_ge_f32_e64 s0, 1.0, v32
	s_delay_alu instid0(VALU_DEP_1) | instskip(SKIP_2) | instid1(SALU_CYCLE_1)
	s_and_b32 s36, vcc_lo, s0
	s_mov_b32 s0, 0
	s_and_saveexec_b32 s38, s36
	s_xor_b32 s36, exec_lo, s38
	s_cbranch_execz .LBB62_53
; %bb.52:                               ;   in Loop: Header=BB62_3 Depth=1
	v_cvt_f32_u32_e32 v9, v13
	v_lshlrev_b64 v[7:8], 1, v[7:8]
	s_mov_b32 s0, exec_lo
	s_delay_alu instid0(VALU_DEP_2) | instskip(NEXT) | instid1(VALU_DEP_2)
	v_fmaak_f32 v9, 0x2f800000, v9, 0x2f800000
	v_add_co_u32 v7, vcc_lo, s14, v7
	s_delay_alu instid0(VALU_DEP_3) | instskip(NEXT) | instid1(VALU_DEP_3)
	v_add_co_ci_u32_e32 v8, vcc_lo, s15, v8, vcc_lo
	v_cmp_le_f32_e32 vcc_lo, v9, v32
	v_cndmask_b32_e64 v9, 0, 1, vcc_lo
	global_store_b16 v[7:8], v9, off
.LBB62_53:                              ;   in Loop: Header=BB62_3 Depth=1
	s_or_b32 exec_lo, exec_lo, s36
	s_delay_alu instid0(SALU_CYCLE_1)
	s_and_not1_b32 s36, s19, exec_lo
	s_or_b32 s19, s19, exec_lo
	s_and_not1_b32 s34, s34, exec_lo
	s_and_b32 s38, s0, exec_lo
.LBB62_54:                              ;   in Loop: Header=BB62_3 Depth=1
	s_or_b32 exec_lo, exec_lo, s35
	s_delay_alu instid0(SALU_CYCLE_1)
	s_and_b32 s36, s36, exec_lo
	s_and_b32 s35, s19, exec_lo
	;; [unrolled: 1-line block ×5, first 2 shown]
.LBB62_55:                              ;   in Loop: Header=BB62_3 Depth=1
	s_and_not1_saveexec_b32 s0, s37
; %bb.56:                               ;   in Loop: Header=BB62_3 Depth=1
	v_cmp_lt_i32_e32 vcc_lo, 1, v14
	s_and_not1_b32 s37, s38, exec_lo
	s_mov_b32 s18, exec_lo
	s_and_not1_b32 s36, s36, exec_lo
	s_and_not1_b32 s35, s35, exec_lo
	s_and_b32 s38, vcc_lo, exec_lo
	s_and_not1_b32 s34, s34, exec_lo
	s_or_b32 s38, s37, s38
; %bb.57:                               ;   in Loop: Header=BB62_3 Depth=1
	s_or_b32 exec_lo, exec_lo, s0
	s_mov_b32 s0, 0
	s_mov_b32 s37, s36
	s_and_saveexec_b32 s39, s38
	s_cbranch_execnz .LBB62_60
; %bb.58:                               ;   in Loop: Header=BB62_3 Depth=1
	s_or_b32 exec_lo, exec_lo, s39
	s_and_saveexec_b32 s38, s18
	s_cbranch_execnz .LBB62_63
.LBB62_59:                              ;   in Loop: Header=BB62_3 Depth=1
	s_or_b32 exec_lo, exec_lo, s38
	s_and_saveexec_b32 s18, s0
	s_cbranch_execnz .LBB62_64
	s_branch .LBB62_67
.LBB62_60:                              ;   in Loop: Header=BB62_3 Depth=1
	v_cmp_le_f32_e32 vcc_lo, 0, v3
	v_cmp_ge_f32_e64 s0, 1.0, v3
	s_delay_alu instid0(VALU_DEP_1) | instskip(SKIP_2) | instid1(SALU_CYCLE_1)
	s_and_b32 s37, vcc_lo, s0
	s_mov_b32 s0, 0
	s_and_saveexec_b32 s38, s37
	s_xor_b32 s37, exec_lo, s38
	s_cbranch_execz .LBB62_62
; %bb.61:                               ;   in Loop: Header=BB62_3 Depth=1
	v_cvt_f32_u32_e32 v8, v12
	v_mov_b32_e32 v7, v4
	s_mov_b32 s0, exec_lo
	s_delay_alu instid0(VALU_DEP_2) | instskip(NEXT) | instid1(VALU_DEP_2)
	v_fmaak_f32 v8, 0x2f800000, v8, 0x2f800000
	v_lshlrev_b64 v[6:7], 1, v[6:7]
	s_delay_alu instid0(VALU_DEP_1) | instskip(NEXT) | instid1(VALU_DEP_2)
	v_add_co_u32 v6, vcc_lo, s14, v6
	v_add_co_ci_u32_e32 v7, vcc_lo, s15, v7, vcc_lo
	s_delay_alu instid0(VALU_DEP_4)
	v_cmp_le_f32_e32 vcc_lo, v8, v3
	v_cndmask_b32_e64 v3, 0, 1, vcc_lo
	global_store_b16 v[6:7], v3, off
.LBB62_62:                              ;   in Loop: Header=BB62_3 Depth=1
	s_or_b32 exec_lo, exec_lo, s37
	s_delay_alu instid0(SALU_CYCLE_1)
	s_and_not1_b32 s37, s36, exec_lo
	s_or_b32 s36, s36, exec_lo
	s_and_not1_b32 s35, s35, exec_lo
	s_and_not1_b32 s34, s34, exec_lo
	s_and_b32 s0, s0, exec_lo
	s_and_not1_b32 s18, s18, exec_lo
	s_or_b32 exec_lo, exec_lo, s39
	s_and_saveexec_b32 s38, s18
	s_cbranch_execz .LBB62_59
.LBB62_63:                              ;   in Loop: Header=BB62_3 Depth=1
	v_cmp_eq_u32_e32 vcc_lo, 1, v14
	s_and_not1_b32 s0, s0, exec_lo
	s_and_not1_b32 s37, s37, exec_lo
	;; [unrolled: 1-line block ×4, first 2 shown]
	s_and_b32 s18, vcc_lo, exec_lo
	s_and_not1_b32 s34, s34, exec_lo
	s_or_b32 s19, s19, exec_lo
	s_or_b32 s0, s0, s18
	s_or_b32 exec_lo, exec_lo, s38
	s_and_saveexec_b32 s18, s0
	s_cbranch_execz .LBB62_67
.LBB62_64:                              ;   in Loop: Header=BB62_3 Depth=1
	v_cmp_le_f32_e32 vcc_lo, 0, v0
	v_cmp_ge_f32_e64 s0, 1.0, v0
	s_delay_alu instid0(VALU_DEP_1)
	s_and_b32 s39, vcc_lo, s0
	s_mov_b32 s0, 0
	s_and_saveexec_b32 s38, s39
	s_cbranch_execz .LBB62_66
; %bb.65:                               ;   in Loop: Header=BB62_3 Depth=1
	v_cvt_f32_u32_e32 v3, v11
	v_mov_b32_e32 v6, v4
	s_mov_b32 s0, exec_lo
	s_delay_alu instid0(VALU_DEP_2) | instskip(NEXT) | instid1(VALU_DEP_2)
	v_fmaak_f32 v3, 0x2f800000, v3, 0x2f800000
	v_lshlrev_b64 v[5:6], 1, v[5:6]
	s_delay_alu instid0(VALU_DEP_1) | instskip(NEXT) | instid1(VALU_DEP_2)
	v_add_co_u32 v5, vcc_lo, s14, v5
	v_add_co_ci_u32_e32 v6, vcc_lo, s15, v6, vcc_lo
	s_delay_alu instid0(VALU_DEP_4)
	v_cmp_le_f32_e32 vcc_lo, v3, v0
	v_cndmask_b32_e64 v0, 0, 1, vcc_lo
	global_store_b16 v[5:6], v0, off
.LBB62_66:                              ;   in Loop: Header=BB62_3 Depth=1
	s_or_b32 exec_lo, exec_lo, s38
	s_delay_alu instid0(SALU_CYCLE_1)
	s_and_not1_b32 s19, s19, exec_lo
	s_and_b32 s0, s0, exec_lo
	s_or_b32 s37, s37, exec_lo
	s_and_not1_b32 s36, s36, exec_lo
	s_and_not1_b32 s35, s35, exec_lo
	;; [unrolled: 1-line block ×3, first 2 shown]
	s_or_b32 s19, s19, s0
.LBB62_67:                              ;   in Loop: Header=BB62_3 Depth=1
	s_or_b32 exec_lo, exec_lo, s18
	s_delay_alu instid0(SALU_CYCLE_1)
	s_and_not1_b32 s18, s33, exec_lo
	s_and_b32 s33, s37, exec_lo
	s_and_not1_b32 s30, s30, exec_lo
	s_and_b32 s36, s36, exec_lo
	s_or_b32 s33, s18, s33
	s_and_not1_b32 s18, s31, exec_lo
	s_and_b32 s31, s35, exec_lo
	s_and_not1_b32 s29, s29, exec_lo
	s_and_b32 s34, s34, exec_lo
	s_mov_b32 s0, -1
	s_or_b32 s30, s30, s36
	s_or_b32 s31, s18, s31
	;; [unrolled: 1-line block ×3, first 2 shown]
	s_and_saveexec_b32 s18, s19
	s_cbranch_execz .LBB62_2
; %bb.68:                               ;   in Loop: Header=BB62_3 Depth=1
	v_add_nc_u32_e32 v28, s25, v28
	s_and_not1_b32 s33, s33, exec_lo
	s_and_not1_b32 s30, s30, exec_lo
	;; [unrolled: 1-line block ×4, first 2 shown]
	v_cmp_le_u32_e32 vcc_lo, s20, v28
	s_or_not1_b32 s0, vcc_lo, exec_lo
	s_branch .LBB62_2
.LBB62_69:
	s_or_b32 exec_lo, exec_lo, s13
	s_xor_b32 s4, s27, -1
	s_xor_b32 s5, s28, -1
	;; [unrolled: 1-line block ×3, first 2 shown]
	s_mov_b32 s2, 0
	s_and_saveexec_b32 s3, s0
	s_delay_alu instid0(SALU_CYCLE_1)
	s_xor_b32 s0, exec_lo, s3
	s_cbranch_execz .LBB62_78
; %bb.70:
	s_mov_b32 s3, 0
	s_and_saveexec_b32 s2, s5
	s_delay_alu instid0(SALU_CYCLE_1)
	s_xor_b32 s2, exec_lo, s2
	s_cbranch_execz .LBB62_76
; %bb.71:
	s_and_saveexec_b32 s5, s4
	s_delay_alu instid0(SALU_CYCLE_1)
	s_xor_b32 s4, exec_lo, s5
	s_cbranch_execz .LBB62_74
; %bb.72:
	s_and_saveexec_b32 s5, s1
	s_delay_alu instid0(SALU_CYCLE_1)
	s_xor_b32 s1, exec_lo, s5
	s_cbranch_execnz .LBB62_92
.LBB62_73:
	s_or_b32 exec_lo, exec_lo, s1
	s_delay_alu instid0(SALU_CYCLE_1)
	s_and_b32 s3, s3, exec_lo
.LBB62_74:
	s_and_not1_saveexec_b32 s1, s4
	s_cbranch_execnz .LBB62_88
.LBB62_75:
	s_or_b32 exec_lo, exec_lo, s1
	s_delay_alu instid0(SALU_CYCLE_1)
	s_and_b32 s3, s3, exec_lo
.LBB62_76:
	s_and_not1_saveexec_b32 s1, s2
	s_cbranch_execnz .LBB62_84
.LBB62_77:
	s_or_b32 exec_lo, exec_lo, s1
	s_delay_alu instid0(SALU_CYCLE_1)
	s_and_b32 s2, s3, exec_lo
.LBB62_78:
	s_and_not1_saveexec_b32 s0, s0
	s_cbranch_execnz .LBB62_82
; %bb.79:
	s_or_b32 exec_lo, exec_lo, s0
	s_delay_alu instid0(SALU_CYCLE_1)
	s_and_b32 exec_lo, exec_lo, s2
.LBB62_80:
	; divergent unreachable
.LBB62_81:
	s_nop 0
	s_sendmsg sendmsg(MSG_DEALLOC_VGPRS)
	s_endpgm
.LBB62_82:
	s_cbranch_execnz .LBB62_86
; %bb.83:
	s_or_b32 s2, s2, exec_lo
	s_or_b32 exec_lo, exec_lo, s0
	s_delay_alu instid0(SALU_CYCLE_1)
	s_and_b32 exec_lo, exec_lo, s2
	s_cbranch_execnz .LBB62_80
	s_branch .LBB62_81
.LBB62_84:
	s_cbranch_execnz .LBB62_90
; %bb.85:
	s_or_b32 s3, s3, exec_lo
	s_branch .LBB62_77
.LBB62_86:
	s_trap 2
	s_sendmsg_rtn_b32 s0, sendmsg(MSG_RTN_GET_DOORBELL)
	s_mov_b32 ttmp2, m0
	s_waitcnt lgkmcnt(0)
	s_and_b32 s0, s0, 0x3ff
	s_delay_alu instid0(SALU_CYCLE_1) | instskip(NEXT) | instid1(SALU_CYCLE_1)
	s_bitset1_b32 s0, 10
	s_mov_b32 m0, s0
	s_sendmsg sendmsg(MSG_INTERRUPT)
	s_mov_b32 m0, ttmp2
.LBB62_87:                              ; =>This Inner Loop Header: Depth=1
	s_sethalt 5
	s_branch .LBB62_87
.LBB62_88:
	s_cbranch_execnz .LBB62_94
; %bb.89:
	s_or_b32 s3, s3, exec_lo
	s_branch .LBB62_75
.LBB62_90:
	s_trap 2
	s_sendmsg_rtn_b32 s0, sendmsg(MSG_RTN_GET_DOORBELL)
	s_mov_b32 ttmp2, m0
	s_waitcnt lgkmcnt(0)
	s_and_b32 s0, s0, 0x3ff
	s_delay_alu instid0(SALU_CYCLE_1) | instskip(NEXT) | instid1(SALU_CYCLE_1)
	s_bitset1_b32 s0, 10
	s_mov_b32 m0, s0
	s_sendmsg sendmsg(MSG_INTERRUPT)
	s_mov_b32 m0, ttmp2
.LBB62_91:                              ; =>This Inner Loop Header: Depth=1
	s_sethalt 5
	s_branch .LBB62_91
.LBB62_92:
	s_cbranch_execnz .LBB62_96
; %bb.93:
	s_mov_b32 s3, exec_lo
	s_branch .LBB62_73
.LBB62_94:
	s_trap 2
	s_sendmsg_rtn_b32 s0, sendmsg(MSG_RTN_GET_DOORBELL)
	s_mov_b32 ttmp2, m0
	s_waitcnt lgkmcnt(0)
	s_and_b32 s0, s0, 0x3ff
	s_delay_alu instid0(SALU_CYCLE_1) | instskip(NEXT) | instid1(SALU_CYCLE_1)
	s_bitset1_b32 s0, 10
	s_mov_b32 m0, s0
	s_sendmsg sendmsg(MSG_INTERRUPT)
	s_mov_b32 m0, ttmp2
.LBB62_95:                              ; =>This Inner Loop Header: Depth=1
	s_sethalt 5
	s_branch .LBB62_95
.LBB62_96:
	s_trap 2
	s_sendmsg_rtn_b32 s0, sendmsg(MSG_RTN_GET_DOORBELL)
	s_mov_b32 ttmp2, m0
	s_waitcnt lgkmcnt(0)
	s_and_b32 s0, s0, 0x3ff
	s_delay_alu instid0(SALU_CYCLE_1) | instskip(NEXT) | instid1(SALU_CYCLE_1)
	s_bitset1_b32 s0, 10
	s_mov_b32 m0, s0
	s_sendmsg sendmsg(MSG_INTERRUPT)
	s_mov_b32 m0, ttmp2
.LBB62_97:                              ; =>This Inner Loop Header: Depth=1
	s_sethalt 5
	s_branch .LBB62_97
	.section	.rodata,"a",@progbits
	.p2align	6, 0x0
	.amdhsa_kernel _ZN2at4cuda12_GLOBAL__N_121kernelPointwiseApply2IZNS_6native9templates4cuda28bernoulli_tensor_cuda_kernelIsfEEvRKNS_10TensorBaseES9_NS_15PhiloxCudaStateEEUliRsSB_SB_SB_RKfSD_SD_SD_E_sSC_jLin1ELi2ELi4ELi512ELi2EEEvNS0_6detail10TensorInfoIT0_T2_EENSG_IT1_SI_EESI_T_
		.amdhsa_group_segment_fixed_size 0
		.amdhsa_private_segment_fixed_size 0
		.amdhsa_kernarg_size 728
		.amdhsa_user_sgpr_count 15
		.amdhsa_user_sgpr_dispatch_ptr 0
		.amdhsa_user_sgpr_queue_ptr 0
		.amdhsa_user_sgpr_kernarg_segment_ptr 1
		.amdhsa_user_sgpr_dispatch_id 0
		.amdhsa_user_sgpr_private_segment_size 0
		.amdhsa_wavefront_size32 1
		.amdhsa_uses_dynamic_stack 0
		.amdhsa_enable_private_segment 0
		.amdhsa_system_sgpr_workgroup_id_x 1
		.amdhsa_system_sgpr_workgroup_id_y 0
		.amdhsa_system_sgpr_workgroup_id_z 0
		.amdhsa_system_sgpr_workgroup_info 0
		.amdhsa_system_vgpr_workitem_id 0
		.amdhsa_next_free_vgpr 42
		.amdhsa_next_free_sgpr 40
		.amdhsa_reserve_vcc 1
		.amdhsa_float_round_mode_32 0
		.amdhsa_float_round_mode_16_64 0
		.amdhsa_float_denorm_mode_32 3
		.amdhsa_float_denorm_mode_16_64 3
		.amdhsa_dx10_clamp 1
		.amdhsa_ieee_mode 1
		.amdhsa_fp16_overflow 0
		.amdhsa_workgroup_processor_mode 1
		.amdhsa_memory_ordered 1
		.amdhsa_forward_progress 0
		.amdhsa_shared_vgpr_count 0
		.amdhsa_exception_fp_ieee_invalid_op 0
		.amdhsa_exception_fp_denorm_src 0
		.amdhsa_exception_fp_ieee_div_zero 0
		.amdhsa_exception_fp_ieee_overflow 0
		.amdhsa_exception_fp_ieee_underflow 0
		.amdhsa_exception_fp_ieee_inexact 0
		.amdhsa_exception_int_div_zero 0
	.end_amdhsa_kernel
	.section	.text._ZN2at4cuda12_GLOBAL__N_121kernelPointwiseApply2IZNS_6native9templates4cuda28bernoulli_tensor_cuda_kernelIsfEEvRKNS_10TensorBaseES9_NS_15PhiloxCudaStateEEUliRsSB_SB_SB_RKfSD_SD_SD_E_sSC_jLin1ELi2ELi4ELi512ELi2EEEvNS0_6detail10TensorInfoIT0_T2_EENSG_IT1_SI_EESI_T_,"axG",@progbits,_ZN2at4cuda12_GLOBAL__N_121kernelPointwiseApply2IZNS_6native9templates4cuda28bernoulli_tensor_cuda_kernelIsfEEvRKNS_10TensorBaseES9_NS_15PhiloxCudaStateEEUliRsSB_SB_SB_RKfSD_SD_SD_E_sSC_jLin1ELi2ELi4ELi512ELi2EEEvNS0_6detail10TensorInfoIT0_T2_EENSG_IT1_SI_EESI_T_,comdat
.Lfunc_end62:
	.size	_ZN2at4cuda12_GLOBAL__N_121kernelPointwiseApply2IZNS_6native9templates4cuda28bernoulli_tensor_cuda_kernelIsfEEvRKNS_10TensorBaseES9_NS_15PhiloxCudaStateEEUliRsSB_SB_SB_RKfSD_SD_SD_E_sSC_jLin1ELi2ELi4ELi512ELi2EEEvNS0_6detail10TensorInfoIT0_T2_EENSG_IT1_SI_EESI_T_, .Lfunc_end62-_ZN2at4cuda12_GLOBAL__N_121kernelPointwiseApply2IZNS_6native9templates4cuda28bernoulli_tensor_cuda_kernelIsfEEvRKNS_10TensorBaseES9_NS_15PhiloxCudaStateEEUliRsSB_SB_SB_RKfSD_SD_SD_E_sSC_jLin1ELi2ELi4ELi512ELi2EEEvNS0_6detail10TensorInfoIT0_T2_EENSG_IT1_SI_EESI_T_
                                        ; -- End function
	.section	.AMDGPU.csdata,"",@progbits
; Kernel info:
; codeLenInByte = 4828
; NumSgprs: 42
; NumVgprs: 42
; ScratchSize: 0
; MemoryBound: 0
; FloatMode: 240
; IeeeMode: 1
; LDSByteSize: 0 bytes/workgroup (compile time only)
; SGPRBlocks: 5
; VGPRBlocks: 5
; NumSGPRsForWavesPerEU: 42
; NumVGPRsForWavesPerEU: 42
; Occupancy: 16
; WaveLimiterHint : 1
; COMPUTE_PGM_RSRC2:SCRATCH_EN: 0
; COMPUTE_PGM_RSRC2:USER_SGPR: 15
; COMPUTE_PGM_RSRC2:TRAP_HANDLER: 0
; COMPUTE_PGM_RSRC2:TGID_X_EN: 1
; COMPUTE_PGM_RSRC2:TGID_Y_EN: 0
; COMPUTE_PGM_RSRC2:TGID_Z_EN: 0
; COMPUTE_PGM_RSRC2:TIDIG_COMP_CNT: 0
	.section	.text._ZN2at4cuda12_GLOBAL__N_121kernelPointwiseApply2IZNS_6native9templates4cuda28bernoulli_tensor_cuda_kernelIsfEEvRKNS_10TensorBaseES9_NS_15PhiloxCudaStateEEUliRsSB_SB_SB_RKfSD_SD_SD_E_sSC_jLin1ELin1ELi4ELi512ELi2EEEvNS0_6detail10TensorInfoIT0_T2_EENSG_IT1_SI_EESI_T_,"axG",@progbits,_ZN2at4cuda12_GLOBAL__N_121kernelPointwiseApply2IZNS_6native9templates4cuda28bernoulli_tensor_cuda_kernelIsfEEvRKNS_10TensorBaseES9_NS_15PhiloxCudaStateEEUliRsSB_SB_SB_RKfSD_SD_SD_E_sSC_jLin1ELin1ELi4ELi512ELi2EEEvNS0_6detail10TensorInfoIT0_T2_EENSG_IT1_SI_EESI_T_,comdat
	.globl	_ZN2at4cuda12_GLOBAL__N_121kernelPointwiseApply2IZNS_6native9templates4cuda28bernoulli_tensor_cuda_kernelIsfEEvRKNS_10TensorBaseES9_NS_15PhiloxCudaStateEEUliRsSB_SB_SB_RKfSD_SD_SD_E_sSC_jLin1ELin1ELi4ELi512ELi2EEEvNS0_6detail10TensorInfoIT0_T2_EENSG_IT1_SI_EESI_T_ ; -- Begin function _ZN2at4cuda12_GLOBAL__N_121kernelPointwiseApply2IZNS_6native9templates4cuda28bernoulli_tensor_cuda_kernelIsfEEvRKNS_10TensorBaseES9_NS_15PhiloxCudaStateEEUliRsSB_SB_SB_RKfSD_SD_SD_E_sSC_jLin1ELin1ELi4ELi512ELi2EEEvNS0_6detail10TensorInfoIT0_T2_EENSG_IT1_SI_EESI_T_
	.p2align	8
	.type	_ZN2at4cuda12_GLOBAL__N_121kernelPointwiseApply2IZNS_6native9templates4cuda28bernoulli_tensor_cuda_kernelIsfEEvRKNS_10TensorBaseES9_NS_15PhiloxCudaStateEEUliRsSB_SB_SB_RKfSD_SD_SD_E_sSC_jLin1ELin1ELi4ELi512ELi2EEEvNS0_6detail10TensorInfoIT0_T2_EENSG_IT1_SI_EESI_T_,@function
_ZN2at4cuda12_GLOBAL__N_121kernelPointwiseApply2IZNS_6native9templates4cuda28bernoulli_tensor_cuda_kernelIsfEEvRKNS_10TensorBaseES9_NS_15PhiloxCudaStateEEUliRsSB_SB_SB_RKfSD_SD_SD_E_sSC_jLin1ELin1ELi4ELi512ELi2EEEvNS0_6detail10TensorInfoIT0_T2_EENSG_IT1_SI_EESI_T_: ; @_ZN2at4cuda12_GLOBAL__N_121kernelPointwiseApply2IZNS_6native9templates4cuda28bernoulli_tensor_cuda_kernelIsfEEvRKNS_10TensorBaseES9_NS_15PhiloxCudaStateEEUliRsSB_SB_SB_RKfSD_SD_SD_E_sSC_jLin1ELin1ELi4ELi512ELi2EEEvNS0_6detail10TensorInfoIT0_T2_EENSG_IT1_SI_EESI_T_
; %bb.0:
	s_clause 0x1
	s_load_b32 s4, s[0:1], 0x1e4
	s_load_b32 s20, s[0:1], 0x1b0
	s_add_u32 s2, s0, 0x1d8
	s_addc_u32 s3, s1, 0
	s_waitcnt lgkmcnt(0)
	s_and_b32 s12, s4, 0xffff
	s_mov_b32 s4, exec_lo
	v_mad_u64_u32 v[1:2], null, s15, s12, v[0:1]
	s_delay_alu instid0(VALU_DEP_1) | instskip(NEXT) | instid1(VALU_DEP_1)
	v_lshlrev_b32_e32 v27, 2, v1
	v_cmpx_gt_u32_e64 s20, v27
	s_cbranch_execz .LBB63_93
; %bb.1:
	s_clause 0x2
	s_load_b32 s16, s[0:1], 0xd0
	s_load_b32 s17, s[0:1], 0x1a8
	;; [unrolled: 1-line block ×4, first 2 shown]
	s_clause 0x1
	s_load_b64 s[2:3], s[0:1], 0x1c8
	s_load_b128 s[4:7], s[0:1], 0x1b8
	s_add_u32 s18, s0, 0xd8
	s_addc_u32 s19, s1, 0
	s_clause 0x3
	s_load_b32 s21, s[0:1], 0x144
	s_load_b64 s[8:9], s[0:1], 0xd8
	s_load_b32 s22, s[0:1], 0x6c
	s_load_b64 s[10:11], s[0:1], 0x0
	s_mov_b32 s13, 0
	v_mad_u64_u32 v[2:3], null, 0xcd9e8d57, v1, 0
	v_mov_b32_e32 v4, 0
                                        ; implicit-def: $sgpr29
                                        ; implicit-def: $sgpr31
                                        ; implicit-def: $sgpr30
                                        ; implicit-def: $sgpr33
                                        ; implicit-def: $sgpr35
                                        ; implicit-def: $sgpr34
                                        ; implicit-def: $sgpr36
	s_delay_alu instid0(VALU_DEP_2)
	v_mov_b32_e32 v28, v3
	s_waitcnt lgkmcnt(0)
	s_cmp_gt_i32 s16, 1
	s_cselect_b32 s23, -1, 0
	s_cmp_gt_i32 s17, 1
	s_mul_i32 s15, s15, s12
	s_cselect_b32 s24, -1, 0
	s_bitcmp1_b32 s14, 0
	s_cselect_b32 s25, -1, 0
	s_add_i32 s12, s16, -1
	s_lshl_b32 s26, s15, 2
	s_lshl_b64 s[14:15], s[12:13], 2
	s_add_i32 s27, s16, 1
	s_add_u32 s0, s14, s0
	s_addc_u32 s1, s15, s1
	s_add_u32 s14, s0, 8
	s_addc_u32 s15, s1, 0
	s_add_i32 s12, s17, -1
	s_add_i32 s28, s17, 1
	s_lshl_b64 s[0:1], s[12:13], 2
                                        ; implicit-def: $sgpr12
	s_delay_alu instid0(SALU_CYCLE_1)
	s_add_u32 s0, s0, s18
	s_addc_u32 s1, s1, s19
	s_add_u32 s16, s0, 8
	s_addc_u32 s17, s1, 0
	s_branch .LBB63_3
.LBB63_2:                               ;   in Loop: Header=BB63_3 Depth=1
	s_or_b32 exec_lo, exec_lo, s1
	s_delay_alu instid0(SALU_CYCLE_1) | instskip(NEXT) | instid1(SALU_CYCLE_1)
	s_and_b32 s0, exec_lo, s0
	s_or_b32 s13, s0, s13
	s_and_not1_b32 s0, s12, exec_lo
	s_and_b32 s1, s36, exec_lo
	s_and_not1_b32 s18, s30, exec_lo
	s_and_b32 s19, s34, exec_lo
	s_or_b32 s12, s0, s1
	s_or_b32 s30, s18, s19
	s_and_not1_b32 s0, s31, exec_lo
	s_and_b32 s1, s35, exec_lo
	s_and_not1_b32 s18, s29, exec_lo
	s_and_b32 s19, s33, exec_lo
	s_or_b32 s31, s0, s1
	s_or_b32 s29, s18, s19
	s_and_not1_b32 exec_lo, exec_lo, s13
	s_cbranch_execz .LBB63_81
.LBB63_3:                               ; =>This Loop Header: Depth=1
                                        ;     Child Loop BB63_6 Depth 2
                                        ;     Child Loop BB63_11 Depth 2
	;; [unrolled: 1-line block ×8, first 2 shown]
	v_sub_nc_u32_e32 v29, s20, v27
	v_mov_b32_e32 v5, 0
	s_delay_alu instid0(VALU_DEP_2) | instskip(NEXT) | instid1(VALU_DEP_1)
	v_cmp_lt_i32_e64 s0, 0, v29
	s_and_saveexec_b32 s1, s0
	s_cbranch_execz .LBB63_8
; %bb.4:                                ;   in Loop: Header=BB63_3 Depth=1
	v_dual_mov_b32 v0, 0 :: v_dual_mov_b32 v3, v27
	s_and_not1_b32 vcc_lo, exec_lo, s23
	s_cbranch_vccnz .LBB63_7
; %bb.5:                                ;   in Loop: Header=BB63_3 Depth=1
	v_dual_mov_b32 v0, 0 :: v_dual_mov_b32 v3, v27
	s_mov_b64 s[18:19], s[14:15]
	s_mov_b32 s37, s27
	s_set_inst_prefetch_distance 0x1
	.p2align	6
.LBB63_6:                               ;   Parent Loop BB63_3 Depth=1
                                        ; =>  This Inner Loop Header: Depth=2
	s_clause 0x1
	s_load_b32 s38, s[18:19], 0x0
	s_load_b32 s39, s[18:19], 0x64
	v_mov_b32_e32 v7, v3
	s_add_i32 s37, s37, -1
	s_waitcnt lgkmcnt(0)
	v_cvt_f32_u32_e32 v5, s38
	s_sub_i32 s40, 0, s38
	s_add_u32 s18, s18, -4
	s_addc_u32 s19, s19, -1
	s_cmp_gt_u32 s37, 2
	v_rcp_iflag_f32_e32 v5, v5
	s_waitcnt_depctr 0xfff
	v_mul_f32_e32 v5, 0x4f7ffffe, v5
	s_delay_alu instid0(VALU_DEP_1) | instskip(NEXT) | instid1(VALU_DEP_1)
	v_cvt_u32_f32_e32 v5, v5
	v_mul_lo_u32 v6, s40, v5
	s_delay_alu instid0(VALU_DEP_1) | instskip(NEXT) | instid1(VALU_DEP_1)
	v_mul_hi_u32 v6, v5, v6
	v_add_nc_u32_e32 v3, v5, v6
	s_delay_alu instid0(VALU_DEP_1) | instskip(NEXT) | instid1(VALU_DEP_1)
	v_mul_hi_u32 v3, v7, v3
	v_add_nc_u32_e32 v6, 1, v3
	v_mul_lo_u32 v5, v3, s38
	s_delay_alu instid0(VALU_DEP_1) | instskip(NEXT) | instid1(VALU_DEP_1)
	v_sub_nc_u32_e32 v5, v7, v5
	v_subrev_nc_u32_e32 v8, s38, v5
	v_cmp_le_u32_e32 vcc_lo, s38, v5
	v_cndmask_b32_e32 v3, v3, v6, vcc_lo
	s_delay_alu instid0(VALU_DEP_1) | instskip(NEXT) | instid1(VALU_DEP_1)
	v_dual_cndmask_b32 v5, v5, v8 :: v_dual_add_nc_u32 v6, 1, v3
	v_cmp_le_u32_e32 vcc_lo, s38, v5
	s_delay_alu instid0(VALU_DEP_2) | instskip(NEXT) | instid1(VALU_DEP_1)
	v_cndmask_b32_e32 v3, v3, v6, vcc_lo
	v_mul_lo_u32 v5, v3, s38
	s_delay_alu instid0(VALU_DEP_1) | instskip(NEXT) | instid1(VALU_DEP_1)
	v_sub_nc_u32_e32 v7, v7, v5
	v_mad_u64_u32 v[5:6], null, s39, v7, v[0:1]
	s_delay_alu instid0(VALU_DEP_1)
	v_mov_b32_e32 v0, v5
	s_cbranch_scc1 .LBB63_6
.LBB63_7:                               ;   in Loop: Header=BB63_3 Depth=1
	s_set_inst_prefetch_distance 0x2
	s_delay_alu instid0(VALU_DEP_1)
	v_mad_u64_u32 v[5:6], null, s22, v3, v[0:1]
.LBB63_8:                               ;   in Loop: Header=BB63_3 Depth=1
	s_or_b32 exec_lo, exec_lo, s1
	v_mov_b32_e32 v3, 0
	s_and_saveexec_b32 s18, s0
	s_cbranch_execz .LBB63_13
; %bb.9:                                ;   in Loop: Header=BB63_3 Depth=1
	v_dual_mov_b32 v0, 0 :: v_dual_mov_b32 v3, v27
	s_and_not1_b32 vcc_lo, exec_lo, s24
	s_cbranch_vccnz .LBB63_12
; %bb.10:                               ;   in Loop: Header=BB63_3 Depth=1
	v_dual_mov_b32 v0, 0 :: v_dual_mov_b32 v3, v27
	s_mov_b64 s[0:1], s[16:17]
	s_mov_b32 s19, s28
	s_set_inst_prefetch_distance 0x1
	.p2align	6
.LBB63_11:                              ;   Parent Loop BB63_3 Depth=1
                                        ; =>  This Inner Loop Header: Depth=2
	s_clause 0x1
	s_load_b32 s37, s[0:1], 0x0
	s_load_b32 s38, s[0:1], 0x64
	s_add_i32 s19, s19, -1
	s_waitcnt lgkmcnt(0)
	v_cvt_f32_u32_e32 v6, s37
	s_sub_i32 s39, 0, s37
	s_add_u32 s0, s0, -4
	s_addc_u32 s1, s1, -1
	s_cmp_gt_u32 s19, 2
	v_rcp_iflag_f32_e32 v6, v6
	s_waitcnt_depctr 0xfff
	v_mul_f32_e32 v6, 0x4f7ffffe, v6
	s_delay_alu instid0(VALU_DEP_1) | instskip(NEXT) | instid1(VALU_DEP_1)
	v_cvt_u32_f32_e32 v6, v6
	v_mul_lo_u32 v7, s39, v6
	s_delay_alu instid0(VALU_DEP_1) | instskip(NEXT) | instid1(VALU_DEP_1)
	v_mul_hi_u32 v7, v6, v7
	v_dual_mov_b32 v8, v3 :: v_dual_add_nc_u32 v3, v6, v7
	s_delay_alu instid0(VALU_DEP_1) | instskip(NEXT) | instid1(VALU_DEP_1)
	v_mul_hi_u32 v3, v8, v3
	v_mul_lo_u32 v6, v3, s37
	v_add_nc_u32_e32 v7, 1, v3
	s_delay_alu instid0(VALU_DEP_2) | instskip(NEXT) | instid1(VALU_DEP_1)
	v_sub_nc_u32_e32 v6, v8, v6
	v_subrev_nc_u32_e32 v9, s37, v6
	v_cmp_le_u32_e32 vcc_lo, s37, v6
	s_delay_alu instid0(VALU_DEP_2) | instskip(NEXT) | instid1(VALU_DEP_1)
	v_dual_cndmask_b32 v3, v3, v7 :: v_dual_cndmask_b32 v6, v6, v9
	v_add_nc_u32_e32 v7, 1, v3
	s_delay_alu instid0(VALU_DEP_2) | instskip(NEXT) | instid1(VALU_DEP_2)
	v_cmp_le_u32_e32 vcc_lo, s37, v6
	v_cndmask_b32_e32 v3, v3, v7, vcc_lo
	s_delay_alu instid0(VALU_DEP_1) | instskip(NEXT) | instid1(VALU_DEP_1)
	v_mul_lo_u32 v6, v3, s37
	v_sub_nc_u32_e32 v8, v8, v6
	s_delay_alu instid0(VALU_DEP_1) | instskip(NEXT) | instid1(VALU_DEP_1)
	v_mad_u64_u32 v[6:7], null, s38, v8, v[0:1]
	v_mov_b32_e32 v0, v6
	s_cbranch_scc1 .LBB63_11
.LBB63_12:                              ;   in Loop: Header=BB63_3 Depth=1
	s_set_inst_prefetch_distance 0x2
	s_delay_alu instid0(VALU_DEP_1) | instskip(NEXT) | instid1(VALU_DEP_1)
	v_mad_u64_u32 v[6:7], null, s21, v3, v[0:1]
	v_mov_b32_e32 v3, v6
.LBB63_13:                              ;   in Loop: Header=BB63_3 Depth=1
	s_or_b32 exec_lo, exec_lo, s18
	v_or_b32_e32 v8, 1, v27
	v_cmp_lt_i32_e64 s0, 1, v29
	v_mov_b32_e32 v6, 0
	s_delay_alu instid0(VALU_DEP_2)
	s_and_saveexec_b32 s1, s0
	s_cbranch_execz .LBB63_18
; %bb.14:                               ;   in Loop: Header=BB63_3 Depth=1
	v_dual_mov_b32 v0, 0 :: v_dual_mov_b32 v9, v8
	s_and_not1_b32 vcc_lo, exec_lo, s23
	s_cbranch_vccnz .LBB63_17
; %bb.15:                               ;   in Loop: Header=BB63_3 Depth=1
	v_dual_mov_b32 v0, 0 :: v_dual_mov_b32 v9, v8
	s_mov_b64 s[18:19], s[14:15]
	s_mov_b32 s37, s27
	s_set_inst_prefetch_distance 0x1
	.p2align	6
.LBB63_16:                              ;   Parent Loop BB63_3 Depth=1
                                        ; =>  This Inner Loop Header: Depth=2
	s_clause 0x1
	s_load_b32 s38, s[18:19], 0x0
	s_load_b32 s39, s[18:19], 0x64
	v_mov_b32_e32 v10, v9
	s_add_i32 s37, s37, -1
	s_waitcnt lgkmcnt(0)
	v_cvt_f32_u32_e32 v6, s38
	s_sub_i32 s40, 0, s38
	s_add_u32 s18, s18, -4
	s_addc_u32 s19, s19, -1
	s_cmp_gt_u32 s37, 2
	v_rcp_iflag_f32_e32 v6, v6
	s_waitcnt_depctr 0xfff
	v_mul_f32_e32 v6, 0x4f7ffffe, v6
	s_delay_alu instid0(VALU_DEP_1) | instskip(NEXT) | instid1(VALU_DEP_1)
	v_cvt_u32_f32_e32 v6, v6
	v_mul_lo_u32 v7, s40, v6
	s_delay_alu instid0(VALU_DEP_1) | instskip(NEXT) | instid1(VALU_DEP_1)
	v_mul_hi_u32 v7, v6, v7
	v_add_nc_u32_e32 v6, v6, v7
	s_delay_alu instid0(VALU_DEP_1) | instskip(NEXT) | instid1(VALU_DEP_1)
	v_mul_hi_u32 v6, v10, v6
	v_mul_lo_u32 v7, v6, s38
	v_add_nc_u32_e32 v9, 1, v6
	s_delay_alu instid0(VALU_DEP_2) | instskip(NEXT) | instid1(VALU_DEP_1)
	v_sub_nc_u32_e32 v7, v10, v7
	v_subrev_nc_u32_e32 v11, s38, v7
	v_cmp_le_u32_e32 vcc_lo, s38, v7
	s_delay_alu instid0(VALU_DEP_2) | instskip(NEXT) | instid1(VALU_DEP_1)
	v_dual_cndmask_b32 v7, v7, v11 :: v_dual_cndmask_b32 v6, v6, v9
	v_cmp_le_u32_e32 vcc_lo, s38, v7
	s_delay_alu instid0(VALU_DEP_2) | instskip(NEXT) | instid1(VALU_DEP_1)
	v_add_nc_u32_e32 v9, 1, v6
	v_cndmask_b32_e32 v9, v6, v9, vcc_lo
	s_delay_alu instid0(VALU_DEP_1) | instskip(NEXT) | instid1(VALU_DEP_1)
	v_mul_lo_u32 v6, v9, s38
	v_sub_nc_u32_e32 v10, v10, v6
	s_delay_alu instid0(VALU_DEP_1) | instskip(NEXT) | instid1(VALU_DEP_1)
	v_mad_u64_u32 v[6:7], null, s39, v10, v[0:1]
	v_mov_b32_e32 v0, v6
	s_cbranch_scc1 .LBB63_16
.LBB63_17:                              ;   in Loop: Header=BB63_3 Depth=1
	s_set_inst_prefetch_distance 0x2
	s_delay_alu instid0(VALU_DEP_1)
	v_mad_u64_u32 v[6:7], null, s22, v9, v[0:1]
.LBB63_18:                              ;   in Loop: Header=BB63_3 Depth=1
	s_or_b32 exec_lo, exec_lo, s1
	v_mov_b32_e32 v10, 0
	s_and_saveexec_b32 s18, s0
	s_cbranch_execz .LBB63_23
; %bb.19:                               ;   in Loop: Header=BB63_3 Depth=1
	v_mov_b32_e32 v0, 0
	s_and_not1_b32 vcc_lo, exec_lo, s24
	s_cbranch_vccnz .LBB63_22
; %bb.20:                               ;   in Loop: Header=BB63_3 Depth=1
	v_mov_b32_e32 v0, 0
	s_mov_b64 s[0:1], s[16:17]
	s_mov_b32 s19, s28
	s_set_inst_prefetch_distance 0x1
	.p2align	6
.LBB63_21:                              ;   Parent Loop BB63_3 Depth=1
                                        ; =>  This Inner Loop Header: Depth=2
	s_clause 0x1
	s_load_b32 s37, s[0:1], 0x0
	s_load_b32 s38, s[0:1], 0x64
	s_add_i32 s19, s19, -1
	v_mov_b32_e32 v10, v8
	s_waitcnt lgkmcnt(0)
	v_cvt_f32_u32_e32 v7, s37
	s_sub_i32 s39, 0, s37
	s_add_u32 s0, s0, -4
	s_addc_u32 s1, s1, -1
	s_cmp_gt_u32 s19, 2
	v_rcp_iflag_f32_e32 v7, v7
	s_waitcnt_depctr 0xfff
	v_mul_f32_e32 v7, 0x4f7ffffe, v7
	s_delay_alu instid0(VALU_DEP_1) | instskip(NEXT) | instid1(VALU_DEP_1)
	v_cvt_u32_f32_e32 v7, v7
	v_mul_lo_u32 v9, s39, v7
	s_delay_alu instid0(VALU_DEP_1) | instskip(NEXT) | instid1(VALU_DEP_1)
	v_mul_hi_u32 v9, v7, v9
	v_add_nc_u32_e32 v7, v7, v9
	s_delay_alu instid0(VALU_DEP_1) | instskip(NEXT) | instid1(VALU_DEP_1)
	v_mul_hi_u32 v7, v10, v7
	v_mul_lo_u32 v8, v7, s37
	v_add_nc_u32_e32 v9, 1, v7
	s_delay_alu instid0(VALU_DEP_2) | instskip(NEXT) | instid1(VALU_DEP_1)
	v_sub_nc_u32_e32 v8, v10, v8
	v_subrev_nc_u32_e32 v11, s37, v8
	v_cmp_le_u32_e32 vcc_lo, s37, v8
	s_delay_alu instid0(VALU_DEP_2) | instskip(NEXT) | instid1(VALU_DEP_1)
	v_dual_cndmask_b32 v8, v8, v11 :: v_dual_cndmask_b32 v7, v7, v9
	v_cmp_le_u32_e32 vcc_lo, s37, v8
	s_delay_alu instid0(VALU_DEP_2) | instskip(NEXT) | instid1(VALU_DEP_1)
	v_add_nc_u32_e32 v9, 1, v7
	v_cndmask_b32_e32 v8, v7, v9, vcc_lo
	s_delay_alu instid0(VALU_DEP_1) | instskip(NEXT) | instid1(VALU_DEP_1)
	v_mul_lo_u32 v7, v8, s37
	v_sub_nc_u32_e32 v7, v10, v7
	s_delay_alu instid0(VALU_DEP_1) | instskip(NEXT) | instid1(VALU_DEP_1)
	v_mad_u64_u32 v[9:10], null, s38, v7, v[0:1]
	v_mov_b32_e32 v0, v9
	s_cbranch_scc1 .LBB63_21
.LBB63_22:                              ;   in Loop: Header=BB63_3 Depth=1
	s_set_inst_prefetch_distance 0x2
	s_delay_alu instid0(VALU_DEP_1)
	v_mad_u64_u32 v[10:11], null, s21, v8, v[0:1]
.LBB63_23:                              ;   in Loop: Header=BB63_3 Depth=1
	s_or_b32 exec_lo, exec_lo, s18
	v_or_b32_e32 v9, 2, v27
	v_cmp_lt_i32_e64 s0, 2, v29
	v_mov_b32_e32 v7, 0
	s_delay_alu instid0(VALU_DEP_2)
	s_and_saveexec_b32 s1, s0
	s_cbranch_execz .LBB63_28
; %bb.24:                               ;   in Loop: Header=BB63_3 Depth=1
	v_dual_mov_b32 v0, 0 :: v_dual_mov_b32 v11, v9
	s_and_not1_b32 vcc_lo, exec_lo, s23
	s_cbranch_vccnz .LBB63_27
; %bb.25:                               ;   in Loop: Header=BB63_3 Depth=1
	v_dual_mov_b32 v0, 0 :: v_dual_mov_b32 v11, v9
	s_mov_b64 s[18:19], s[14:15]
	s_mov_b32 s37, s27
	s_set_inst_prefetch_distance 0x1
	.p2align	6
.LBB63_26:                              ;   Parent Loop BB63_3 Depth=1
                                        ; =>  This Inner Loop Header: Depth=2
	s_clause 0x1
	s_load_b32 s38, s[18:19], 0x0
	s_load_b32 s39, s[18:19], 0x64
	s_add_i32 s37, s37, -1
	v_mov_b32_e32 v12, v11
	s_waitcnt lgkmcnt(0)
	v_cvt_f32_u32_e32 v7, s38
	s_sub_i32 s40, 0, s38
	s_add_u32 s18, s18, -4
	s_addc_u32 s19, s19, -1
	s_cmp_gt_u32 s37, 2
	v_rcp_iflag_f32_e32 v7, v7
	s_waitcnt_depctr 0xfff
	v_mul_f32_e32 v7, 0x4f7ffffe, v7
	s_delay_alu instid0(VALU_DEP_1) | instskip(NEXT) | instid1(VALU_DEP_1)
	v_cvt_u32_f32_e32 v7, v7
	v_mul_lo_u32 v8, s40, v7
	s_delay_alu instid0(VALU_DEP_1) | instskip(NEXT) | instid1(VALU_DEP_1)
	v_mul_hi_u32 v8, v7, v8
	v_add_nc_u32_e32 v7, v7, v8
	s_delay_alu instid0(VALU_DEP_1) | instskip(NEXT) | instid1(VALU_DEP_1)
	v_mul_hi_u32 v7, v12, v7
	v_mul_lo_u32 v8, v7, s38
	v_add_nc_u32_e32 v11, 1, v7
	s_delay_alu instid0(VALU_DEP_2) | instskip(NEXT) | instid1(VALU_DEP_1)
	v_sub_nc_u32_e32 v8, v12, v8
	v_subrev_nc_u32_e32 v13, s38, v8
	v_cmp_le_u32_e32 vcc_lo, s38, v8
	s_delay_alu instid0(VALU_DEP_2) | instskip(NEXT) | instid1(VALU_DEP_1)
	v_dual_cndmask_b32 v7, v7, v11 :: v_dual_cndmask_b32 v8, v8, v13
	v_add_nc_u32_e32 v11, 1, v7
	s_delay_alu instid0(VALU_DEP_2) | instskip(NEXT) | instid1(VALU_DEP_2)
	v_cmp_le_u32_e32 vcc_lo, s38, v8
	v_cndmask_b32_e32 v11, v7, v11, vcc_lo
	s_delay_alu instid0(VALU_DEP_1) | instskip(NEXT) | instid1(VALU_DEP_1)
	v_mul_lo_u32 v7, v11, s38
	v_sub_nc_u32_e32 v12, v12, v7
	s_delay_alu instid0(VALU_DEP_1) | instskip(NEXT) | instid1(VALU_DEP_1)
	v_mad_u64_u32 v[7:8], null, s39, v12, v[0:1]
	v_mov_b32_e32 v0, v7
	s_cbranch_scc1 .LBB63_26
.LBB63_27:                              ;   in Loop: Header=BB63_3 Depth=1
	s_set_inst_prefetch_distance 0x2
	s_delay_alu instid0(VALU_DEP_1)
	v_mad_u64_u32 v[7:8], null, s22, v11, v[0:1]
.LBB63_28:                              ;   in Loop: Header=BB63_3 Depth=1
	s_or_b32 exec_lo, exec_lo, s1
	v_mov_b32_e32 v12, 0
	v_mov_b32_e32 v13, 0
	s_and_saveexec_b32 s18, s0
	s_cbranch_execz .LBB63_33
; %bb.29:                               ;   in Loop: Header=BB63_3 Depth=1
	v_mov_b32_e32 v0, 0
	s_and_not1_b32 vcc_lo, exec_lo, s24
	s_cbranch_vccnz .LBB63_32
; %bb.30:                               ;   in Loop: Header=BB63_3 Depth=1
	v_mov_b32_e32 v0, 0
	s_mov_b64 s[0:1], s[16:17]
	s_mov_b32 s19, s28
	s_set_inst_prefetch_distance 0x1
	.p2align	6
.LBB63_31:                              ;   Parent Loop BB63_3 Depth=1
                                        ; =>  This Inner Loop Header: Depth=2
	s_clause 0x1
	s_load_b32 s37, s[0:1], 0x0
	s_load_b32 s38, s[0:1], 0x64
	v_mov_b32_e32 v12, v9
	s_add_i32 s19, s19, -1
	s_waitcnt lgkmcnt(0)
	v_cvt_f32_u32_e32 v8, s37
	s_sub_i32 s39, 0, s37
	s_add_u32 s0, s0, -4
	s_addc_u32 s1, s1, -1
	s_cmp_gt_u32 s19, 2
	v_rcp_iflag_f32_e32 v8, v8
	s_waitcnt_depctr 0xfff
	v_mul_f32_e32 v8, 0x4f7ffffe, v8
	s_delay_alu instid0(VALU_DEP_1) | instskip(NEXT) | instid1(VALU_DEP_1)
	v_cvt_u32_f32_e32 v8, v8
	v_mul_lo_u32 v11, s39, v8
	s_delay_alu instid0(VALU_DEP_1) | instskip(NEXT) | instid1(VALU_DEP_1)
	v_mul_hi_u32 v11, v8, v11
	v_add_nc_u32_e32 v8, v8, v11
	s_delay_alu instid0(VALU_DEP_1) | instskip(NEXT) | instid1(VALU_DEP_1)
	v_mul_hi_u32 v8, v12, v8
	v_mul_lo_u32 v9, v8, s37
	v_add_nc_u32_e32 v11, 1, v8
	s_delay_alu instid0(VALU_DEP_2) | instskip(NEXT) | instid1(VALU_DEP_1)
	v_sub_nc_u32_e32 v9, v12, v9
	v_subrev_nc_u32_e32 v13, s37, v9
	v_cmp_le_u32_e32 vcc_lo, s37, v9
	s_delay_alu instid0(VALU_DEP_2) | instskip(NEXT) | instid1(VALU_DEP_1)
	v_dual_cndmask_b32 v9, v9, v13 :: v_dual_cndmask_b32 v8, v8, v11
	v_cmp_le_u32_e32 vcc_lo, s37, v9
	s_delay_alu instid0(VALU_DEP_2) | instskip(NEXT) | instid1(VALU_DEP_1)
	v_add_nc_u32_e32 v11, 1, v8
	v_cndmask_b32_e32 v9, v8, v11, vcc_lo
	s_delay_alu instid0(VALU_DEP_1) | instskip(NEXT) | instid1(VALU_DEP_1)
	v_mul_lo_u32 v8, v9, s37
	v_sub_nc_u32_e32 v8, v12, v8
	s_delay_alu instid0(VALU_DEP_1) | instskip(NEXT) | instid1(VALU_DEP_1)
	v_mad_u64_u32 v[11:12], null, s38, v8, v[0:1]
	v_mov_b32_e32 v0, v11
	s_cbranch_scc1 .LBB63_31
.LBB63_32:                              ;   in Loop: Header=BB63_3 Depth=1
	s_set_inst_prefetch_distance 0x2
	s_delay_alu instid0(VALU_DEP_1)
	v_mad_u64_u32 v[12:13], null, s21, v9, v[0:1]
	v_mov_b32_e32 v13, v4
.LBB63_33:                              ;   in Loop: Header=BB63_3 Depth=1
	s_or_b32 exec_lo, exec_lo, s18
	v_mov_b32_e32 v8, 0
	v_or_b32_e32 v11, 3, v27
	v_mov_b32_e32 v9, 0
	v_cmp_lt_i32_e64 s0, 3, v29
	s_delay_alu instid0(VALU_DEP_1)
	s_and_saveexec_b32 s1, s0
	s_cbranch_execz .LBB63_38
; %bb.34:                               ;   in Loop: Header=BB63_3 Depth=1
	v_mov_b32_e32 v0, 0
	v_mov_b32_e32 v14, v11
	s_and_not1_b32 vcc_lo, exec_lo, s23
	s_cbranch_vccnz .LBB63_37
; %bb.35:                               ;   in Loop: Header=BB63_3 Depth=1
	v_mov_b32_e32 v0, 0
	v_mov_b32_e32 v14, v11
	s_mov_b64 s[18:19], s[14:15]
	s_mov_b32 s37, s27
	s_set_inst_prefetch_distance 0x1
	.p2align	6
.LBB63_36:                              ;   Parent Loop BB63_3 Depth=1
                                        ; =>  This Inner Loop Header: Depth=2
	s_clause 0x1
	s_load_b32 s38, s[18:19], 0x0
	s_load_b32 s39, s[18:19], 0x64
	s_add_i32 s37, s37, -1
	v_mov_b32_e32 v15, v14
	s_waitcnt lgkmcnt(0)
	v_cvt_f32_u32_e32 v8, s38
	s_sub_i32 s40, 0, s38
	s_add_u32 s18, s18, -4
	s_addc_u32 s19, s19, -1
	s_cmp_gt_u32 s37, 2
	v_rcp_iflag_f32_e32 v8, v8
	s_waitcnt_depctr 0xfff
	v_mul_f32_e32 v8, 0x4f7ffffe, v8
	s_delay_alu instid0(VALU_DEP_1) | instskip(NEXT) | instid1(VALU_DEP_1)
	v_cvt_u32_f32_e32 v8, v8
	v_mul_lo_u32 v9, s40, v8
	s_delay_alu instid0(VALU_DEP_1) | instskip(NEXT) | instid1(VALU_DEP_1)
	v_mul_hi_u32 v9, v8, v9
	v_add_nc_u32_e32 v8, v8, v9
	s_delay_alu instid0(VALU_DEP_1) | instskip(NEXT) | instid1(VALU_DEP_1)
	v_mul_hi_u32 v8, v15, v8
	v_mul_lo_u32 v9, v8, s38
	v_add_nc_u32_e32 v14, 1, v8
	s_delay_alu instid0(VALU_DEP_2) | instskip(NEXT) | instid1(VALU_DEP_1)
	v_sub_nc_u32_e32 v9, v15, v9
	v_subrev_nc_u32_e32 v16, s38, v9
	v_cmp_le_u32_e32 vcc_lo, s38, v9
	s_delay_alu instid0(VALU_DEP_2) | instskip(NEXT) | instid1(VALU_DEP_1)
	v_dual_cndmask_b32 v9, v9, v16 :: v_dual_cndmask_b32 v8, v8, v14
	v_cmp_le_u32_e32 vcc_lo, s38, v9
	s_delay_alu instid0(VALU_DEP_2) | instskip(NEXT) | instid1(VALU_DEP_1)
	v_add_nc_u32_e32 v14, 1, v8
	v_cndmask_b32_e32 v14, v8, v14, vcc_lo
	s_delay_alu instid0(VALU_DEP_1) | instskip(NEXT) | instid1(VALU_DEP_1)
	v_mul_lo_u32 v8, v14, s38
	v_sub_nc_u32_e32 v15, v15, v8
	s_delay_alu instid0(VALU_DEP_1) | instskip(NEXT) | instid1(VALU_DEP_1)
	v_mad_u64_u32 v[8:9], null, s39, v15, v[0:1]
	v_mov_b32_e32 v0, v8
	s_cbranch_scc1 .LBB63_36
.LBB63_37:                              ;   in Loop: Header=BB63_3 Depth=1
	s_set_inst_prefetch_distance 0x2
	s_delay_alu instid0(VALU_DEP_1)
	v_mad_u64_u32 v[8:9], null, s22, v14, v[0:1]
	v_mov_b32_e32 v9, v4
.LBB63_38:                              ;   in Loop: Header=BB63_3 Depth=1
	s_or_b32 exec_lo, exec_lo, s1
	v_mov_b32_e32 v14, 0
	v_mov_b32_e32 v15, 0
	s_and_saveexec_b32 s18, s0
	s_cbranch_execz .LBB63_43
; %bb.39:                               ;   in Loop: Header=BB63_3 Depth=1
	v_mov_b32_e32 v0, 0
	s_and_not1_b32 vcc_lo, exec_lo, s24
	s_cbranch_vccnz .LBB63_42
; %bb.40:                               ;   in Loop: Header=BB63_3 Depth=1
	v_mov_b32_e32 v0, 0
	s_mov_b64 s[0:1], s[16:17]
	s_mov_b32 s19, s28
	s_set_inst_prefetch_distance 0x1
	.p2align	6
.LBB63_41:                              ;   Parent Loop BB63_3 Depth=1
                                        ; =>  This Inner Loop Header: Depth=2
	s_clause 0x1
	s_load_b32 s37, s[0:1], 0x0
	s_load_b32 s38, s[0:1], 0x64
	s_add_i32 s19, s19, -1
	s_waitcnt lgkmcnt(0)
	v_cvt_f32_u32_e32 v14, s37
	s_sub_i32 s39, 0, s37
	s_add_u32 s0, s0, -4
	s_addc_u32 s1, s1, -1
	s_cmp_gt_u32 s19, 2
	v_rcp_iflag_f32_e32 v14, v14
	s_waitcnt_depctr 0xfff
	v_mul_f32_e32 v14, 0x4f7ffffe, v14
	s_delay_alu instid0(VALU_DEP_1) | instskip(NEXT) | instid1(VALU_DEP_1)
	v_cvt_u32_f32_e32 v14, v14
	v_mul_lo_u32 v15, s39, v14
	s_delay_alu instid0(VALU_DEP_1) | instskip(NEXT) | instid1(VALU_DEP_1)
	v_mul_hi_u32 v15, v14, v15
	v_dual_mov_b32 v16, v11 :: v_dual_add_nc_u32 v11, v14, v15
	s_delay_alu instid0(VALU_DEP_1) | instskip(NEXT) | instid1(VALU_DEP_1)
	v_mul_hi_u32 v11, v16, v11
	v_mul_lo_u32 v14, v11, s37
	v_add_nc_u32_e32 v15, 1, v11
	s_delay_alu instid0(VALU_DEP_2) | instskip(NEXT) | instid1(VALU_DEP_1)
	v_sub_nc_u32_e32 v14, v16, v14
	v_subrev_nc_u32_e32 v17, s37, v14
	v_cmp_le_u32_e32 vcc_lo, s37, v14
	s_delay_alu instid0(VALU_DEP_2) | instskip(NEXT) | instid1(VALU_DEP_1)
	v_dual_cndmask_b32 v11, v11, v15 :: v_dual_cndmask_b32 v14, v14, v17
	v_add_nc_u32_e32 v15, 1, v11
	s_delay_alu instid0(VALU_DEP_2) | instskip(NEXT) | instid1(VALU_DEP_2)
	v_cmp_le_u32_e32 vcc_lo, s37, v14
	v_cndmask_b32_e32 v11, v11, v15, vcc_lo
	s_delay_alu instid0(VALU_DEP_1) | instskip(NEXT) | instid1(VALU_DEP_1)
	v_mul_lo_u32 v14, v11, s37
	v_sub_nc_u32_e32 v16, v16, v14
	s_delay_alu instid0(VALU_DEP_1) | instskip(NEXT) | instid1(VALU_DEP_1)
	v_mad_u64_u32 v[14:15], null, s38, v16, v[0:1]
	v_mov_b32_e32 v0, v14
	s_cbranch_scc1 .LBB63_41
.LBB63_42:                              ;   in Loop: Header=BB63_3 Depth=1
	s_set_inst_prefetch_distance 0x2
	s_delay_alu instid0(VALU_DEP_1)
	v_mad_u64_u32 v[14:15], null, s21, v11, v[0:1]
	v_mov_b32_e32 v15, v4
.LBB63_43:                              ;   in Loop: Header=BB63_3 Depth=1
	s_or_b32 exec_lo, exec_lo, s18
	v_mov_b32_e32 v11, v4
	v_lshlrev_b64 v[16:17], 2, v[3:4]
	v_lshlrev_b64 v[12:13], 2, v[12:13]
	;; [unrolled: 1-line block ×3, first 2 shown]
	s_delay_alu instid0(VALU_DEP_4) | instskip(NEXT) | instid1(VALU_DEP_4)
	v_lshlrev_b64 v[10:11], 2, v[10:11]
	v_add_co_u32 v16, vcc_lo, s8, v16
	v_add_co_ci_u32_e32 v17, vcc_lo, s9, v17, vcc_lo
	s_delay_alu instid0(VALU_DEP_3) | instskip(NEXT) | instid1(VALU_DEP_4)
	v_add_co_u32 v10, vcc_lo, s8, v10
	v_add_co_ci_u32_e32 v11, vcc_lo, s9, v11, vcc_lo
	v_add_co_u32 v12, vcc_lo, s8, v12
	v_add_co_ci_u32_e32 v13, vcc_lo, s9, v13, vcc_lo
	;; [unrolled: 2-line block ×3, first 2 shown]
	s_clause 0x3
	global_load_b32 v0, v[16:17], off
	global_load_b32 v3, v[10:11], off
	;; [unrolled: 1-line block ×4, first 2 shown]
	v_mov_b32_e32 v15, s7
	v_dual_mov_b32 v17, s5 :: v_dual_mov_b32 v16, s4
	v_mov_b32_e32 v14, s6
	s_and_not1_b32 vcc_lo, exec_lo, s25
	s_cbranch_vccnz .LBB63_45
; %bb.44:                               ;   in Loop: Header=BB63_3 Depth=1
	v_dual_mov_b32 v11, s7 :: v_dual_mov_b32 v10, s6
	v_dual_mov_b32 v13, s5 :: v_dual_mov_b32 v12, s4
	flat_load_b64 v[10:11], v[10:11]
	flat_load_b64 v[16:17], v[12:13]
	s_waitcnt vmcnt(1) lgkmcnt(1)
	v_add_co_u32 v14, vcc_lo, v10, s2
	v_add_co_ci_u32_e32 v15, vcc_lo, s3, v11, vcc_lo
.LBB63_45:                              ;   in Loop: Header=BB63_3 Depth=1
	s_delay_alu instid0(VALU_DEP_1)
	v_alignbit_b32 v13, v15, v14, 2
	v_lshrrev_b32_e32 v12, 2, v15
	s_waitcnt vmcnt(0) lgkmcnt(0)
	v_add_nc_u32_e32 v32, 0x9e3779b9, v16
	v_add_nc_u32_e32 v34, 0x76cf5d0a, v17
	v_add_nc_u32_e32 v35, 0xdaa66d2b, v16
	v_add_co_u32 v15, vcc_lo, v13, 1
	s_delay_alu instid0(VALU_DEP_1) | instskip(SKIP_4) | instid1(VALU_DEP_4)
	v_cndmask_b32_e64 v10, 0, 1, vcc_lo
	v_add_co_ci_u32_e32 v24, vcc_lo, 0, v12, vcc_lo
	v_xor3_b32 v20, v28, v16, v12
	v_add_nc_u32_e32 v36, 0x32370b8f, v17
	v_add_nc_u32_e32 v37, 0xed9eba14, v17
	v_cmp_eq_u32_e32 vcc_lo, 0, v24
	v_add_nc_u32_e32 v38, 0x1715609d, v16
	v_add_nc_u32_e32 v39, 0xa9066899, v17
	s_mov_b32 s0, exec_lo
	v_dual_cndmask_b32 v18, 0, v10 :: v_dual_add_nc_u32 v33, 0xbb67ae85, v17
	v_mad_u64_u32 v[10:11], null, 0xd2511f53, v15, 0
	s_delay_alu instid0(VALU_DEP_2) | instskip(NEXT) | instid1(VALU_DEP_2)
	v_add_nc_u32_e32 v15, v18, v1
	v_xor_b32_e32 v19, v11, v17
	s_delay_alu instid0(VALU_DEP_2) | instskip(SKIP_2) | instid1(VALU_DEP_1)
	v_cmp_eq_u32_e32 vcc_lo, 0, v15
	v_mad_u64_u32 v[11:12], null, 0xd2511f53, v13, 0
	v_cndmask_b32_e32 v18, 0, v18, vcc_lo
	v_xor_b32_e32 v13, v18, v19
	v_mad_u64_u32 v[18:19], null, 0xd2511f53, v20, 0
	v_mad_u64_u32 v[20:21], null, 0xcd9e8d57, v15, 0
	s_delay_alu instid0(VALU_DEP_3) | instskip(SKIP_3) | instid1(VALU_DEP_3)
	v_mad_u64_u32 v[22:23], null, 0xcd9e8d57, v13, 0
	v_xor_b32_e32 v13, v12, v17
	v_add_nc_u32_e32 v15, 0x3c6ef372, v16
	v_xor3_b32 v25, v33, v19, v11
	v_mad_u64_u32 v[11:12], null, 0xcd9e8d57, v13, 0
	v_xor3_b32 v13, v21, v16, v24
	v_xor3_b32 v21, v32, v23, v20
	s_delay_alu instid0(VALU_DEP_4) | instskip(NEXT) | instid1(VALU_DEP_3)
	v_mad_u64_u32 v[19:20], null, 0xcd9e8d57, v25, 0
	v_mad_u64_u32 v[23:24], null, 0xd2511f53, v13, 0
	s_delay_alu instid0(VALU_DEP_3) | instskip(SKIP_1) | instid1(VALU_DEP_4)
	v_mad_u64_u32 v[25:26], null, 0xd2511f53, v21, 0
	v_xor3_b32 v13, v2, v12, v32
	v_xor3_b32 v32, v15, v20, v11
	s_delay_alu instid0(VALU_DEP_4) | instskip(NEXT) | instid1(VALU_DEP_3)
	v_xor3_b32 v10, v33, v24, v10
	v_mad_u64_u32 v[11:12], null, 0xd2511f53, v13, 0
	v_xor3_b32 v13, v34, v26, v23
	s_delay_alu instid0(VALU_DEP_4) | instskip(NEXT) | instid1(VALU_DEP_4)
	v_mad_u64_u32 v[20:21], null, 0xd2511f53, v32, 0
	v_mad_u64_u32 v[23:24], null, 0xcd9e8d57, v10, 0
	s_delay_alu instid0(VALU_DEP_3) | instskip(SKIP_4) | instid1(VALU_DEP_4)
	v_mad_u64_u32 v[32:33], null, 0xcd9e8d57, v13, 0
	v_xor3_b32 v12, v34, v12, v18
	v_add_nc_u32_e32 v26, 0x78dde6e4, v16
	v_xor3_b32 v18, v36, v21, v11
	v_xor3_b32 v15, v15, v24, v22
	v_mad_u64_u32 v[10:11], null, 0xcd9e8d57, v12, 0
	v_xor3_b32 v33, v35, v33, v23
	s_delay_alu instid0(VALU_DEP_4) | instskip(NEXT) | instid1(VALU_DEP_4)
	v_mad_u64_u32 v[12:13], null, 0xcd9e8d57, v18, 0
	v_mad_u64_u32 v[21:22], null, 0xd2511f53, v15, 0
	s_delay_alu instid0(VALU_DEP_3) | instskip(SKIP_1) | instid1(VALU_DEP_4)
	v_mad_u64_u32 v[23:24], null, 0xd2511f53, v33, 0
	v_xor3_b32 v15, v35, v11, v19
	v_xor3_b32 v13, v26, v13, v10
	s_delay_alu instid0(VALU_DEP_2) | instskip(SKIP_2) | instid1(VALU_DEP_4)
	v_mad_u64_u32 v[10:11], null, 0xd2511f53, v15, 0
	v_xor3_b32 v15, v36, v22, v25
	v_xor3_b32 v21, v37, v24, v21
	v_mad_u64_u32 v[24:25], null, 0xd2511f53, v13, 0
	s_delay_alu instid0(VALU_DEP_3) | instskip(NEXT) | instid1(VALU_DEP_3)
	v_mad_u64_u32 v[18:19], null, 0xcd9e8d57, v15, 0
	v_mad_u64_u32 v[33:34], null, 0xcd9e8d57, v21, 0
	v_xor3_b32 v13, v37, v11, v20
	s_delay_alu instid0(VALU_DEP_4) | instskip(SKIP_2) | instid1(VALU_DEP_4)
	v_xor3_b32 v21, v39, v25, v10
	v_add_nc_u32_e32 v15, 0xb54cda56, v16
	v_add_nc_u32_e32 v20, 0x646e171e, v17
	v_mad_u64_u32 v[10:11], null, 0xcd9e8d57, v13, 0
	v_xor3_b32 v13, v26, v19, v32
	v_xor3_b32 v22, v38, v34, v18
	v_mad_u64_u32 v[34:35], null, 0xcd9e8d57, v21, 0
	v_add_nc_u32_e32 v26, 0x5384540f, v16
	s_delay_alu instid0(VALU_DEP_4) | instskip(NEXT) | instid1(VALU_DEP_4)
	v_mad_u64_u32 v[18:19], null, 0xd2511f53, v13, 0
	v_mad_u64_u32 v[36:37], null, 0xd2511f53, v22, 0
	v_xor3_b32 v12, v38, v11, v12
	v_xor3_b32 v13, v15, v35, v10
	v_add_nc_u32_e32 v38, 0x1fd5c5a3, v17
	v_add_co_u32 v32, null, 0xf1bbcdc8, v16
	v_xor3_b32 v21, v39, v19, v23
	v_xor3_b32 v23, v20, v37, v18
	v_mad_u64_u32 v[10:11], null, 0xd2511f53, v12, 0
	v_mad_u64_u32 v[18:19], null, 0xd2511f53, v13, 0
	s_delay_alu instid0(VALU_DEP_4) | instskip(NEXT) | instid1(VALU_DEP_4)
	v_mad_u64_u32 v[12:13], null, 0xcd9e8d57, v21, 0
	v_mad_u64_u32 v[21:22], null, 0xcd9e8d57, v23, 0
	s_delay_alu instid0(VALU_DEP_4) | instskip(NEXT) | instid1(VALU_DEP_4)
	v_xor3_b32 v20, v20, v11, v24
	v_xor3_b32 v23, v38, v19, v10
	s_delay_alu instid0(VALU_DEP_4) | instskip(NEXT) | instid1(VALU_DEP_3)
	v_xor3_b32 v15, v15, v13, v33
	v_mad_u64_u32 v[10:11], null, 0xcd9e8d57, v20, 0
	v_xor3_b32 v22, v26, v22, v12
	s_delay_alu instid0(VALU_DEP_4) | instskip(NEXT) | instid1(VALU_DEP_4)
	v_mad_u64_u32 v[19:20], null, 0xcd9e8d57, v23, 0
	v_mad_u64_u32 v[12:13], null, 0xd2511f53, v15, 0
	s_delay_alu instid0(VALU_DEP_3)
	v_mad_u64_u32 v[24:25], null, 0xd2511f53, v22, 0
	v_add_nc_u32_e32 v33, 0xdb3d7428, v17
	v_xor3_b32 v11, v26, v11, v34
	v_xor3_b32 v15, v32, v20, v10
	v_add_nc_u32_e32 v34, 0x96a522ad, v17
	v_xor3_b32 v13, v38, v13, v36
	v_and_b32_e32 v17, 3, v14
	v_xor3_b32 v20, v33, v25, v12
	v_mad_u64_u32 v[22:23], null, 0xd2511f53, v11, 0
	v_mad_u64_u32 v[10:11], null, 0xd2511f53, v15, 0
	;; [unrolled: 1-line block ×3, first 2 shown]
	s_delay_alu instid0(VALU_DEP_4) | instskip(SKIP_1) | instid1(VALU_DEP_4)
	v_mad_u64_u32 v[12:13], null, 0xcd9e8d57, v20, 0
	v_add_nc_u32_e32 v20, 0x8ff34781, v16
                                        ; implicit-def: $vgpr15
	v_xor3_b32 v16, v11, v22, v34
	s_delay_alu instid0(VALU_DEP_2)
	v_xor3_b32 v11, v13, v25, v20
	v_cmpx_lt_i32_e32 1, v17
	s_xor_b32 s0, exec_lo, s0
	s_cbranch_execz .LBB63_51
; %bb.46:                               ;   in Loop: Header=BB63_3 Depth=1
	s_mov_b32 s1, exec_lo
                                        ; implicit-def: $vgpr15
	v_cmpx_lt_i32_e32 2, v17
	s_xor_b32 s1, exec_lo, s1
; %bb.47:                               ;   in Loop: Header=BB63_3 Depth=1
	v_xor3_b32 v13, v32, v26, v21
                                        ; implicit-def: $vgpr16
	s_delay_alu instid0(VALU_DEP_1) | instskip(NEXT) | instid1(VALU_DEP_1)
	v_mul_hi_u32 v13, 0xd2511f53, v13
	v_xor3_b32 v15, v13, v24, v34
; %bb.48:                               ;   in Loop: Header=BB63_3 Depth=1
	s_and_not1_saveexec_b32 s1, s1
; %bb.49:                               ;   in Loop: Header=BB63_3 Depth=1
	v_dual_mov_b32 v15, v12 :: v_dual_mov_b32 v12, v11
	v_dual_mov_b32 v11, v10 :: v_dual_mov_b32 v10, v16
; %bb.50:                               ;   in Loop: Header=BB63_3 Depth=1
	s_or_b32 exec_lo, exec_lo, s1
                                        ; implicit-def: $vgpr18_vgpr19
                                        ; implicit-def: $vgpr17
                                        ; implicit-def: $vgpr16
                                        ; implicit-def: $vgpr33
                                        ; implicit-def: $vgpr22_vgpr23
                                        ; implicit-def: $vgpr19_vgpr20
                                        ; implicit-def: $vgpr20
.LBB63_51:                              ;   in Loop: Header=BB63_3 Depth=1
	s_and_not1_saveexec_b32 s0, s0
	s_cbranch_execz .LBB63_55
; %bb.52:                               ;   in Loop: Header=BB63_3 Depth=1
	v_xor3_b32 v12, v33, v23, v18
	v_cmp_eq_u32_e32 vcc_lo, 1, v17
	v_mov_b32_e32 v15, v10
	s_delay_alu instid0(VALU_DEP_3) | instskip(SKIP_1) | instid1(VALU_DEP_2)
	v_mad_u64_u32 v[13:14], null, 0xcd9e8d57, v12, 0
	v_mov_b32_e32 v12, v16
	v_xor3_b32 v17, v14, v19, v20
	s_delay_alu instid0(VALU_DEP_3)
	v_mov_b32_e32 v14, v13
	s_and_saveexec_b32 s1, vcc_lo
; %bb.53:                               ;   in Loop: Header=BB63_3 Depth=1
	v_dual_mov_b32 v15, v11 :: v_dual_mov_b32 v12, v10
	v_dual_mov_b32 v14, v16 :: v_dual_mov_b32 v17, v13
; %bb.54:                               ;   in Loop: Header=BB63_3 Depth=1
	s_or_b32 exec_lo, exec_lo, s1
	s_delay_alu instid0(VALU_DEP_1)
	v_dual_mov_b32 v10, v17 :: v_dual_mov_b32 v11, v14
.LBB63_55:                              ;   in Loop: Header=BB63_3 Depth=1
	s_or_b32 exec_lo, exec_lo, s0
	v_min_i32_e32 v13, 4, v29
	s_mov_b32 s1, 0
	s_mov_b32 s40, 0
	;; [unrolled: 1-line block ×3, first 2 shown]
                                        ; implicit-def: $sgpr19
                                        ; implicit-def: $sgpr37
                                        ; implicit-def: $sgpr38
	s_mov_b32 s0, exec_lo
	v_cmpx_lt_i32_e32 2, v13
	s_xor_b32 s39, exec_lo, s0
	s_cbranch_execz .LBB63_67
; %bb.56:                               ;   in Loop: Header=BB63_3 Depth=1
	s_mov_b32 s0, -1
	s_mov_b32 s41, 0
	s_mov_b32 s37, exec_lo
                                        ; implicit-def: $sgpr18
                                        ; implicit-def: $sgpr19
	v_cmpx_lt_i32_e32 3, v13
	s_cbranch_execz .LBB63_62
; %bb.57:                               ;   in Loop: Header=BB63_3 Depth=1
	s_mov_b32 s0, 0
	s_mov_b32 s41, -1
	s_mov_b32 s38, exec_lo
                                        ; implicit-def: $sgpr18
                                        ; implicit-def: $sgpr19
	v_cmpx_eq_u32_e32 4, v13
	s_cbranch_execz .LBB63_61
; %bb.58:                               ;   in Loop: Header=BB63_3 Depth=1
	v_cmp_le_f32_e32 vcc_lo, 0, v31
	v_cmp_ge_f32_e64 s0, 1.0, v31
	s_mov_b32 s18, 0
	s_delay_alu instid0(VALU_DEP_1)
	s_and_b32 s41, vcc_lo, s0
	s_mov_b32 s0, 0
	s_and_saveexec_b32 s19, s41
	s_cbranch_execz .LBB63_60
; %bb.59:                               ;   in Loop: Header=BB63_3 Depth=1
	v_cvt_f32_u32_e32 v14, v15
	v_lshlrev_b64 v[8:9], 1, v[8:9]
	s_mov_b32 s0, exec_lo
	s_delay_alu instid0(VALU_DEP_2) | instskip(NEXT) | instid1(VALU_DEP_2)
	v_fmaak_f32 v14, 0x2f800000, v14, 0x2f800000
	v_add_co_u32 v8, vcc_lo, s10, v8
	s_delay_alu instid0(VALU_DEP_3) | instskip(NEXT) | instid1(VALU_DEP_3)
	v_add_co_ci_u32_e32 v9, vcc_lo, s11, v9, vcc_lo
	v_cmp_le_f32_e32 vcc_lo, v14, v31
	v_cndmask_b32_e64 v14, 0, 1, vcc_lo
	global_store_b16 v[8:9], v14, off
.LBB63_60:                              ;   in Loop: Header=BB63_3 Depth=1
	s_or_b32 exec_lo, exec_lo, s19
	s_mov_b32 s19, -1
	s_xor_b32 s41, exec_lo, -1
	s_and_b32 s0, s0, exec_lo
.LBB63_61:                              ;   in Loop: Header=BB63_3 Depth=1
	s_or_b32 exec_lo, exec_lo, s38
	s_delay_alu instid0(SALU_CYCLE_1)
	s_and_b32 s41, s41, exec_lo
	s_or_not1_b32 s0, s0, exec_lo
.LBB63_62:                              ;   in Loop: Header=BB63_3 Depth=1
	s_or_b32 exec_lo, exec_lo, s37
	s_mov_b32 s38, s18
	s_and_saveexec_b32 s37, s0
	s_cbranch_execz .LBB63_66
; %bb.63:                               ;   in Loop: Header=BB63_3 Depth=1
	v_cmp_le_f32_e32 vcc_lo, 0, v30
	v_cmp_ge_f32_e64 s0, 1.0, v30
	s_delay_alu instid0(VALU_DEP_1) | instskip(SKIP_2) | instid1(SALU_CYCLE_1)
	s_and_b32 s38, vcc_lo, s0
	s_mov_b32 s0, 0
	s_and_saveexec_b32 s40, s38
	s_xor_b32 s38, exec_lo, s40
	s_cbranch_execz .LBB63_65
; %bb.64:                               ;   in Loop: Header=BB63_3 Depth=1
	v_cvt_f32_u32_e32 v9, v12
	v_mov_b32_e32 v8, v4
	s_mov_b32 s0, exec_lo
	s_delay_alu instid0(VALU_DEP_2) | instskip(NEXT) | instid1(VALU_DEP_2)
	v_fmaak_f32 v9, 0x2f800000, v9, 0x2f800000
	v_lshlrev_b64 v[7:8], 1, v[7:8]
	s_delay_alu instid0(VALU_DEP_1) | instskip(NEXT) | instid1(VALU_DEP_2)
	v_add_co_u32 v7, vcc_lo, s10, v7
	v_add_co_ci_u32_e32 v8, vcc_lo, s11, v8, vcc_lo
	s_delay_alu instid0(VALU_DEP_4)
	v_cmp_le_f32_e32 vcc_lo, v9, v30
	v_cndmask_b32_e64 v9, 0, 1, vcc_lo
	global_store_b16 v[7:8], v9, off
.LBB63_65:                              ;   in Loop: Header=BB63_3 Depth=1
	s_or_b32 exec_lo, exec_lo, s38
	s_delay_alu instid0(SALU_CYCLE_1)
	s_and_not1_b32 s38, s18, exec_lo
	s_or_b32 s18, s18, exec_lo
	s_and_not1_b32 s19, s19, exec_lo
	s_and_b32 s40, s0, exec_lo
.LBB63_66:                              ;   in Loop: Header=BB63_3 Depth=1
	s_or_b32 exec_lo, exec_lo, s37
	s_delay_alu instid0(SALU_CYCLE_1)
	s_and_b32 s38, s38, exec_lo
	s_and_b32 s37, s18, exec_lo
	;; [unrolled: 1-line block ×5, first 2 shown]
.LBB63_67:                              ;   in Loop: Header=BB63_3 Depth=1
	s_and_not1_saveexec_b32 s0, s39
; %bb.68:                               ;   in Loop: Header=BB63_3 Depth=1
	v_cmp_lt_i32_e32 vcc_lo, 1, v13
	s_and_not1_b32 s39, s40, exec_lo
	s_mov_b32 s1, exec_lo
	s_and_not1_b32 s38, s38, exec_lo
	s_and_not1_b32 s37, s37, exec_lo
	s_and_b32 s40, vcc_lo, exec_lo
	s_and_not1_b32 s19, s19, exec_lo
	s_or_b32 s40, s39, s40
; %bb.69:                               ;   in Loop: Header=BB63_3 Depth=1
	s_or_b32 exec_lo, exec_lo, s0
	s_mov_b32 s0, 0
	s_mov_b32 s39, s38
	s_and_saveexec_b32 s41, s40
	s_cbranch_execnz .LBB63_72
; %bb.70:                               ;   in Loop: Header=BB63_3 Depth=1
	s_or_b32 exec_lo, exec_lo, s41
	s_and_saveexec_b32 s40, s1
	s_cbranch_execnz .LBB63_75
.LBB63_71:                              ;   in Loop: Header=BB63_3 Depth=1
	s_or_b32 exec_lo, exec_lo, s40
	s_and_saveexec_b32 s1, s0
	s_cbranch_execnz .LBB63_76
	s_branch .LBB63_79
.LBB63_72:                              ;   in Loop: Header=BB63_3 Depth=1
	v_cmp_le_f32_e32 vcc_lo, 0, v3
	v_cmp_ge_f32_e64 s0, 1.0, v3
	s_delay_alu instid0(VALU_DEP_1) | instskip(SKIP_2) | instid1(SALU_CYCLE_1)
	s_and_b32 s39, vcc_lo, s0
	s_mov_b32 s0, 0
	s_and_saveexec_b32 s40, s39
	s_xor_b32 s39, exec_lo, s40
	s_cbranch_execz .LBB63_74
; %bb.73:                               ;   in Loop: Header=BB63_3 Depth=1
	v_cvt_f32_u32_e32 v8, v11
	v_mov_b32_e32 v7, v4
	s_mov_b32 s0, exec_lo
	s_delay_alu instid0(VALU_DEP_2) | instskip(NEXT) | instid1(VALU_DEP_2)
	v_fmaak_f32 v8, 0x2f800000, v8, 0x2f800000
	v_lshlrev_b64 v[6:7], 1, v[6:7]
	s_delay_alu instid0(VALU_DEP_1) | instskip(NEXT) | instid1(VALU_DEP_2)
	v_add_co_u32 v6, vcc_lo, s10, v6
	v_add_co_ci_u32_e32 v7, vcc_lo, s11, v7, vcc_lo
	s_delay_alu instid0(VALU_DEP_4)
	v_cmp_le_f32_e32 vcc_lo, v8, v3
	v_cndmask_b32_e64 v3, 0, 1, vcc_lo
	global_store_b16 v[6:7], v3, off
.LBB63_74:                              ;   in Loop: Header=BB63_3 Depth=1
	s_or_b32 exec_lo, exec_lo, s39
	s_delay_alu instid0(SALU_CYCLE_1)
	s_and_not1_b32 s39, s38, exec_lo
	s_or_b32 s38, s38, exec_lo
	s_and_not1_b32 s37, s37, exec_lo
	s_and_not1_b32 s19, s19, exec_lo
	s_and_b32 s0, s0, exec_lo
	s_and_not1_b32 s1, s1, exec_lo
	s_or_b32 exec_lo, exec_lo, s41
	s_and_saveexec_b32 s40, s1
	s_cbranch_execz .LBB63_71
.LBB63_75:                              ;   in Loop: Header=BB63_3 Depth=1
	v_cmp_eq_u32_e32 vcc_lo, 1, v13
	s_and_not1_b32 s0, s0, exec_lo
	s_and_not1_b32 s39, s39, exec_lo
	;; [unrolled: 1-line block ×4, first 2 shown]
	s_and_b32 s1, vcc_lo, exec_lo
	s_and_not1_b32 s19, s19, exec_lo
	s_or_b32 s18, s18, exec_lo
	s_or_b32 s0, s0, s1
	s_or_b32 exec_lo, exec_lo, s40
	s_and_saveexec_b32 s1, s0
	s_cbranch_execz .LBB63_79
.LBB63_76:                              ;   in Loop: Header=BB63_3 Depth=1
	v_cmp_le_f32_e32 vcc_lo, 0, v0
	v_cmp_ge_f32_e64 s0, 1.0, v0
	s_delay_alu instid0(VALU_DEP_1)
	s_and_b32 s41, vcc_lo, s0
	s_mov_b32 s0, 0
	s_and_saveexec_b32 s40, s41
	s_cbranch_execz .LBB63_78
; %bb.77:                               ;   in Loop: Header=BB63_3 Depth=1
	v_cvt_f32_u32_e32 v3, v10
	v_mov_b32_e32 v6, v4
	s_mov_b32 s0, exec_lo
	s_delay_alu instid0(VALU_DEP_2) | instskip(NEXT) | instid1(VALU_DEP_2)
	v_fmaak_f32 v3, 0x2f800000, v3, 0x2f800000
	v_lshlrev_b64 v[5:6], 1, v[5:6]
	s_delay_alu instid0(VALU_DEP_1) | instskip(NEXT) | instid1(VALU_DEP_2)
	v_add_co_u32 v5, vcc_lo, s10, v5
	v_add_co_ci_u32_e32 v6, vcc_lo, s11, v6, vcc_lo
	s_delay_alu instid0(VALU_DEP_4)
	v_cmp_le_f32_e32 vcc_lo, v3, v0
	v_cndmask_b32_e64 v0, 0, 1, vcc_lo
	global_store_b16 v[5:6], v0, off
.LBB63_78:                              ;   in Loop: Header=BB63_3 Depth=1
	s_or_b32 exec_lo, exec_lo, s40
	s_delay_alu instid0(SALU_CYCLE_1)
	s_and_not1_b32 s18, s18, exec_lo
	s_and_b32 s0, s0, exec_lo
	s_or_b32 s39, s39, exec_lo
	s_and_not1_b32 s38, s38, exec_lo
	s_and_not1_b32 s37, s37, exec_lo
	;; [unrolled: 1-line block ×3, first 2 shown]
	s_or_b32 s18, s18, s0
.LBB63_79:                              ;   in Loop: Header=BB63_3 Depth=1
	s_or_b32 exec_lo, exec_lo, s1
	s_delay_alu instid0(SALU_CYCLE_1)
	s_and_not1_b32 s1, s36, exec_lo
	s_and_b32 s36, s39, exec_lo
	s_and_not1_b32 s34, s34, exec_lo
	s_and_b32 s38, s38, exec_lo
	s_or_b32 s36, s1, s36
	s_and_not1_b32 s1, s35, exec_lo
	s_and_b32 s35, s37, exec_lo
	s_and_not1_b32 s33, s33, exec_lo
	s_and_b32 s19, s19, exec_lo
	s_mov_b32 s0, -1
	s_or_b32 s34, s34, s38
	s_or_b32 s35, s1, s35
	;; [unrolled: 1-line block ×3, first 2 shown]
	s_and_saveexec_b32 s1, s18
	s_cbranch_execz .LBB63_2
; %bb.80:                               ;   in Loop: Header=BB63_3 Depth=1
	v_add_nc_u32_e32 v27, s26, v27
	s_and_not1_b32 s36, s36, exec_lo
	s_and_not1_b32 s34, s34, exec_lo
	;; [unrolled: 1-line block ×4, first 2 shown]
	v_cmp_le_u32_e32 vcc_lo, s20, v27
	s_or_not1_b32 s0, vcc_lo, exec_lo
	s_branch .LBB63_2
.LBB63_81:
	s_or_b32 exec_lo, exec_lo, s13
	s_xor_b32 s3, s30, -1
	s_xor_b32 s4, s31, -1
	;; [unrolled: 1-line block ×3, first 2 shown]
	s_mov_b32 s1, 0
	s_and_saveexec_b32 s2, s0
	s_delay_alu instid0(SALU_CYCLE_1)
	s_xor_b32 s0, exec_lo, s2
	s_cbranch_execz .LBB63_90
; %bb.82:
	s_mov_b32 s2, 0
	s_and_saveexec_b32 s1, s4
	s_delay_alu instid0(SALU_CYCLE_1)
	s_xor_b32 s1, exec_lo, s1
	s_cbranch_execz .LBB63_88
; %bb.83:
	s_and_saveexec_b32 s4, s3
	s_delay_alu instid0(SALU_CYCLE_1)
	s_xor_b32 s3, exec_lo, s4
	s_cbranch_execz .LBB63_86
; %bb.84:
	s_and_saveexec_b32 s4, s12
	s_delay_alu instid0(SALU_CYCLE_1)
	s_xor_b32 s4, exec_lo, s4
	s_cbranch_execnz .LBB63_104
.LBB63_85:
	s_or_b32 exec_lo, exec_lo, s4
	s_delay_alu instid0(SALU_CYCLE_1)
	s_and_b32 s2, s2, exec_lo
.LBB63_86:
	s_and_not1_saveexec_b32 s3, s3
	s_cbranch_execnz .LBB63_100
.LBB63_87:
	s_or_b32 exec_lo, exec_lo, s3
	s_delay_alu instid0(SALU_CYCLE_1)
	s_and_b32 s2, s2, exec_lo
.LBB63_88:
	s_and_not1_saveexec_b32 s1, s1
	s_cbranch_execnz .LBB63_96
.LBB63_89:
	s_or_b32 exec_lo, exec_lo, s1
	s_delay_alu instid0(SALU_CYCLE_1)
	s_and_b32 s1, s2, exec_lo
.LBB63_90:
	s_and_not1_saveexec_b32 s0, s0
	s_cbranch_execnz .LBB63_94
; %bb.91:
	s_or_b32 exec_lo, exec_lo, s0
	s_delay_alu instid0(SALU_CYCLE_1)
	s_and_b32 exec_lo, exec_lo, s1
.LBB63_92:
	; divergent unreachable
.LBB63_93:
	s_nop 0
	s_sendmsg sendmsg(MSG_DEALLOC_VGPRS)
	s_endpgm
.LBB63_94:
	s_cbranch_execnz .LBB63_98
; %bb.95:
	s_or_b32 s1, s1, exec_lo
	s_or_b32 exec_lo, exec_lo, s0
	s_delay_alu instid0(SALU_CYCLE_1)
	s_and_b32 exec_lo, exec_lo, s1
	s_cbranch_execnz .LBB63_92
	s_branch .LBB63_93
.LBB63_96:
	s_cbranch_execnz .LBB63_102
; %bb.97:
	s_or_b32 s2, s2, exec_lo
	s_branch .LBB63_89
.LBB63_98:
	s_trap 2
	s_sendmsg_rtn_b32 s0, sendmsg(MSG_RTN_GET_DOORBELL)
	s_mov_b32 ttmp2, m0
	s_waitcnt lgkmcnt(0)
	s_and_b32 s0, s0, 0x3ff
	s_delay_alu instid0(SALU_CYCLE_1) | instskip(NEXT) | instid1(SALU_CYCLE_1)
	s_bitset1_b32 s0, 10
	s_mov_b32 m0, s0
	s_sendmsg sendmsg(MSG_INTERRUPT)
	s_mov_b32 m0, ttmp2
.LBB63_99:                              ; =>This Inner Loop Header: Depth=1
	s_sethalt 5
	s_branch .LBB63_99
.LBB63_100:
	s_cbranch_execnz .LBB63_106
; %bb.101:
	s_or_b32 s2, s2, exec_lo
	s_branch .LBB63_87
.LBB63_102:
	s_trap 2
	s_sendmsg_rtn_b32 s0, sendmsg(MSG_RTN_GET_DOORBELL)
	s_mov_b32 ttmp2, m0
	s_waitcnt lgkmcnt(0)
	s_and_b32 s0, s0, 0x3ff
	s_delay_alu instid0(SALU_CYCLE_1) | instskip(NEXT) | instid1(SALU_CYCLE_1)
	s_bitset1_b32 s0, 10
	s_mov_b32 m0, s0
	s_sendmsg sendmsg(MSG_INTERRUPT)
	s_mov_b32 m0, ttmp2
.LBB63_103:                             ; =>This Inner Loop Header: Depth=1
	s_sethalt 5
	s_branch .LBB63_103
.LBB63_104:
	s_cbranch_execnz .LBB63_108
; %bb.105:
	s_mov_b32 s2, exec_lo
	s_branch .LBB63_85
.LBB63_106:
	s_trap 2
	s_sendmsg_rtn_b32 s0, sendmsg(MSG_RTN_GET_DOORBELL)
	s_mov_b32 ttmp2, m0
	s_waitcnt lgkmcnt(0)
	s_and_b32 s0, s0, 0x3ff
	s_delay_alu instid0(SALU_CYCLE_1) | instskip(NEXT) | instid1(SALU_CYCLE_1)
	s_bitset1_b32 s0, 10
	s_mov_b32 m0, s0
	s_sendmsg sendmsg(MSG_INTERRUPT)
	s_mov_b32 m0, ttmp2
.LBB63_107:                             ; =>This Inner Loop Header: Depth=1
	s_sethalt 5
	s_branch .LBB63_107
.LBB63_108:
	s_trap 2
	s_sendmsg_rtn_b32 s0, sendmsg(MSG_RTN_GET_DOORBELL)
	s_mov_b32 ttmp2, m0
	s_waitcnt lgkmcnt(0)
	s_and_b32 s0, s0, 0x3ff
	s_delay_alu instid0(SALU_CYCLE_1) | instskip(NEXT) | instid1(SALU_CYCLE_1)
	s_bitset1_b32 s0, 10
	s_mov_b32 m0, s0
	s_sendmsg sendmsg(MSG_INTERRUPT)
	s_mov_b32 m0, ttmp2
.LBB63_109:                             ; =>This Inner Loop Header: Depth=1
	s_sethalt 5
	s_branch .LBB63_109
	.section	.rodata,"a",@progbits
	.p2align	6, 0x0
	.amdhsa_kernel _ZN2at4cuda12_GLOBAL__N_121kernelPointwiseApply2IZNS_6native9templates4cuda28bernoulli_tensor_cuda_kernelIsfEEvRKNS_10TensorBaseES9_NS_15PhiloxCudaStateEEUliRsSB_SB_SB_RKfSD_SD_SD_E_sSC_jLin1ELin1ELi4ELi512ELi2EEEvNS0_6detail10TensorInfoIT0_T2_EENSG_IT1_SI_EESI_T_
		.amdhsa_group_segment_fixed_size 0
		.amdhsa_private_segment_fixed_size 0
		.amdhsa_kernarg_size 728
		.amdhsa_user_sgpr_count 15
		.amdhsa_user_sgpr_dispatch_ptr 0
		.amdhsa_user_sgpr_queue_ptr 0
		.amdhsa_user_sgpr_kernarg_segment_ptr 1
		.amdhsa_user_sgpr_dispatch_id 0
		.amdhsa_user_sgpr_private_segment_size 0
		.amdhsa_wavefront_size32 1
		.amdhsa_uses_dynamic_stack 0
		.amdhsa_enable_private_segment 0
		.amdhsa_system_sgpr_workgroup_id_x 1
		.amdhsa_system_sgpr_workgroup_id_y 0
		.amdhsa_system_sgpr_workgroup_id_z 0
		.amdhsa_system_sgpr_workgroup_info 0
		.amdhsa_system_vgpr_workitem_id 0
		.amdhsa_next_free_vgpr 40
		.amdhsa_next_free_sgpr 42
		.amdhsa_reserve_vcc 1
		.amdhsa_float_round_mode_32 0
		.amdhsa_float_round_mode_16_64 0
		.amdhsa_float_denorm_mode_32 3
		.amdhsa_float_denorm_mode_16_64 3
		.amdhsa_dx10_clamp 1
		.amdhsa_ieee_mode 1
		.amdhsa_fp16_overflow 0
		.amdhsa_workgroup_processor_mode 1
		.amdhsa_memory_ordered 1
		.amdhsa_forward_progress 0
		.amdhsa_shared_vgpr_count 0
		.amdhsa_exception_fp_ieee_invalid_op 0
		.amdhsa_exception_fp_denorm_src 0
		.amdhsa_exception_fp_ieee_div_zero 0
		.amdhsa_exception_fp_ieee_overflow 0
		.amdhsa_exception_fp_ieee_underflow 0
		.amdhsa_exception_fp_ieee_inexact 0
		.amdhsa_exception_int_div_zero 0
	.end_amdhsa_kernel
	.section	.text._ZN2at4cuda12_GLOBAL__N_121kernelPointwiseApply2IZNS_6native9templates4cuda28bernoulli_tensor_cuda_kernelIsfEEvRKNS_10TensorBaseES9_NS_15PhiloxCudaStateEEUliRsSB_SB_SB_RKfSD_SD_SD_E_sSC_jLin1ELin1ELi4ELi512ELi2EEEvNS0_6detail10TensorInfoIT0_T2_EENSG_IT1_SI_EESI_T_,"axG",@progbits,_ZN2at4cuda12_GLOBAL__N_121kernelPointwiseApply2IZNS_6native9templates4cuda28bernoulli_tensor_cuda_kernelIsfEEvRKNS_10TensorBaseES9_NS_15PhiloxCudaStateEEUliRsSB_SB_SB_RKfSD_SD_SD_E_sSC_jLin1ELin1ELi4ELi512ELi2EEEvNS0_6detail10TensorInfoIT0_T2_EENSG_IT1_SI_EESI_T_,comdat
.Lfunc_end63:
	.size	_ZN2at4cuda12_GLOBAL__N_121kernelPointwiseApply2IZNS_6native9templates4cuda28bernoulli_tensor_cuda_kernelIsfEEvRKNS_10TensorBaseES9_NS_15PhiloxCudaStateEEUliRsSB_SB_SB_RKfSD_SD_SD_E_sSC_jLin1ELin1ELi4ELi512ELi2EEEvNS0_6detail10TensorInfoIT0_T2_EENSG_IT1_SI_EESI_T_, .Lfunc_end63-_ZN2at4cuda12_GLOBAL__N_121kernelPointwiseApply2IZNS_6native9templates4cuda28bernoulli_tensor_cuda_kernelIsfEEvRKNS_10TensorBaseES9_NS_15PhiloxCudaStateEEUliRsSB_SB_SB_RKfSD_SD_SD_E_sSC_jLin1ELin1ELi4ELi512ELi2EEEvNS0_6detail10TensorInfoIT0_T2_EENSG_IT1_SI_EESI_T_
                                        ; -- End function
	.section	.AMDGPU.csdata,"",@progbits
; Kernel info:
; codeLenInByte = 5384
; NumSgprs: 44
; NumVgprs: 40
; ScratchSize: 0
; MemoryBound: 0
; FloatMode: 240
; IeeeMode: 1
; LDSByteSize: 0 bytes/workgroup (compile time only)
; SGPRBlocks: 5
; VGPRBlocks: 4
; NumSGPRsForWavesPerEU: 44
; NumVGPRsForWavesPerEU: 40
; Occupancy: 16
; WaveLimiterHint : 1
; COMPUTE_PGM_RSRC2:SCRATCH_EN: 0
; COMPUTE_PGM_RSRC2:USER_SGPR: 15
; COMPUTE_PGM_RSRC2:TRAP_HANDLER: 0
; COMPUTE_PGM_RSRC2:TGID_X_EN: 1
; COMPUTE_PGM_RSRC2:TGID_Y_EN: 0
; COMPUTE_PGM_RSRC2:TGID_Z_EN: 0
; COMPUTE_PGM_RSRC2:TIDIG_COMP_CNT: 0
	.section	.text._ZN2at4cuda12_GLOBAL__N_121kernelPointwiseApply2IZNS_6native9templates4cuda28bernoulli_tensor_cuda_kernelIsfEEvRKNS_10TensorBaseES9_NS_15PhiloxCudaStateEEUliRsSB_SB_SB_RKfSD_SD_SD_E_sSC_mLi1ELi1ELi4ELi512ELi2EEEvNS0_6detail10TensorInfoIT0_T2_EENSG_IT1_SI_EESI_T_,"axG",@progbits,_ZN2at4cuda12_GLOBAL__N_121kernelPointwiseApply2IZNS_6native9templates4cuda28bernoulli_tensor_cuda_kernelIsfEEvRKNS_10TensorBaseES9_NS_15PhiloxCudaStateEEUliRsSB_SB_SB_RKfSD_SD_SD_E_sSC_mLi1ELi1ELi4ELi512ELi2EEEvNS0_6detail10TensorInfoIT0_T2_EENSG_IT1_SI_EESI_T_,comdat
	.globl	_ZN2at4cuda12_GLOBAL__N_121kernelPointwiseApply2IZNS_6native9templates4cuda28bernoulli_tensor_cuda_kernelIsfEEvRKNS_10TensorBaseES9_NS_15PhiloxCudaStateEEUliRsSB_SB_SB_RKfSD_SD_SD_E_sSC_mLi1ELi1ELi4ELi512ELi2EEEvNS0_6detail10TensorInfoIT0_T2_EENSG_IT1_SI_EESI_T_ ; -- Begin function _ZN2at4cuda12_GLOBAL__N_121kernelPointwiseApply2IZNS_6native9templates4cuda28bernoulli_tensor_cuda_kernelIsfEEvRKNS_10TensorBaseES9_NS_15PhiloxCudaStateEEUliRsSB_SB_SB_RKfSD_SD_SD_E_sSC_mLi1ELi1ELi4ELi512ELi2EEEvNS0_6detail10TensorInfoIT0_T2_EENSG_IT1_SI_EESI_T_
	.p2align	8
	.type	_ZN2at4cuda12_GLOBAL__N_121kernelPointwiseApply2IZNS_6native9templates4cuda28bernoulli_tensor_cuda_kernelIsfEEvRKNS_10TensorBaseES9_NS_15PhiloxCudaStateEEUliRsSB_SB_SB_RKfSD_SD_SD_E_sSC_mLi1ELi1ELi4ELi512ELi2EEEvNS0_6detail10TensorInfoIT0_T2_EENSG_IT1_SI_EESI_T_,@function
_ZN2at4cuda12_GLOBAL__N_121kernelPointwiseApply2IZNS_6native9templates4cuda28bernoulli_tensor_cuda_kernelIsfEEvRKNS_10TensorBaseES9_NS_15PhiloxCudaStateEEUliRsSB_SB_SB_RKfSD_SD_SD_E_sSC_mLi1ELi1ELi4ELi512ELi2EEEvNS0_6detail10TensorInfoIT0_T2_EENSG_IT1_SI_EESI_T_: ; @_ZN2at4cuda12_GLOBAL__N_121kernelPointwiseApply2IZNS_6native9templates4cuda28bernoulli_tensor_cuda_kernelIsfEEvRKNS_10TensorBaseES9_NS_15PhiloxCudaStateEEUliRsSB_SB_SB_RKfSD_SD_SD_E_sSC_mLi1ELi1ELi4ELi512ELi2EEEvNS0_6detail10TensorInfoIT0_T2_EENSG_IT1_SI_EESI_T_
; %bb.0:
	s_clause 0x1
	s_load_b32 s4, s[0:1], 0x374
	s_load_b256 s[16:23], s[0:1], 0x340
	s_add_u32 s2, s0, 0x368
	s_addc_u32 s3, s1, 0
	s_mov_b32 s5, exec_lo
	v_mov_b32_e32 v3, 0
	s_waitcnt lgkmcnt(0)
	s_and_b32 s4, s4, 0xffff
	s_delay_alu instid0(SALU_CYCLE_1) | instskip(NEXT) | instid1(VALU_DEP_1)
	v_mad_u64_u32 v[1:2], null, s15, s4, v[0:1]
	v_lshlrev_b32_e32 v2, 2, v1
	s_delay_alu instid0(VALU_DEP_1)
	v_cmpx_gt_u64_e64 s[16:17], v[2:3]
	s_cbranch_execz .LBB64_51
; %bb.1:
	s_load_b64 s[10:11], s[0:1], 0xd0
	s_load_b32 s2, s[2:3], 0x0
	s_clause 0x3
	s_load_b32 s3, s[0:1], 0x360
	s_load_b64 s[6:7], s[0:1], 0x0
	s_load_b64 s[8:9], s[0:1], 0x1a0
	;; [unrolled: 1-line block ×3, first 2 shown]
	v_mad_u64_u32 v[4:5], null, 0xcd9e8d57, v1, 0
	v_add_co_u32 v15, s12, v2, 2
	s_delay_alu instid0(VALU_DEP_1) | instskip(SKIP_1) | instid1(VALU_DEP_4)
	v_add_co_ci_u32_e64 v16, null, 0, 0, s12
	v_add_co_u32 v17, s12, v2, 3
	v_mov_b32_e32 v34, v5
	v_add_co_ci_u32_e64 v18, null, 0, 0, s12
	v_sub_nc_u32_e32 v0, s16, v2
	s_mov_b32 s5, 0
	s_mov_b64 s[12:13], 0
	s_waitcnt lgkmcnt(0)
	v_mad_u64_u32 v[5:6], null, s10, v2, 0
	v_mad_u64_u32 v[7:8], null, s10, v15, 0
	;; [unrolled: 1-line block ×4, first 2 shown]
	v_mul_lo_u32 v19, s11, v15
	v_mul_lo_u32 v20, s10, v16
	v_mad_u64_u32 v[13:14], null, s11, v2, v[6:7]
	v_mul_lo_u32 v21, s11, v17
	v_mul_lo_u32 v22, s10, v18
	;; [unrolled: 1-line block ×3, first 2 shown]
	s_mul_i32 s2, s2, s4
	s_bitcmp1_b32 s3, 0
	v_add3_u32 v8, v8, v20, v19
	v_mov_b32_e32 v6, v13
	v_mad_u64_u32 v[13:14], null, s1, v2, v[10:11]
	v_add3_u32 v12, v12, v22, v21
	v_mul_lo_u32 v19, s1, v15
	v_mul_lo_u32 v20, s0, v16
	;; [unrolled: 1-line block ×3, first 2 shown]
	v_add_co_u32 v10, vcc_lo, v5, s10
	v_mov_b32_e32 v36, v13
	v_mad_u64_u32 v[13:14], null, s0, v15, 0
	v_mad_u64_u32 v[15:16], null, s0, v17, 0
	s_cselect_b32 s14, -1, 0
	s_lshl_b32 s15, s2, 2
	v_add_co_ci_u32_e32 v35, vcc_lo, s11, v6, vcc_lo
	v_add_co_u32 v37, vcc_lo, v9, s0
	s_mul_i32 s2, s11, s15
	s_mul_hi_u32 s3, s10, s15
	v_add_co_ci_u32_e32 v38, vcc_lo, s1, v36, vcc_lo
	v_add3_u32 v14, v14, v20, v19
	v_add3_u32 v16, v16, v18, v21
	s_add_i32 s24, s3, s2
	s_mul_i32 s2, s1, s15
	s_mul_hi_u32 s3, s0, s15
	s_mul_i32 s25, s10, s15
	s_add_i32 s27, s3, s2
	s_mul_i32 s28, s0, s15
	s_mov_b64 s[10:11], 0
                                        ; implicit-def: $sgpr29
                                        ; implicit-def: $sgpr31
                                        ; implicit-def: $sgpr30
                                        ; implicit-def: $sgpr26
                                        ; implicit-def: $sgpr33
                                        ; implicit-def: $sgpr35
                                        ; implicit-def: $sgpr34
                                        ; implicit-def: $sgpr36
	s_branch .LBB64_3
.LBB64_2:                               ;   in Loop: Header=BB64_3 Depth=1
	s_or_b32 exec_lo, exec_lo, s1
	s_delay_alu instid0(SALU_CYCLE_1) | instskip(NEXT) | instid1(SALU_CYCLE_1)
	s_and_b32 s0, exec_lo, s0
	s_or_b32 s5, s0, s5
	s_and_not1_b32 s0, s26, exec_lo
	s_and_b32 s1, s36, exec_lo
	s_and_not1_b32 s2, s30, exec_lo
	s_and_b32 s3, s34, exec_lo
	s_or_b32 s26, s0, s1
	s_or_b32 s30, s2, s3
	s_and_not1_b32 s0, s31, exec_lo
	s_and_b32 s1, s35, exec_lo
	s_and_not1_b32 s2, s29, exec_lo
	s_and_b32 s3, s33, exec_lo
	s_or_b32 s31, s0, s1
	s_or_b32 s29, s2, s3
	s_and_not1_b32 exec_lo, exec_lo, s5
	s_cbranch_execz .LBB64_39
.LBB64_3:                               ; =>This Inner Loop Header: Depth=1
	v_add_co_u32 v17, vcc_lo, v9, s10
	v_add_co_ci_u32_e32 v18, vcc_lo, s11, v36, vcc_lo
	v_cmp_lt_i32_e64 s0, 0, v0
	v_add_co_u32 v19, vcc_lo, v37, s10
	v_add_co_ci_u32_e32 v20, vcc_lo, s11, v38, vcc_lo
	v_cmp_lt_i32_e64 s1, 1, v0
	v_add_co_u32 v21, vcc_lo, v13, s10
	v_cndmask_b32_e64 v18, 0, v18, s0
	v_cndmask_b32_e64 v17, 0, v17, s0
	v_add_co_ci_u32_e32 v22, vcc_lo, s11, v14, vcc_lo
	v_cmp_lt_i32_e64 s2, 2, v0
	v_add_co_u32 v23, vcc_lo, v15, s10
	v_cndmask_b32_e64 v20, 0, v20, s1
	v_cndmask_b32_e64 v19, 0, v19, s1
	v_add_co_ci_u32_e32 v24, vcc_lo, s11, v16, vcc_lo
	v_cmp_lt_i32_e64 s3, 3, v0
	v_lshlrev_b64 v[17:18], 2, v[17:18]
	v_cndmask_b32_e64 v22, 0, v22, s2
	v_cndmask_b32_e64 v21, 0, v21, s2
	v_lshlrev_b64 v[19:20], 2, v[19:20]
	v_cndmask_b32_e64 v24, 0, v24, s3
	v_cndmask_b32_e64 v23, 0, v23, s3
	v_add_co_u32 v17, vcc_lo, s8, v17
	v_lshlrev_b64 v[21:22], 2, v[21:22]
	v_add_co_ci_u32_e32 v18, vcc_lo, s9, v18, vcc_lo
	v_add_co_u32 v19, vcc_lo, s8, v19
	v_lshlrev_b64 v[23:24], 2, v[23:24]
	v_add_co_ci_u32_e32 v20, vcc_lo, s9, v20, vcc_lo
	v_add_co_u32 v21, vcc_lo, s8, v21
	v_add_co_ci_u32_e32 v22, vcc_lo, s9, v22, vcc_lo
	s_delay_alu instid0(VALU_DEP_4)
	v_add_co_u32 v23, vcc_lo, s8, v23
	v_add_co_ci_u32_e32 v24, vcc_lo, s9, v24, vcc_lo
	s_clause 0x3
	global_load_b32 v39, v[17:18], off
	global_load_b32 v40, v[19:20], off
	;; [unrolled: 1-line block ×4, first 2 shown]
	v_dual_mov_b32 v22, s21 :: v_dual_mov_b32 v21, s20
	v_dual_mov_b32 v24, s19 :: v_dual_mov_b32 v23, s18
	s_and_not1_b32 vcc_lo, exec_lo, s14
	s_cbranch_vccnz .LBB64_5
; %bb.4:                                ;   in Loop: Header=BB64_3 Depth=1
	v_dual_mov_b32 v17, s20 :: v_dual_mov_b32 v18, s21
	v_dual_mov_b32 v20, s19 :: v_dual_mov_b32 v19, s18
	flat_load_b64 v[17:18], v[17:18]
	flat_load_b64 v[23:24], v[19:20]
	s_waitcnt vmcnt(1) lgkmcnt(1)
	v_add_co_u32 v21, vcc_lo, v17, s22
	v_add_co_ci_u32_e32 v22, vcc_lo, s23, v18, vcc_lo
.LBB64_5:                               ;   in Loop: Header=BB64_3 Depth=1
	s_delay_alu instid0(VALU_DEP_1)
	v_alignbit_b32 v20, v22, v21, 2
	v_lshrrev_b32_e32 v19, 2, v22
	s_waitcnt vmcnt(0) lgkmcnt(0)
	v_add_nc_u32_e32 v43, 0x9e3779b9, v23
	v_add_nc_u32_e32 v45, 0x76cf5d0a, v24
	;; [unrolled: 1-line block ×3, first 2 shown]
	v_add_co_u32 v22, vcc_lo, v20, 1
	s_delay_alu instid0(VALU_DEP_1) | instskip(SKIP_4) | instid1(VALU_DEP_4)
	v_cndmask_b32_e64 v17, 0, 1, vcc_lo
	v_add_co_ci_u32_e32 v31, vcc_lo, 0, v19, vcc_lo
	v_xor3_b32 v27, v34, v23, v19
	v_add_nc_u32_e32 v47, 0x32370b8f, v24
	v_add_nc_u32_e32 v48, 0xed9eba14, v24
	v_cmp_eq_u32_e32 vcc_lo, 0, v31
	v_add_nc_u32_e32 v49, 0x1715609d, v23
	v_add_nc_u32_e32 v50, 0xa9066899, v24
	s_mov_b32 s4, exec_lo
	v_dual_cndmask_b32 v25, 0, v17 :: v_dual_add_nc_u32 v44, 0xbb67ae85, v24
	v_mad_u64_u32 v[17:18], null, 0xd2511f53, v22, 0
	s_delay_alu instid0(VALU_DEP_2) | instskip(NEXT) | instid1(VALU_DEP_2)
	v_add_nc_u32_e32 v22, v25, v1
	v_xor_b32_e32 v26, v18, v24
	s_delay_alu instid0(VALU_DEP_2) | instskip(SKIP_2) | instid1(VALU_DEP_1)
	v_cmp_eq_u32_e32 vcc_lo, 0, v22
	v_mad_u64_u32 v[18:19], null, 0xd2511f53, v20, 0
	v_cndmask_b32_e32 v25, 0, v25, vcc_lo
	v_xor_b32_e32 v20, v25, v26
	v_mad_u64_u32 v[25:26], null, 0xd2511f53, v27, 0
	v_mad_u64_u32 v[27:28], null, 0xcd9e8d57, v22, 0
	v_add_nc_u32_e32 v22, 0x3c6ef372, v23
	s_delay_alu instid0(VALU_DEP_4) | instskip(SKIP_2) | instid1(VALU_DEP_2)
	v_mad_u64_u32 v[29:30], null, 0xcd9e8d57, v20, 0
	v_xor_b32_e32 v20, v19, v24
	v_xor3_b32 v32, v44, v26, v18
	v_mad_u64_u32 v[18:19], null, 0xcd9e8d57, v20, 0
	v_xor3_b32 v20, v28, v23, v31
	v_xor3_b32 v28, v43, v30, v27
	s_delay_alu instid0(VALU_DEP_4) | instskip(NEXT) | instid1(VALU_DEP_3)
	v_mad_u64_u32 v[26:27], null, 0xcd9e8d57, v32, 0
	v_mad_u64_u32 v[30:31], null, 0xd2511f53, v20, 0
	s_delay_alu instid0(VALU_DEP_3) | instskip(SKIP_1) | instid1(VALU_DEP_4)
	v_mad_u64_u32 v[32:33], null, 0xd2511f53, v28, 0
	v_xor3_b32 v20, v4, v19, v43
	v_xor3_b32 v43, v22, v27, v18
	s_delay_alu instid0(VALU_DEP_4) | instskip(NEXT) | instid1(VALU_DEP_3)
	v_xor3_b32 v17, v44, v31, v17
	v_mad_u64_u32 v[18:19], null, 0xd2511f53, v20, 0
	v_xor3_b32 v20, v45, v33, v30
	s_delay_alu instid0(VALU_DEP_4) | instskip(NEXT) | instid1(VALU_DEP_4)
	v_mad_u64_u32 v[27:28], null, 0xd2511f53, v43, 0
	v_mad_u64_u32 v[30:31], null, 0xcd9e8d57, v17, 0
	s_delay_alu instid0(VALU_DEP_3) | instskip(SKIP_4) | instid1(VALU_DEP_4)
	v_mad_u64_u32 v[43:44], null, 0xcd9e8d57, v20, 0
	v_xor3_b32 v19, v45, v19, v25
	v_add_nc_u32_e32 v33, 0x78dde6e4, v23
	v_xor3_b32 v25, v47, v28, v18
	v_xor3_b32 v22, v22, v31, v29
	v_mad_u64_u32 v[17:18], null, 0xcd9e8d57, v19, 0
	v_xor3_b32 v44, v46, v44, v30
	s_delay_alu instid0(VALU_DEP_4) | instskip(NEXT) | instid1(VALU_DEP_4)
	v_mad_u64_u32 v[19:20], null, 0xcd9e8d57, v25, 0
	v_mad_u64_u32 v[28:29], null, 0xd2511f53, v22, 0
	s_delay_alu instid0(VALU_DEP_3) | instskip(SKIP_1) | instid1(VALU_DEP_4)
	v_mad_u64_u32 v[30:31], null, 0xd2511f53, v44, 0
	v_xor3_b32 v22, v46, v18, v26
	v_xor3_b32 v20, v33, v20, v17
	s_delay_alu instid0(VALU_DEP_2) | instskip(SKIP_2) | instid1(VALU_DEP_4)
	v_mad_u64_u32 v[17:18], null, 0xd2511f53, v22, 0
	v_xor3_b32 v22, v47, v29, v32
	v_xor3_b32 v28, v48, v31, v28
	v_mad_u64_u32 v[31:32], null, 0xd2511f53, v20, 0
	s_delay_alu instid0(VALU_DEP_3) | instskip(NEXT) | instid1(VALU_DEP_3)
	v_mad_u64_u32 v[25:26], null, 0xcd9e8d57, v22, 0
	v_mad_u64_u32 v[44:45], null, 0xcd9e8d57, v28, 0
	v_xor3_b32 v20, v48, v18, v27
	s_delay_alu instid0(VALU_DEP_4) | instskip(SKIP_2) | instid1(VALU_DEP_4)
	v_xor3_b32 v28, v50, v32, v17
	v_add_nc_u32_e32 v22, 0xb54cda56, v23
	v_add_nc_u32_e32 v27, 0x646e171e, v24
	v_mad_u64_u32 v[17:18], null, 0xcd9e8d57, v20, 0
	v_xor3_b32 v20, v33, v26, v43
	v_xor3_b32 v29, v49, v45, v25
	v_mad_u64_u32 v[45:46], null, 0xcd9e8d57, v28, 0
	v_add_nc_u32_e32 v33, 0x5384540f, v23
	s_delay_alu instid0(VALU_DEP_4) | instskip(NEXT) | instid1(VALU_DEP_4)
	v_mad_u64_u32 v[25:26], null, 0xd2511f53, v20, 0
	v_mad_u64_u32 v[47:48], null, 0xd2511f53, v29, 0
	v_xor3_b32 v19, v49, v18, v19
	v_xor3_b32 v20, v22, v46, v17
	v_add_nc_u32_e32 v49, 0x1fd5c5a3, v24
	v_add_co_u32 v43, null, 0xf1bbcdc8, v23
	v_xor3_b32 v28, v50, v26, v30
	v_xor3_b32 v30, v27, v48, v25
	v_mad_u64_u32 v[17:18], null, 0xd2511f53, v19, 0
	v_mad_u64_u32 v[25:26], null, 0xd2511f53, v20, 0
	s_delay_alu instid0(VALU_DEP_4) | instskip(NEXT) | instid1(VALU_DEP_4)
	v_mad_u64_u32 v[19:20], null, 0xcd9e8d57, v28, 0
	v_mad_u64_u32 v[28:29], null, 0xcd9e8d57, v30, 0
	s_delay_alu instid0(VALU_DEP_4) | instskip(NEXT) | instid1(VALU_DEP_4)
	v_xor3_b32 v27, v27, v18, v31
	v_xor3_b32 v30, v49, v26, v17
	s_delay_alu instid0(VALU_DEP_4) | instskip(NEXT) | instid1(VALU_DEP_3)
	v_xor3_b32 v22, v22, v20, v44
	v_mad_u64_u32 v[17:18], null, 0xcd9e8d57, v27, 0
	v_xor3_b32 v29, v33, v29, v19
	s_delay_alu instid0(VALU_DEP_4) | instskip(NEXT) | instid1(VALU_DEP_4)
	v_mad_u64_u32 v[26:27], null, 0xcd9e8d57, v30, 0
	v_mad_u64_u32 v[19:20], null, 0xd2511f53, v22, 0
	s_delay_alu instid0(VALU_DEP_3)
	v_mad_u64_u32 v[31:32], null, 0xd2511f53, v29, 0
	v_add_nc_u32_e32 v44, 0xdb3d7428, v24
	v_xor3_b32 v18, v33, v18, v45
	v_xor3_b32 v22, v43, v27, v17
	v_add_nc_u32_e32 v45, 0x96a522ad, v24
	v_xor3_b32 v20, v49, v20, v47
	v_and_b32_e32 v24, 3, v21
	v_xor3_b32 v27, v44, v32, v19
	v_mad_u64_u32 v[29:30], null, 0xd2511f53, v18, 0
	v_mad_u64_u32 v[17:18], null, 0xd2511f53, v22, 0
	;; [unrolled: 1-line block ×3, first 2 shown]
	s_delay_alu instid0(VALU_DEP_4) | instskip(SKIP_1) | instid1(VALU_DEP_4)
	v_mad_u64_u32 v[19:20], null, 0xcd9e8d57, v27, 0
	v_add_nc_u32_e32 v27, 0x8ff34781, v23
                                        ; implicit-def: $vgpr22
	v_xor3_b32 v23, v18, v29, v45
	s_delay_alu instid0(VALU_DEP_2)
	v_xor3_b32 v18, v20, v32, v27
	v_cmpx_lt_i32_e32 1, v24
	s_xor_b32 s4, exec_lo, s4
	s_cbranch_execz .LBB64_11
; %bb.6:                                ;   in Loop: Header=BB64_3 Depth=1
	s_mov_b32 s37, exec_lo
                                        ; implicit-def: $vgpr22
	v_cmpx_lt_i32_e32 2, v24
	s_xor_b32 s37, exec_lo, s37
; %bb.7:                                ;   in Loop: Header=BB64_3 Depth=1
	v_xor3_b32 v20, v43, v33, v28
                                        ; implicit-def: $vgpr23
	s_delay_alu instid0(VALU_DEP_1) | instskip(NEXT) | instid1(VALU_DEP_1)
	v_mul_hi_u32 v20, 0xd2511f53, v20
	v_xor3_b32 v22, v20, v31, v45
; %bb.8:                                ;   in Loop: Header=BB64_3 Depth=1
	s_and_not1_saveexec_b32 s37, s37
; %bb.9:                                ;   in Loop: Header=BB64_3 Depth=1
	v_dual_mov_b32 v22, v19 :: v_dual_mov_b32 v19, v18
	v_dual_mov_b32 v18, v17 :: v_dual_mov_b32 v17, v23
; %bb.10:                               ;   in Loop: Header=BB64_3 Depth=1
	s_or_b32 exec_lo, exec_lo, s37
                                        ; implicit-def: $vgpr25_vgpr26
                                        ; implicit-def: $vgpr24
                                        ; implicit-def: $vgpr23
                                        ; implicit-def: $vgpr44
                                        ; implicit-def: $vgpr29_vgpr30
                                        ; implicit-def: $vgpr26_vgpr27
                                        ; implicit-def: $vgpr27
.LBB64_11:                              ;   in Loop: Header=BB64_3 Depth=1
	s_and_not1_saveexec_b32 s4, s4
	s_cbranch_execz .LBB64_15
; %bb.12:                               ;   in Loop: Header=BB64_3 Depth=1
	v_xor3_b32 v19, v44, v30, v25
	v_cmp_eq_u32_e32 vcc_lo, 1, v24
	v_mov_b32_e32 v22, v17
	s_delay_alu instid0(VALU_DEP_3) | instskip(SKIP_1) | instid1(VALU_DEP_2)
	v_mad_u64_u32 v[20:21], null, 0xcd9e8d57, v19, 0
	v_mov_b32_e32 v19, v23
	v_xor3_b32 v24, v21, v26, v27
	s_delay_alu instid0(VALU_DEP_3)
	v_mov_b32_e32 v21, v20
	s_and_saveexec_b32 s37, vcc_lo
; %bb.13:                               ;   in Loop: Header=BB64_3 Depth=1
	v_dual_mov_b32 v22, v18 :: v_dual_mov_b32 v19, v17
	v_dual_mov_b32 v21, v23 :: v_dual_mov_b32 v24, v20
; %bb.14:                               ;   in Loop: Header=BB64_3 Depth=1
	s_or_b32 exec_lo, exec_lo, s37
	s_delay_alu instid0(VALU_DEP_1)
	v_dual_mov_b32 v17, v24 :: v_dual_mov_b32 v18, v21
.LBB64_15:                              ;   in Loop: Header=BB64_3 Depth=1
	s_or_b32 exec_lo, exec_lo, s4
	v_min_i32_e32 v20, 4, v0
	s_mov_b32 s37, 0
	s_mov_b32 s41, 0
	s_mov_b32 s40, exec_lo
                                        ; implicit-def: $sgpr4
                                        ; implicit-def: $sgpr38
                                        ; implicit-def: $sgpr39
	s_delay_alu instid0(VALU_DEP_1)
	v_cmpx_lt_i32_e32 2, v20
	s_xor_b32 s40, exec_lo, s40
	s_cbranch_execz .LBB64_25
; %bb.16:                               ;   in Loop: Header=BB64_3 Depth=1
	s_mov_b32 s41, -1
	s_mov_b32 s39, exec_lo
                                        ; implicit-def: $sgpr38
                                        ; implicit-def: $sgpr4
	v_cmpx_lt_i32_e32 3, v20
	s_cbranch_execz .LBB64_20
; %bb.17:                               ;   in Loop: Header=BB64_3 Depth=1
	v_cmp_le_f32_e32 vcc_lo, 0, v42
	v_cmp_ge_f32_e64 s4, 1.0, v42
	s_mov_b32 s38, 0
	s_mov_b32 s41, 0
	s_delay_alu instid0(VALU_DEP_1) | instskip(NEXT) | instid1(SALU_CYCLE_1)
	s_and_b32 s42, vcc_lo, s4
	s_and_saveexec_b32 s4, s42
	s_cbranch_execz .LBB64_19
; %bb.18:                               ;   in Loop: Header=BB64_3 Depth=1
	v_add_co_u32 v21, vcc_lo, v11, s12
	v_add_co_ci_u32_e32 v23, vcc_lo, s13, v12, vcc_lo
	v_cvt_f32_u32_e32 v25, v22
	s_mov_b32 s41, exec_lo
	s_delay_alu instid0(VALU_DEP_2) | instskip(SKIP_1) | instid1(VALU_DEP_1)
	v_cndmask_b32_e64 v24, 0, v23, s3
	v_cndmask_b32_e64 v23, 0, v21, s3
	v_lshlrev_b64 v[21:22], 1, v[23:24]
	v_fmaak_f32 v23, 0x2f800000, v25, 0x2f800000
	s_delay_alu instid0(VALU_DEP_2) | instskip(NEXT) | instid1(VALU_DEP_3)
	v_add_co_u32 v21, vcc_lo, s6, v21
	v_add_co_ci_u32_e32 v22, vcc_lo, s7, v22, vcc_lo
	s_delay_alu instid0(VALU_DEP_3)
	v_cmp_le_f32_e32 vcc_lo, v23, v42
	v_cndmask_b32_e64 v23, 0, 1, vcc_lo
	global_store_b16 v[21:22], v23, off
.LBB64_19:                              ;   in Loop: Header=BB64_3 Depth=1
	s_or_b32 exec_lo, exec_lo, s4
	s_mov_b32 s4, -1
	s_or_not1_b32 s41, s41, exec_lo
.LBB64_20:                              ;   in Loop: Header=BB64_3 Depth=1
	s_or_b32 exec_lo, exec_lo, s39
	s_mov_b32 s3, 0
	s_mov_b32 s42, s38
	s_and_saveexec_b32 s39, s41
	s_cbranch_execz .LBB64_24
; %bb.21:                               ;   in Loop: Header=BB64_3 Depth=1
	v_cmp_le_f32_e32 vcc_lo, 0, v41
	v_cmp_ge_f32_e64 s3, 1.0, v41
	s_delay_alu instid0(VALU_DEP_1) | instskip(SKIP_2) | instid1(SALU_CYCLE_1)
	s_and_b32 s41, vcc_lo, s3
	s_mov_b32 s3, 0
	s_and_saveexec_b32 s42, s41
	s_xor_b32 s41, exec_lo, s42
	s_cbranch_execz .LBB64_23
; %bb.22:                               ;   in Loop: Header=BB64_3 Depth=1
	v_add_co_u32 v21, vcc_lo, v7, s12
	v_add_co_ci_u32_e32 v22, vcc_lo, s13, v8, vcc_lo
	v_cvt_f32_u32_e32 v19, v19
	s_delay_alu instid0(VALU_DEP_3) | instskip(SKIP_1) | instid1(VALU_DEP_3)
	v_cndmask_b32_e64 v21, 0, v21, s2
	s_mov_b32 s3, exec_lo
	v_cndmask_b32_e64 v22, 0, v22, s2
	s_delay_alu instid0(VALU_DEP_3) | instskip(NEXT) | instid1(VALU_DEP_2)
	v_fmaak_f32 v19, 0x2f800000, v19, 0x2f800000
	v_lshlrev_b64 v[21:22], 1, v[21:22]
	s_delay_alu instid0(VALU_DEP_1) | instskip(NEXT) | instid1(VALU_DEP_2)
	v_add_co_u32 v21, vcc_lo, s6, v21
	v_add_co_ci_u32_e32 v22, vcc_lo, s7, v22, vcc_lo
	s_delay_alu instid0(VALU_DEP_4)
	v_cmp_le_f32_e32 vcc_lo, v19, v41
	v_cndmask_b32_e64 v19, 0, 1, vcc_lo
	global_store_b16 v[21:22], v19, off
.LBB64_23:                              ;   in Loop: Header=BB64_3 Depth=1
	s_or_b32 exec_lo, exec_lo, s41
	s_delay_alu instid0(SALU_CYCLE_1)
	s_and_not1_b32 s42, s38, exec_lo
	s_or_b32 s38, s38, exec_lo
	s_and_not1_b32 s4, s4, exec_lo
	s_and_b32 s3, s3, exec_lo
.LBB64_24:                              ;   in Loop: Header=BB64_3 Depth=1
	s_or_b32 exec_lo, exec_lo, s39
	s_delay_alu instid0(SALU_CYCLE_1)
	s_and_b32 s39, s42, exec_lo
	s_and_b32 s38, s38, exec_lo
	;; [unrolled: 1-line block ×4, first 2 shown]
.LBB64_25:                              ;   in Loop: Header=BB64_3 Depth=1
	s_and_not1_saveexec_b32 s2, s40
; %bb.26:                               ;   in Loop: Header=BB64_3 Depth=1
	v_cmp_lt_i32_e32 vcc_lo, 1, v20
	s_and_not1_b32 s3, s41, exec_lo
	s_mov_b32 s37, exec_lo
	s_and_not1_b32 s39, s39, exec_lo
	s_and_not1_b32 s38, s38, exec_lo
	s_and_b32 s40, vcc_lo, exec_lo
	s_and_not1_b32 s4, s4, exec_lo
	s_or_b32 s41, s3, s40
; %bb.27:                               ;   in Loop: Header=BB64_3 Depth=1
	s_or_b32 exec_lo, exec_lo, s2
	s_mov_b32 s3, 0
	s_mov_b32 s40, 0
	;; [unrolled: 1-line block ×3, first 2 shown]
	s_and_saveexec_b32 s42, s41
	s_cbranch_execnz .LBB64_30
; %bb.28:                               ;   in Loop: Header=BB64_3 Depth=1
	s_or_b32 exec_lo, exec_lo, s42
	s_and_saveexec_b32 s1, s37
	s_cbranch_execnz .LBB64_33
.LBB64_29:                              ;   in Loop: Header=BB64_3 Depth=1
	s_or_b32 exec_lo, exec_lo, s1
	s_and_saveexec_b32 s37, s40
	s_cbranch_execnz .LBB64_34
	s_branch .LBB64_37
.LBB64_30:                              ;   in Loop: Header=BB64_3 Depth=1
	v_cmp_le_f32_e32 vcc_lo, 0, v40
	v_cmp_ge_f32_e64 s2, 1.0, v40
	s_delay_alu instid0(VALU_DEP_1) | instskip(NEXT) | instid1(SALU_CYCLE_1)
	s_and_b32 s2, vcc_lo, s2
	s_and_saveexec_b32 s41, s2
	s_delay_alu instid0(SALU_CYCLE_1)
	s_xor_b32 s2, exec_lo, s41
	s_cbranch_execz .LBB64_32
; %bb.31:                               ;   in Loop: Header=BB64_3 Depth=1
	v_add_co_u32 v19, vcc_lo, v10, s12
	v_add_co_ci_u32_e32 v21, vcc_lo, s13, v35, vcc_lo
	v_cvt_f32_u32_e32 v23, v18
	s_mov_b32 s40, exec_lo
	s_delay_alu instid0(VALU_DEP_2) | instskip(SKIP_1) | instid1(VALU_DEP_1)
	v_cndmask_b32_e64 v22, 0, v21, s1
	v_cndmask_b32_e64 v21, 0, v19, s1
	v_lshlrev_b64 v[18:19], 1, v[21:22]
	v_fmaak_f32 v21, 0x2f800000, v23, 0x2f800000
	s_delay_alu instid0(VALU_DEP_2) | instskip(NEXT) | instid1(VALU_DEP_3)
	v_add_co_u32 v18, vcc_lo, s6, v18
	v_add_co_ci_u32_e32 v19, vcc_lo, s7, v19, vcc_lo
	s_delay_alu instid0(VALU_DEP_3)
	v_cmp_le_f32_e32 vcc_lo, v21, v40
	v_cndmask_b32_e64 v21, 0, 1, vcc_lo
	global_store_b16 v[18:19], v21, off
.LBB64_32:                              ;   in Loop: Header=BB64_3 Depth=1
	s_or_b32 exec_lo, exec_lo, s2
	s_delay_alu instid0(SALU_CYCLE_1)
	s_and_not1_b32 s2, s39, exec_lo
	s_or_b32 s39, s39, exec_lo
	s_and_not1_b32 s38, s38, exec_lo
	s_and_not1_b32 s4, s4, exec_lo
	s_and_b32 s40, s40, exec_lo
	s_and_not1_b32 s37, s37, exec_lo
	s_or_b32 exec_lo, exec_lo, s42
	s_and_saveexec_b32 s1, s37
	s_cbranch_execz .LBB64_29
.LBB64_33:                              ;   in Loop: Header=BB64_3 Depth=1
	v_cmp_eq_u32_e32 vcc_lo, 1, v20
	s_and_not1_b32 s37, s40, exec_lo
	s_mov_b32 s3, exec_lo
	s_and_not1_b32 s2, s2, exec_lo
	s_and_not1_b32 s39, s39, exec_lo
	s_and_b32 s40, vcc_lo, exec_lo
	s_and_not1_b32 s38, s38, exec_lo
	s_and_not1_b32 s4, s4, exec_lo
	s_or_b32 s40, s37, s40
	s_or_b32 exec_lo, exec_lo, s1
	s_and_saveexec_b32 s37, s40
	s_cbranch_execz .LBB64_37
.LBB64_34:                              ;   in Loop: Header=BB64_3 Depth=1
	v_cmp_le_f32_e32 vcc_lo, 0, v39
	v_cmp_ge_f32_e64 s1, 1.0, v39
	s_delay_alu instid0(VALU_DEP_1)
	s_and_b32 s41, vcc_lo, s1
	s_mov_b32 s1, 0
	s_and_saveexec_b32 s40, s41
	s_cbranch_execz .LBB64_36
; %bb.35:                               ;   in Loop: Header=BB64_3 Depth=1
	v_add_co_u32 v18, vcc_lo, v5, s12
	v_add_co_ci_u32_e32 v19, vcc_lo, s13, v6, vcc_lo
	v_cvt_f32_u32_e32 v20, v17
	s_delay_alu instid0(VALU_DEP_3) | instskip(SKIP_1) | instid1(VALU_DEP_3)
	v_cndmask_b32_e64 v18, 0, v18, s0
	s_mov_b32 s1, exec_lo
	v_cndmask_b32_e64 v19, 0, v19, s0
	s_delay_alu instid0(VALU_DEP_1) | instskip(SKIP_1) | instid1(VALU_DEP_2)
	v_lshlrev_b64 v[17:18], 1, v[18:19]
	v_fmaak_f32 v19, 0x2f800000, v20, 0x2f800000
	v_add_co_u32 v17, vcc_lo, s6, v17
	s_delay_alu instid0(VALU_DEP_3) | instskip(NEXT) | instid1(VALU_DEP_3)
	v_add_co_ci_u32_e32 v18, vcc_lo, s7, v18, vcc_lo
	v_cmp_le_f32_e32 vcc_lo, v19, v39
	v_cndmask_b32_e64 v19, 0, 1, vcc_lo
	global_store_b16 v[17:18], v19, off
.LBB64_36:                              ;   in Loop: Header=BB64_3 Depth=1
	s_or_b32 exec_lo, exec_lo, s40
	s_delay_alu instid0(SALU_CYCLE_1)
	s_and_not1_b32 s0, s3, exec_lo
	s_and_b32 s1, s1, exec_lo
	s_or_b32 s2, s2, exec_lo
	s_and_not1_b32 s39, s39, exec_lo
	s_and_not1_b32 s38, s38, exec_lo
	s_and_not1_b32 s4, s4, exec_lo
	s_or_b32 s3, s0, s1
.LBB64_37:                              ;   in Loop: Header=BB64_3 Depth=1
	s_or_b32 exec_lo, exec_lo, s37
	s_delay_alu instid0(SALU_CYCLE_1)
	s_and_not1_b32 s1, s36, exec_lo
	s_and_b32 s2, s2, exec_lo
	s_and_not1_b32 s34, s34, exec_lo
	s_and_b32 s37, s39, exec_lo
	s_or_b32 s36, s1, s2
	s_and_not1_b32 s1, s35, exec_lo
	s_and_b32 s2, s38, exec_lo
	s_and_not1_b32 s33, s33, exec_lo
	s_and_b32 s4, s4, exec_lo
	s_mov_b32 s0, -1
	s_or_b32 s34, s34, s37
	s_or_b32 s35, s1, s2
	;; [unrolled: 1-line block ×3, first 2 shown]
	s_and_saveexec_b32 s1, s3
	s_cbranch_execz .LBB64_2
; %bb.38:                               ;   in Loop: Header=BB64_3 Depth=1
	v_add_co_u32 v2, vcc_lo, v2, s15
	v_add_co_ci_u32_e32 v3, vcc_lo, 0, v3, vcc_lo
	v_subrev_nc_u32_e32 v0, s15, v0
	s_add_u32 s12, s12, s25
	s_addc_u32 s13, s13, s24
	s_delay_alu instid0(VALU_DEP_2)
	v_cmp_le_u64_e32 vcc_lo, s[16:17], v[2:3]
	s_add_u32 s10, s10, s28
	s_addc_u32 s11, s11, s27
	s_and_not1_b32 s36, s36, exec_lo
	s_and_not1_b32 s34, s34, exec_lo
	;; [unrolled: 1-line block ×4, first 2 shown]
	s_or_not1_b32 s0, vcc_lo, exec_lo
	s_branch .LBB64_2
.LBB64_39:
	s_or_b32 exec_lo, exec_lo, s5
	s_xor_b32 s3, s30, -1
	s_xor_b32 s4, s31, -1
	;; [unrolled: 1-line block ×3, first 2 shown]
	s_mov_b32 s1, 0
	s_and_saveexec_b32 s2, s0
	s_delay_alu instid0(SALU_CYCLE_1)
	s_xor_b32 s0, exec_lo, s2
	s_cbranch_execz .LBB64_48
; %bb.40:
	s_mov_b32 s2, 0
	s_and_saveexec_b32 s1, s4
	s_delay_alu instid0(SALU_CYCLE_1)
	s_xor_b32 s1, exec_lo, s1
	s_cbranch_execz .LBB64_46
; %bb.41:
	s_and_saveexec_b32 s4, s3
	s_delay_alu instid0(SALU_CYCLE_1)
	s_xor_b32 s3, exec_lo, s4
	s_cbranch_execz .LBB64_44
; %bb.42:
	s_and_saveexec_b32 s4, s26
	s_delay_alu instid0(SALU_CYCLE_1)
	s_xor_b32 s4, exec_lo, s4
	s_cbranch_execnz .LBB64_62
.LBB64_43:
	s_or_b32 exec_lo, exec_lo, s4
	s_delay_alu instid0(SALU_CYCLE_1)
	s_and_b32 s2, s2, exec_lo
.LBB64_44:
	s_and_not1_saveexec_b32 s3, s3
	s_cbranch_execnz .LBB64_58
.LBB64_45:
	s_or_b32 exec_lo, exec_lo, s3
	s_delay_alu instid0(SALU_CYCLE_1)
	s_and_b32 s2, s2, exec_lo
.LBB64_46:
	s_and_not1_saveexec_b32 s1, s1
	s_cbranch_execnz .LBB64_54
.LBB64_47:
	s_or_b32 exec_lo, exec_lo, s1
	s_delay_alu instid0(SALU_CYCLE_1)
	s_and_b32 s1, s2, exec_lo
.LBB64_48:
	s_and_not1_saveexec_b32 s0, s0
	s_cbranch_execnz .LBB64_52
; %bb.49:
	s_or_b32 exec_lo, exec_lo, s0
	s_delay_alu instid0(SALU_CYCLE_1)
	s_and_b32 exec_lo, exec_lo, s1
.LBB64_50:
	; divergent unreachable
.LBB64_51:
	s_nop 0
	s_sendmsg sendmsg(MSG_DEALLOC_VGPRS)
	s_endpgm
.LBB64_52:
	s_cbranch_execnz .LBB64_56
; %bb.53:
	s_or_b32 s1, s1, exec_lo
	s_or_b32 exec_lo, exec_lo, s0
	s_delay_alu instid0(SALU_CYCLE_1)
	s_and_b32 exec_lo, exec_lo, s1
	s_cbranch_execnz .LBB64_50
	s_branch .LBB64_51
.LBB64_54:
	s_cbranch_execnz .LBB64_60
; %bb.55:
	s_or_b32 s2, s2, exec_lo
	s_branch .LBB64_47
.LBB64_56:
	s_trap 2
	s_sendmsg_rtn_b32 s0, sendmsg(MSG_RTN_GET_DOORBELL)
	s_mov_b32 ttmp2, m0
	s_waitcnt lgkmcnt(0)
	s_and_b32 s0, s0, 0x3ff
	s_delay_alu instid0(SALU_CYCLE_1) | instskip(NEXT) | instid1(SALU_CYCLE_1)
	s_bitset1_b32 s0, 10
	s_mov_b32 m0, s0
	s_sendmsg sendmsg(MSG_INTERRUPT)
	s_mov_b32 m0, ttmp2
.LBB64_57:                              ; =>This Inner Loop Header: Depth=1
	s_sethalt 5
	s_branch .LBB64_57
.LBB64_58:
	s_cbranch_execnz .LBB64_64
; %bb.59:
	s_or_b32 s2, s2, exec_lo
	s_branch .LBB64_45
.LBB64_60:
	s_trap 2
	s_sendmsg_rtn_b32 s0, sendmsg(MSG_RTN_GET_DOORBELL)
	s_mov_b32 ttmp2, m0
	s_waitcnt lgkmcnt(0)
	s_and_b32 s0, s0, 0x3ff
	s_delay_alu instid0(SALU_CYCLE_1) | instskip(NEXT) | instid1(SALU_CYCLE_1)
	s_bitset1_b32 s0, 10
	s_mov_b32 m0, s0
	s_sendmsg sendmsg(MSG_INTERRUPT)
	s_mov_b32 m0, ttmp2
.LBB64_61:                              ; =>This Inner Loop Header: Depth=1
	s_sethalt 5
	s_branch .LBB64_61
.LBB64_62:
	s_cbranch_execnz .LBB64_66
; %bb.63:
	s_mov_b32 s2, exec_lo
	s_branch .LBB64_43
.LBB64_64:
	s_trap 2
	s_sendmsg_rtn_b32 s0, sendmsg(MSG_RTN_GET_DOORBELL)
	s_mov_b32 ttmp2, m0
	s_waitcnt lgkmcnt(0)
	s_and_b32 s0, s0, 0x3ff
	s_delay_alu instid0(SALU_CYCLE_1) | instskip(NEXT) | instid1(SALU_CYCLE_1)
	s_bitset1_b32 s0, 10
	s_mov_b32 m0, s0
	s_sendmsg sendmsg(MSG_INTERRUPT)
	s_mov_b32 m0, ttmp2
.LBB64_65:                              ; =>This Inner Loop Header: Depth=1
	s_sethalt 5
	s_branch .LBB64_65
.LBB64_66:
	s_trap 2
	s_sendmsg_rtn_b32 s0, sendmsg(MSG_RTN_GET_DOORBELL)
	s_mov_b32 ttmp2, m0
	s_waitcnt lgkmcnt(0)
	s_and_b32 s0, s0, 0x3ff
	s_delay_alu instid0(SALU_CYCLE_1) | instskip(NEXT) | instid1(SALU_CYCLE_1)
	s_bitset1_b32 s0, 10
	s_mov_b32 m0, s0
	s_sendmsg sendmsg(MSG_INTERRUPT)
	s_mov_b32 m0, ttmp2
.LBB64_67:                              ; =>This Inner Loop Header: Depth=1
	s_sethalt 5
	s_branch .LBB64_67
	.section	.rodata,"a",@progbits
	.p2align	6, 0x0
	.amdhsa_kernel _ZN2at4cuda12_GLOBAL__N_121kernelPointwiseApply2IZNS_6native9templates4cuda28bernoulli_tensor_cuda_kernelIsfEEvRKNS_10TensorBaseES9_NS_15PhiloxCudaStateEEUliRsSB_SB_SB_RKfSD_SD_SD_E_sSC_mLi1ELi1ELi4ELi512ELi2EEEvNS0_6detail10TensorInfoIT0_T2_EENSG_IT1_SI_EESI_T_
		.amdhsa_group_segment_fixed_size 0
		.amdhsa_private_segment_fixed_size 0
		.amdhsa_kernarg_size 1128
		.amdhsa_user_sgpr_count 15
		.amdhsa_user_sgpr_dispatch_ptr 0
		.amdhsa_user_sgpr_queue_ptr 0
		.amdhsa_user_sgpr_kernarg_segment_ptr 1
		.amdhsa_user_sgpr_dispatch_id 0
		.amdhsa_user_sgpr_private_segment_size 0
		.amdhsa_wavefront_size32 1
		.amdhsa_uses_dynamic_stack 0
		.amdhsa_enable_private_segment 0
		.amdhsa_system_sgpr_workgroup_id_x 1
		.amdhsa_system_sgpr_workgroup_id_y 0
		.amdhsa_system_sgpr_workgroup_id_z 0
		.amdhsa_system_sgpr_workgroup_info 0
		.amdhsa_system_vgpr_workitem_id 0
		.amdhsa_next_free_vgpr 51
		.amdhsa_next_free_sgpr 43
		.amdhsa_reserve_vcc 1
		.amdhsa_float_round_mode_32 0
		.amdhsa_float_round_mode_16_64 0
		.amdhsa_float_denorm_mode_32 3
		.amdhsa_float_denorm_mode_16_64 3
		.amdhsa_dx10_clamp 1
		.amdhsa_ieee_mode 1
		.amdhsa_fp16_overflow 0
		.amdhsa_workgroup_processor_mode 1
		.amdhsa_memory_ordered 1
		.amdhsa_forward_progress 0
		.amdhsa_shared_vgpr_count 0
		.amdhsa_exception_fp_ieee_invalid_op 0
		.amdhsa_exception_fp_denorm_src 0
		.amdhsa_exception_fp_ieee_div_zero 0
		.amdhsa_exception_fp_ieee_overflow 0
		.amdhsa_exception_fp_ieee_underflow 0
		.amdhsa_exception_fp_ieee_inexact 0
		.amdhsa_exception_int_div_zero 0
	.end_amdhsa_kernel
	.section	.text._ZN2at4cuda12_GLOBAL__N_121kernelPointwiseApply2IZNS_6native9templates4cuda28bernoulli_tensor_cuda_kernelIsfEEvRKNS_10TensorBaseES9_NS_15PhiloxCudaStateEEUliRsSB_SB_SB_RKfSD_SD_SD_E_sSC_mLi1ELi1ELi4ELi512ELi2EEEvNS0_6detail10TensorInfoIT0_T2_EENSG_IT1_SI_EESI_T_,"axG",@progbits,_ZN2at4cuda12_GLOBAL__N_121kernelPointwiseApply2IZNS_6native9templates4cuda28bernoulli_tensor_cuda_kernelIsfEEvRKNS_10TensorBaseES9_NS_15PhiloxCudaStateEEUliRsSB_SB_SB_RKfSD_SD_SD_E_sSC_mLi1ELi1ELi4ELi512ELi2EEEvNS0_6detail10TensorInfoIT0_T2_EENSG_IT1_SI_EESI_T_,comdat
.Lfunc_end64:
	.size	_ZN2at4cuda12_GLOBAL__N_121kernelPointwiseApply2IZNS_6native9templates4cuda28bernoulli_tensor_cuda_kernelIsfEEvRKNS_10TensorBaseES9_NS_15PhiloxCudaStateEEUliRsSB_SB_SB_RKfSD_SD_SD_E_sSC_mLi1ELi1ELi4ELi512ELi2EEEvNS0_6detail10TensorInfoIT0_T2_EENSG_IT1_SI_EESI_T_, .Lfunc_end64-_ZN2at4cuda12_GLOBAL__N_121kernelPointwiseApply2IZNS_6native9templates4cuda28bernoulli_tensor_cuda_kernelIsfEEvRKNS_10TensorBaseES9_NS_15PhiloxCudaStateEEUliRsSB_SB_SB_RKfSD_SD_SD_E_sSC_mLi1ELi1ELi4ELi512ELi2EEEvNS0_6detail10TensorInfoIT0_T2_EENSG_IT1_SI_EESI_T_
                                        ; -- End function
	.section	.AMDGPU.csdata,"",@progbits
; Kernel info:
; codeLenInByte = 3520
; NumSgprs: 45
; NumVgprs: 51
; ScratchSize: 0
; MemoryBound: 0
; FloatMode: 240
; IeeeMode: 1
; LDSByteSize: 0 bytes/workgroup (compile time only)
; SGPRBlocks: 5
; VGPRBlocks: 6
; NumSGPRsForWavesPerEU: 45
; NumVGPRsForWavesPerEU: 51
; Occupancy: 16
; WaveLimiterHint : 1
; COMPUTE_PGM_RSRC2:SCRATCH_EN: 0
; COMPUTE_PGM_RSRC2:USER_SGPR: 15
; COMPUTE_PGM_RSRC2:TRAP_HANDLER: 0
; COMPUTE_PGM_RSRC2:TGID_X_EN: 1
; COMPUTE_PGM_RSRC2:TGID_Y_EN: 0
; COMPUTE_PGM_RSRC2:TGID_Z_EN: 0
; COMPUTE_PGM_RSRC2:TIDIG_COMP_CNT: 0
	.section	.text._ZN2at4cuda12_GLOBAL__N_121kernelPointwiseApply2IZNS_6native9templates4cuda28bernoulli_tensor_cuda_kernelIsfEEvRKNS_10TensorBaseES9_NS_15PhiloxCudaStateEEUliRsSB_SB_SB_RKfSD_SD_SD_E_sSC_mLin1ELin1ELi4ELi512ELi2EEEvNS0_6detail10TensorInfoIT0_T2_EENSG_IT1_SI_EESI_T_,"axG",@progbits,_ZN2at4cuda12_GLOBAL__N_121kernelPointwiseApply2IZNS_6native9templates4cuda28bernoulli_tensor_cuda_kernelIsfEEvRKNS_10TensorBaseES9_NS_15PhiloxCudaStateEEUliRsSB_SB_SB_RKfSD_SD_SD_E_sSC_mLin1ELin1ELi4ELi512ELi2EEEvNS0_6detail10TensorInfoIT0_T2_EENSG_IT1_SI_EESI_T_,comdat
	.globl	_ZN2at4cuda12_GLOBAL__N_121kernelPointwiseApply2IZNS_6native9templates4cuda28bernoulli_tensor_cuda_kernelIsfEEvRKNS_10TensorBaseES9_NS_15PhiloxCudaStateEEUliRsSB_SB_SB_RKfSD_SD_SD_E_sSC_mLin1ELin1ELi4ELi512ELi2EEEvNS0_6detail10TensorInfoIT0_T2_EENSG_IT1_SI_EESI_T_ ; -- Begin function _ZN2at4cuda12_GLOBAL__N_121kernelPointwiseApply2IZNS_6native9templates4cuda28bernoulli_tensor_cuda_kernelIsfEEvRKNS_10TensorBaseES9_NS_15PhiloxCudaStateEEUliRsSB_SB_SB_RKfSD_SD_SD_E_sSC_mLin1ELin1ELi4ELi512ELi2EEEvNS0_6detail10TensorInfoIT0_T2_EENSG_IT1_SI_EESI_T_
	.p2align	8
	.type	_ZN2at4cuda12_GLOBAL__N_121kernelPointwiseApply2IZNS_6native9templates4cuda28bernoulli_tensor_cuda_kernelIsfEEvRKNS_10TensorBaseES9_NS_15PhiloxCudaStateEEUliRsSB_SB_SB_RKfSD_SD_SD_E_sSC_mLin1ELin1ELi4ELi512ELi2EEEvNS0_6detail10TensorInfoIT0_T2_EENSG_IT1_SI_EESI_T_,@function
_ZN2at4cuda12_GLOBAL__N_121kernelPointwiseApply2IZNS_6native9templates4cuda28bernoulli_tensor_cuda_kernelIsfEEvRKNS_10TensorBaseES9_NS_15PhiloxCudaStateEEUliRsSB_SB_SB_RKfSD_SD_SD_E_sSC_mLin1ELin1ELi4ELi512ELi2EEEvNS0_6detail10TensorInfoIT0_T2_EENSG_IT1_SI_EESI_T_: ; @_ZN2at4cuda12_GLOBAL__N_121kernelPointwiseApply2IZNS_6native9templates4cuda28bernoulli_tensor_cuda_kernelIsfEEvRKNS_10TensorBaseES9_NS_15PhiloxCudaStateEEUliRsSB_SB_SB_RKfSD_SD_SD_E_sSC_mLin1ELin1ELi4ELi512ELi2EEEvNS0_6detail10TensorInfoIT0_T2_EENSG_IT1_SI_EESI_T_
; %bb.0:
	s_clause 0x1
	s_load_b32 s12, s[0:1], 0x374
	s_load_b256 s[4:11], s[0:1], 0x340
	s_add_u32 s2, s0, 0x368
	s_addc_u32 s3, s1, 0
	s_waitcnt lgkmcnt(0)
	s_and_b32 s18, s12, 0xffff
	s_mov_b32 s12, exec_lo
	v_mad_u64_u32 v[1:2], null, s15, s18, v[0:1]
	v_mov_b32_e32 v2, 0
	s_delay_alu instid0(VALU_DEP_1) | instskip(NEXT) | instid1(VALU_DEP_1)
	v_dual_mov_b32 v5, v2 :: v_dual_lshlrev_b32 v4, 2, v1
	v_cmpx_gt_u64_e64 s[4:5], v[4:5]
	s_cbranch_execz .LBB65_122
; %bb.1:
	s_clause 0x2
	s_load_b32 s22, s[0:1], 0x198
	s_load_b32 s23, s[0:1], 0x338
	;; [unrolled: 1-line block ×4, first 2 shown]
	s_add_u32 s24, s0, 0x1a0
	s_addc_u32 s25, s1, 0
	s_clause 0x3
	s_load_b64 s[2:3], s[0:1], 0x270
	s_load_b64 s[12:13], s[0:1], 0x1a0
	s_load_b64 s[14:15], s[0:1], 0xd0
	s_load_b64 s[16:17], s[0:1], 0x0
	s_mov_b32 s19, 0
	v_mad_u64_u32 v[6:7], null, 0xcd9e8d57, v1, 0
                                        ; implicit-def: $sgpr35
                                        ; implicit-def: $sgpr37
                                        ; implicit-def: $sgpr36
                                        ; implicit-def: $sgpr38
                                        ; implicit-def: $sgpr40
                                        ; implicit-def: $sgpr39
                                        ; implicit-def: $sgpr41
	s_delay_alu instid0(VALU_DEP_1)
	v_mov_b32_e32 v0, v7
	s_waitcnt lgkmcnt(0)
	s_cmp_gt_i32 s22, 1
	s_cselect_b32 s28, -1, 0
	s_cmp_gt_i32 s23, 1
	s_mul_i32 s21, s21, s18
	s_cselect_b32 s29, -1, 0
	s_bitcmp1_b32 s20, 0
	s_cselect_b32 s30, -1, 0
	s_add_i32 s18, s22, -1
	s_lshl_b32 s31, s21, 2
	s_lshl_b64 s[20:21], s[18:19], 3
	s_add_i32 s33, s22, 1
	s_add_u32 s0, s20, s0
	s_addc_u32 s1, s21, s1
	s_add_u32 s20, s0, 8
	s_addc_u32 s21, s1, 0
	s_add_i32 s18, s23, -1
	s_add_i32 s34, s23, 1
	s_lshl_b64 s[0:1], s[18:19], 3
                                        ; implicit-def: $sgpr18
	s_delay_alu instid0(SALU_CYCLE_1)
	s_add_u32 s0, s0, s24
	s_addc_u32 s1, s1, s25
	s_add_u32 s22, s0, 8
	s_addc_u32 s23, s1, 0
	s_branch .LBB65_3
.LBB65_2:                               ;   in Loop: Header=BB65_3 Depth=1
	s_or_b32 exec_lo, exec_lo, s1
	s_delay_alu instid0(SALU_CYCLE_1) | instskip(NEXT) | instid1(SALU_CYCLE_1)
	s_and_b32 s0, exec_lo, s0
	s_or_b32 s19, s0, s19
	s_and_not1_b32 s0, s18, exec_lo
	s_and_b32 s1, s41, exec_lo
	s_and_not1_b32 s24, s36, exec_lo
	s_and_b32 s25, s39, exec_lo
	s_or_b32 s18, s0, s1
	s_or_b32 s36, s24, s25
	s_and_not1_b32 s0, s37, exec_lo
	s_and_b32 s1, s40, exec_lo
	s_and_not1_b32 s24, s35, exec_lo
	s_and_b32 s25, s38, exec_lo
	s_or_b32 s37, s0, s1
	s_or_b32 s35, s24, s25
	s_and_not1_b32 exec_lo, exec_lo, s19
	s_cbranch_execz .LBB65_110
.LBB65_3:                               ; =>This Loop Header: Depth=1
                                        ;     Child Loop BB65_5 Depth 2
                                        ;     Child Loop BB65_14 Depth 2
	;; [unrolled: 1-line block ×8, first 2 shown]
	v_sub_nc_u32_e32 v32, s4, v4
	v_mov_b32_e32 v7, 0
	v_mov_b32_e32 v8, 0
	s_delay_alu instid0(VALU_DEP_3) | instskip(NEXT) | instid1(VALU_DEP_1)
	v_cmp_lt_i32_e64 s0, 0, v32
	s_and_saveexec_b32 s42, s0
	s_cbranch_execz .LBB65_12
; %bb.4:                                ;   in Loop: Header=BB65_3 Depth=1
	v_dual_mov_b32 v9, 0 :: v_dual_mov_b32 v8, v5
	v_dual_mov_b32 v10, 0 :: v_dual_mov_b32 v7, v4
	;; [unrolled: 1-line block ×3, first 2 shown]
	s_and_not1_b32 vcc_lo, exec_lo, s28
	s_mov_b64 s[24:25], s[20:21]
	s_mov_b32 s43, s33
	s_cbranch_vccnz .LBB65_11
.LBB65_5:                               ;   Parent Loop BB65_3 Depth=1
                                        ; =>  This Inner Loop Header: Depth=2
	s_load_b64 s[26:27], s[24:25], 0x0
                                        ; implicit-def: $vgpr11_vgpr12
	s_mov_b32 s1, exec_lo
	s_waitcnt lgkmcnt(0)
	v_or_b32_e32 v3, s27, v8
	s_delay_alu instid0(VALU_DEP_1)
	v_cmpx_ne_u64_e32 0, v[2:3]
	s_xor_b32 s44, exec_lo, s1
	s_cbranch_execz .LBB65_7
; %bb.6:                                ;   in Loop: Header=BB65_5 Depth=2
	v_cvt_f32_u32_e32 v3, s26
	v_cvt_f32_u32_e32 v11, s27
	s_sub_u32 s1, 0, s26
	s_subb_u32 s45, 0, s27
	s_delay_alu instid0(VALU_DEP_1) | instskip(NEXT) | instid1(VALU_DEP_1)
	v_fmac_f32_e32 v3, 0x4f800000, v11
	v_rcp_f32_e32 v3, v3
	s_waitcnt_depctr 0xfff
	v_mul_f32_e32 v3, 0x5f7ffffc, v3
	s_delay_alu instid0(VALU_DEP_1) | instskip(NEXT) | instid1(VALU_DEP_1)
	v_mul_f32_e32 v11, 0x2f800000, v3
	v_trunc_f32_e32 v11, v11
	s_delay_alu instid0(VALU_DEP_1) | instskip(SKIP_1) | instid1(VALU_DEP_2)
	v_fmac_f32_e32 v3, 0xcf800000, v11
	v_cvt_u32_f32_e32 v11, v11
	v_cvt_u32_f32_e32 v3, v3
	s_delay_alu instid0(VALU_DEP_2) | instskip(NEXT) | instid1(VALU_DEP_2)
	v_mul_lo_u32 v12, s1, v11
	v_mul_hi_u32 v13, s1, v3
	v_mul_lo_u32 v14, s45, v3
	s_delay_alu instid0(VALU_DEP_2) | instskip(SKIP_1) | instid1(VALU_DEP_2)
	v_add_nc_u32_e32 v12, v13, v12
	v_mul_lo_u32 v13, s1, v3
	v_add_nc_u32_e32 v12, v12, v14
	s_delay_alu instid0(VALU_DEP_2) | instskip(NEXT) | instid1(VALU_DEP_2)
	v_mul_hi_u32 v14, v3, v13
	v_mul_lo_u32 v15, v3, v12
	v_mul_hi_u32 v16, v3, v12
	v_mul_hi_u32 v17, v11, v13
	v_mul_lo_u32 v13, v11, v13
	v_mul_hi_u32 v18, v11, v12
	v_mul_lo_u32 v12, v11, v12
	v_add_co_u32 v14, vcc_lo, v14, v15
	v_add_co_ci_u32_e32 v15, vcc_lo, 0, v16, vcc_lo
	s_delay_alu instid0(VALU_DEP_2) | instskip(NEXT) | instid1(VALU_DEP_2)
	v_add_co_u32 v13, vcc_lo, v14, v13
	v_add_co_ci_u32_e32 v13, vcc_lo, v15, v17, vcc_lo
	v_add_co_ci_u32_e32 v14, vcc_lo, 0, v18, vcc_lo
	s_delay_alu instid0(VALU_DEP_2) | instskip(NEXT) | instid1(VALU_DEP_2)
	v_add_co_u32 v12, vcc_lo, v13, v12
	v_add_co_ci_u32_e32 v13, vcc_lo, 0, v14, vcc_lo
	s_delay_alu instid0(VALU_DEP_2) | instskip(NEXT) | instid1(VALU_DEP_2)
	v_add_co_u32 v3, vcc_lo, v3, v12
	v_add_co_ci_u32_e32 v11, vcc_lo, v11, v13, vcc_lo
	s_delay_alu instid0(VALU_DEP_2) | instskip(SKIP_1) | instid1(VALU_DEP_3)
	v_mul_hi_u32 v12, s1, v3
	v_mul_lo_u32 v14, s45, v3
	v_mul_lo_u32 v13, s1, v11
	s_delay_alu instid0(VALU_DEP_1) | instskip(SKIP_1) | instid1(VALU_DEP_2)
	v_add_nc_u32_e32 v12, v12, v13
	v_mul_lo_u32 v13, s1, v3
	v_add_nc_u32_e32 v12, v12, v14
	s_delay_alu instid0(VALU_DEP_2) | instskip(NEXT) | instid1(VALU_DEP_2)
	v_mul_hi_u32 v14, v3, v13
	v_mul_lo_u32 v15, v3, v12
	v_mul_hi_u32 v16, v3, v12
	v_mul_hi_u32 v17, v11, v13
	v_mul_lo_u32 v13, v11, v13
	v_mul_hi_u32 v18, v11, v12
	v_mul_lo_u32 v12, v11, v12
	v_add_co_u32 v14, vcc_lo, v14, v15
	v_add_co_ci_u32_e32 v15, vcc_lo, 0, v16, vcc_lo
	s_delay_alu instid0(VALU_DEP_2) | instskip(NEXT) | instid1(VALU_DEP_2)
	v_add_co_u32 v13, vcc_lo, v14, v13
	v_add_co_ci_u32_e32 v13, vcc_lo, v15, v17, vcc_lo
	v_add_co_ci_u32_e32 v14, vcc_lo, 0, v18, vcc_lo
	s_delay_alu instid0(VALU_DEP_2) | instskip(NEXT) | instid1(VALU_DEP_2)
	v_add_co_u32 v12, vcc_lo, v13, v12
	v_add_co_ci_u32_e32 v13, vcc_lo, 0, v14, vcc_lo
	s_delay_alu instid0(VALU_DEP_2) | instskip(NEXT) | instid1(VALU_DEP_2)
	v_add_co_u32 v3, vcc_lo, v3, v12
	v_add_co_ci_u32_e32 v17, vcc_lo, v11, v13, vcc_lo
	s_delay_alu instid0(VALU_DEP_2) | instskip(SKIP_1) | instid1(VALU_DEP_3)
	v_mul_hi_u32 v18, v7, v3
	v_mad_u64_u32 v[13:14], null, v8, v3, 0
	v_mad_u64_u32 v[11:12], null, v7, v17, 0
	;; [unrolled: 1-line block ×3, first 2 shown]
	s_delay_alu instid0(VALU_DEP_2) | instskip(NEXT) | instid1(VALU_DEP_3)
	v_add_co_u32 v3, vcc_lo, v18, v11
	v_add_co_ci_u32_e32 v11, vcc_lo, 0, v12, vcc_lo
	s_delay_alu instid0(VALU_DEP_2) | instskip(NEXT) | instid1(VALU_DEP_2)
	v_add_co_u32 v3, vcc_lo, v3, v13
	v_add_co_ci_u32_e32 v3, vcc_lo, v11, v14, vcc_lo
	v_add_co_ci_u32_e32 v11, vcc_lo, 0, v16, vcc_lo
	s_delay_alu instid0(VALU_DEP_2) | instskip(NEXT) | instid1(VALU_DEP_2)
	v_add_co_u32 v3, vcc_lo, v3, v15
	v_add_co_ci_u32_e32 v13, vcc_lo, 0, v11, vcc_lo
	s_delay_alu instid0(VALU_DEP_2) | instskip(SKIP_1) | instid1(VALU_DEP_3)
	v_mul_lo_u32 v14, s27, v3
	v_mad_u64_u32 v[11:12], null, s26, v3, 0
	v_mul_lo_u32 v15, s26, v13
	s_delay_alu instid0(VALU_DEP_2) | instskip(NEXT) | instid1(VALU_DEP_2)
	v_sub_co_u32 v11, vcc_lo, v7, v11
	v_add3_u32 v12, v12, v15, v14
	s_delay_alu instid0(VALU_DEP_1) | instskip(NEXT) | instid1(VALU_DEP_1)
	v_sub_nc_u32_e32 v14, v8, v12
	v_subrev_co_ci_u32_e64 v14, s1, s27, v14, vcc_lo
	v_add_co_u32 v15, s1, v3, 2
	s_delay_alu instid0(VALU_DEP_1) | instskip(SKIP_3) | instid1(VALU_DEP_3)
	v_add_co_ci_u32_e64 v16, s1, 0, v13, s1
	v_sub_co_u32 v17, s1, v11, s26
	v_sub_co_ci_u32_e32 v12, vcc_lo, v8, v12, vcc_lo
	v_subrev_co_ci_u32_e64 v14, s1, 0, v14, s1
	v_cmp_le_u32_e32 vcc_lo, s26, v17
	s_delay_alu instid0(VALU_DEP_3) | instskip(SKIP_1) | instid1(VALU_DEP_4)
	v_cmp_eq_u32_e64 s1, s27, v12
	v_cndmask_b32_e64 v17, 0, -1, vcc_lo
	v_cmp_le_u32_e32 vcc_lo, s27, v14
	v_cndmask_b32_e64 v18, 0, -1, vcc_lo
	v_cmp_le_u32_e32 vcc_lo, s26, v11
	;; [unrolled: 2-line block ×3, first 2 shown]
	v_cndmask_b32_e64 v19, 0, -1, vcc_lo
	v_cmp_eq_u32_e32 vcc_lo, s27, v14
	s_delay_alu instid0(VALU_DEP_2) | instskip(SKIP_3) | instid1(VALU_DEP_3)
	v_cndmask_b32_e64 v11, v19, v11, s1
	v_cndmask_b32_e32 v14, v18, v17, vcc_lo
	v_add_co_u32 v17, vcc_lo, v3, 1
	v_add_co_ci_u32_e32 v18, vcc_lo, 0, v13, vcc_lo
	v_cmp_ne_u32_e32 vcc_lo, 0, v14
	s_delay_alu instid0(VALU_DEP_3) | instskip(NEXT) | instid1(VALU_DEP_3)
	v_cndmask_b32_e32 v14, v17, v15, vcc_lo
	v_cndmask_b32_e32 v12, v18, v16, vcc_lo
	v_cmp_ne_u32_e32 vcc_lo, 0, v11
	s_delay_alu instid0(VALU_DEP_2)
	v_dual_cndmask_b32 v11, v3, v14 :: v_dual_cndmask_b32 v12, v13, v12
.LBB65_7:                               ;   in Loop: Header=BB65_5 Depth=2
	s_and_not1_saveexec_b32 s1, s44
	s_cbranch_execz .LBB65_9
; %bb.8:                                ;   in Loop: Header=BB65_5 Depth=2
	v_cvt_f32_u32_e32 v3, s26
	s_sub_i32 s44, 0, s26
	s_delay_alu instid0(VALU_DEP_1) | instskip(SKIP_2) | instid1(VALU_DEP_1)
	v_rcp_iflag_f32_e32 v3, v3
	s_waitcnt_depctr 0xfff
	v_mul_f32_e32 v3, 0x4f7ffffe, v3
	v_cvt_u32_f32_e32 v3, v3
	s_delay_alu instid0(VALU_DEP_1) | instskip(NEXT) | instid1(VALU_DEP_1)
	v_mul_lo_u32 v11, s44, v3
	v_mul_hi_u32 v11, v3, v11
	s_delay_alu instid0(VALU_DEP_1) | instskip(NEXT) | instid1(VALU_DEP_1)
	v_add_nc_u32_e32 v3, v3, v11
	v_mul_hi_u32 v3, v7, v3
	s_delay_alu instid0(VALU_DEP_1) | instskip(NEXT) | instid1(VALU_DEP_1)
	v_mul_lo_u32 v11, v3, s26
	v_sub_nc_u32_e32 v11, v7, v11
	s_delay_alu instid0(VALU_DEP_1) | instskip(SKIP_1) | instid1(VALU_DEP_2)
	v_subrev_nc_u32_e32 v13, s26, v11
	v_cmp_le_u32_e32 vcc_lo, s26, v11
	v_dual_cndmask_b32 v11, v11, v13 :: v_dual_add_nc_u32 v12, 1, v3
	s_delay_alu instid0(VALU_DEP_1) | instskip(NEXT) | instid1(VALU_DEP_2)
	v_cndmask_b32_e32 v3, v3, v12, vcc_lo
	v_cmp_le_u32_e32 vcc_lo, s26, v11
	s_delay_alu instid0(VALU_DEP_2) | instskip(NEXT) | instid1(VALU_DEP_1)
	v_add_nc_u32_e32 v12, 1, v3
	v_dual_cndmask_b32 v11, v3, v12 :: v_dual_mov_b32 v12, v2
.LBB65_9:                               ;   in Loop: Header=BB65_5 Depth=2
	s_or_b32 exec_lo, exec_lo, s1
	s_load_b64 s[44:45], s[24:25], 0xc8
	s_delay_alu instid0(VALU_DEP_1) | instskip(NEXT) | instid1(VALU_DEP_2)
	v_mul_lo_u32 v3, v12, s26
	v_mul_lo_u32 v15, v11, s27
	v_mad_u64_u32 v[13:14], null, v11, s26, 0
	s_add_i32 s43, s43, -1
	s_add_u32 s24, s24, -8
	s_addc_u32 s25, s25, -1
	s_cmp_gt_u32 s43, 2
	s_delay_alu instid0(VALU_DEP_1) | instskip(NEXT) | instid1(VALU_DEP_2)
	v_add3_u32 v3, v14, v15, v3
	v_sub_co_u32 v13, vcc_lo, v7, v13
	s_delay_alu instid0(VALU_DEP_2) | instskip(SKIP_1) | instid1(VALU_DEP_2)
	v_sub_co_ci_u32_e32 v3, vcc_lo, v8, v3, vcc_lo
	s_waitcnt lgkmcnt(0)
	v_mul_lo_u32 v14, s45, v13
	s_delay_alu instid0(VALU_DEP_2) | instskip(SKIP_1) | instid1(VALU_DEP_1)
	v_mul_lo_u32 v3, s44, v3
	v_mad_u64_u32 v[7:8], null, s44, v13, v[9:10]
	v_add3_u32 v10, v14, v8, v3
	s_delay_alu instid0(VALU_DEP_2)
	v_mov_b32_e32 v9, v7
	s_cbranch_scc0 .LBB65_11
; %bb.10:                               ;   in Loop: Header=BB65_5 Depth=2
	v_dual_mov_b32 v7, v11 :: v_dual_mov_b32 v8, v12
	s_branch .LBB65_5
.LBB65_11:                              ;   in Loop: Header=BB65_3 Depth=1
	s_delay_alu instid0(VALU_DEP_1) | instskip(SKIP_2) | instid1(VALU_DEP_1)
	v_mad_u64_u32 v[7:8], null, s14, v11, v[9:10]
	v_mul_lo_u32 v3, s14, v12
	v_mul_lo_u32 v9, s15, v11
	v_add3_u32 v8, v9, v8, v3
.LBB65_12:                              ;   in Loop: Header=BB65_3 Depth=1
	s_or_b32 exec_lo, exec_lo, s42
	v_mov_b32_e32 v11, 0
	v_mov_b32_e32 v12, 0
	s_and_saveexec_b32 s1, s0
	s_cbranch_execz .LBB65_21
; %bb.13:                               ;   in Loop: Header=BB65_3 Depth=1
	v_dual_mov_b32 v9, 0 :: v_dual_mov_b32 v12, v5
	v_dual_mov_b32 v10, 0 :: v_dual_mov_b32 v11, v4
	;; [unrolled: 1-line block ×3, first 2 shown]
	s_and_not1_b32 vcc_lo, exec_lo, s29
	s_mov_b64 s[24:25], s[22:23]
	s_mov_b32 s42, s34
	s_cbranch_vccnz .LBB65_20
.LBB65_14:                              ;   Parent Loop BB65_3 Depth=1
                                        ; =>  This Inner Loop Header: Depth=2
	s_load_b64 s[26:27], s[24:25], 0x0
                                        ; implicit-def: $vgpr13_vgpr14
	s_mov_b32 s0, exec_lo
	s_waitcnt lgkmcnt(0)
	v_or_b32_e32 v3, s27, v12
	s_delay_alu instid0(VALU_DEP_1)
	v_cmpx_ne_u64_e32 0, v[2:3]
	s_xor_b32 s43, exec_lo, s0
	s_cbranch_execz .LBB65_16
; %bb.15:                               ;   in Loop: Header=BB65_14 Depth=2
	v_cvt_f32_u32_e32 v3, s26
	v_cvt_f32_u32_e32 v13, s27
	s_sub_u32 s0, 0, s26
	s_subb_u32 s44, 0, s27
	s_delay_alu instid0(VALU_DEP_1) | instskip(NEXT) | instid1(VALU_DEP_1)
	v_fmac_f32_e32 v3, 0x4f800000, v13
	v_rcp_f32_e32 v3, v3
	s_waitcnt_depctr 0xfff
	v_mul_f32_e32 v3, 0x5f7ffffc, v3
	s_delay_alu instid0(VALU_DEP_1) | instskip(NEXT) | instid1(VALU_DEP_1)
	v_mul_f32_e32 v13, 0x2f800000, v3
	v_trunc_f32_e32 v13, v13
	s_delay_alu instid0(VALU_DEP_1) | instskip(SKIP_1) | instid1(VALU_DEP_2)
	v_fmac_f32_e32 v3, 0xcf800000, v13
	v_cvt_u32_f32_e32 v13, v13
	v_cvt_u32_f32_e32 v3, v3
	s_delay_alu instid0(VALU_DEP_2) | instskip(NEXT) | instid1(VALU_DEP_2)
	v_mul_lo_u32 v14, s0, v13
	v_mul_hi_u32 v15, s0, v3
	v_mul_lo_u32 v16, s44, v3
	s_delay_alu instid0(VALU_DEP_2) | instskip(SKIP_1) | instid1(VALU_DEP_2)
	v_add_nc_u32_e32 v14, v15, v14
	v_mul_lo_u32 v15, s0, v3
	v_add_nc_u32_e32 v14, v14, v16
	s_delay_alu instid0(VALU_DEP_2) | instskip(NEXT) | instid1(VALU_DEP_2)
	v_mul_hi_u32 v16, v3, v15
	v_mul_lo_u32 v17, v3, v14
	v_mul_hi_u32 v18, v3, v14
	v_mul_hi_u32 v19, v13, v15
	v_mul_lo_u32 v15, v13, v15
	v_mul_hi_u32 v20, v13, v14
	v_mul_lo_u32 v14, v13, v14
	v_add_co_u32 v16, vcc_lo, v16, v17
	v_add_co_ci_u32_e32 v17, vcc_lo, 0, v18, vcc_lo
	s_delay_alu instid0(VALU_DEP_2) | instskip(NEXT) | instid1(VALU_DEP_2)
	v_add_co_u32 v15, vcc_lo, v16, v15
	v_add_co_ci_u32_e32 v15, vcc_lo, v17, v19, vcc_lo
	v_add_co_ci_u32_e32 v16, vcc_lo, 0, v20, vcc_lo
	s_delay_alu instid0(VALU_DEP_2) | instskip(NEXT) | instid1(VALU_DEP_2)
	v_add_co_u32 v14, vcc_lo, v15, v14
	v_add_co_ci_u32_e32 v15, vcc_lo, 0, v16, vcc_lo
	s_delay_alu instid0(VALU_DEP_2) | instskip(NEXT) | instid1(VALU_DEP_2)
	v_add_co_u32 v3, vcc_lo, v3, v14
	v_add_co_ci_u32_e32 v13, vcc_lo, v13, v15, vcc_lo
	s_delay_alu instid0(VALU_DEP_2) | instskip(SKIP_1) | instid1(VALU_DEP_3)
	v_mul_hi_u32 v14, s0, v3
	v_mul_lo_u32 v16, s44, v3
	v_mul_lo_u32 v15, s0, v13
	s_delay_alu instid0(VALU_DEP_1) | instskip(SKIP_1) | instid1(VALU_DEP_2)
	v_add_nc_u32_e32 v14, v14, v15
	v_mul_lo_u32 v15, s0, v3
	v_add_nc_u32_e32 v14, v14, v16
	s_delay_alu instid0(VALU_DEP_2) | instskip(NEXT) | instid1(VALU_DEP_2)
	v_mul_hi_u32 v16, v3, v15
	v_mul_lo_u32 v17, v3, v14
	v_mul_hi_u32 v18, v3, v14
	v_mul_hi_u32 v19, v13, v15
	v_mul_lo_u32 v15, v13, v15
	v_mul_hi_u32 v20, v13, v14
	v_mul_lo_u32 v14, v13, v14
	v_add_co_u32 v16, vcc_lo, v16, v17
	v_add_co_ci_u32_e32 v17, vcc_lo, 0, v18, vcc_lo
	s_delay_alu instid0(VALU_DEP_2) | instskip(NEXT) | instid1(VALU_DEP_2)
	v_add_co_u32 v15, vcc_lo, v16, v15
	v_add_co_ci_u32_e32 v15, vcc_lo, v17, v19, vcc_lo
	v_add_co_ci_u32_e32 v16, vcc_lo, 0, v20, vcc_lo
	s_delay_alu instid0(VALU_DEP_2) | instskip(NEXT) | instid1(VALU_DEP_2)
	v_add_co_u32 v14, vcc_lo, v15, v14
	v_add_co_ci_u32_e32 v15, vcc_lo, 0, v16, vcc_lo
	s_delay_alu instid0(VALU_DEP_2) | instskip(NEXT) | instid1(VALU_DEP_2)
	v_add_co_u32 v3, vcc_lo, v3, v14
	v_add_co_ci_u32_e32 v19, vcc_lo, v13, v15, vcc_lo
	s_delay_alu instid0(VALU_DEP_2) | instskip(SKIP_1) | instid1(VALU_DEP_3)
	v_mul_hi_u32 v20, v11, v3
	v_mad_u64_u32 v[15:16], null, v12, v3, 0
	v_mad_u64_u32 v[13:14], null, v11, v19, 0
	v_mad_u64_u32 v[17:18], null, v12, v19, 0
	s_delay_alu instid0(VALU_DEP_2) | instskip(NEXT) | instid1(VALU_DEP_3)
	v_add_co_u32 v3, vcc_lo, v20, v13
	v_add_co_ci_u32_e32 v13, vcc_lo, 0, v14, vcc_lo
	s_delay_alu instid0(VALU_DEP_2) | instskip(NEXT) | instid1(VALU_DEP_2)
	v_add_co_u32 v3, vcc_lo, v3, v15
	v_add_co_ci_u32_e32 v3, vcc_lo, v13, v16, vcc_lo
	v_add_co_ci_u32_e32 v13, vcc_lo, 0, v18, vcc_lo
	s_delay_alu instid0(VALU_DEP_2) | instskip(NEXT) | instid1(VALU_DEP_2)
	v_add_co_u32 v3, vcc_lo, v3, v17
	v_add_co_ci_u32_e32 v15, vcc_lo, 0, v13, vcc_lo
	s_delay_alu instid0(VALU_DEP_2) | instskip(SKIP_1) | instid1(VALU_DEP_3)
	v_mul_lo_u32 v16, s27, v3
	v_mad_u64_u32 v[13:14], null, s26, v3, 0
	v_mul_lo_u32 v17, s26, v15
	s_delay_alu instid0(VALU_DEP_2) | instskip(NEXT) | instid1(VALU_DEP_2)
	v_sub_co_u32 v13, vcc_lo, v11, v13
	v_add3_u32 v14, v14, v17, v16
	s_delay_alu instid0(VALU_DEP_1) | instskip(NEXT) | instid1(VALU_DEP_1)
	v_sub_nc_u32_e32 v16, v12, v14
	v_subrev_co_ci_u32_e64 v16, s0, s27, v16, vcc_lo
	v_add_co_u32 v17, s0, v3, 2
	s_delay_alu instid0(VALU_DEP_1) | instskip(SKIP_3) | instid1(VALU_DEP_3)
	v_add_co_ci_u32_e64 v18, s0, 0, v15, s0
	v_sub_co_u32 v19, s0, v13, s26
	v_sub_co_ci_u32_e32 v14, vcc_lo, v12, v14, vcc_lo
	v_subrev_co_ci_u32_e64 v16, s0, 0, v16, s0
	v_cmp_le_u32_e32 vcc_lo, s26, v19
	s_delay_alu instid0(VALU_DEP_3) | instskip(SKIP_1) | instid1(VALU_DEP_4)
	v_cmp_eq_u32_e64 s0, s27, v14
	v_cndmask_b32_e64 v19, 0, -1, vcc_lo
	v_cmp_le_u32_e32 vcc_lo, s27, v16
	v_cndmask_b32_e64 v20, 0, -1, vcc_lo
	v_cmp_le_u32_e32 vcc_lo, s26, v13
	;; [unrolled: 2-line block ×3, first 2 shown]
	v_cndmask_b32_e64 v21, 0, -1, vcc_lo
	v_cmp_eq_u32_e32 vcc_lo, s27, v16
	s_delay_alu instid0(VALU_DEP_2) | instskip(SKIP_3) | instid1(VALU_DEP_3)
	v_cndmask_b32_e64 v13, v21, v13, s0
	v_cndmask_b32_e32 v16, v20, v19, vcc_lo
	v_add_co_u32 v19, vcc_lo, v3, 1
	v_add_co_ci_u32_e32 v20, vcc_lo, 0, v15, vcc_lo
	v_cmp_ne_u32_e32 vcc_lo, 0, v16
	s_delay_alu instid0(VALU_DEP_3) | instskip(NEXT) | instid1(VALU_DEP_3)
	v_cndmask_b32_e32 v16, v19, v17, vcc_lo
	v_cndmask_b32_e32 v14, v20, v18, vcc_lo
	v_cmp_ne_u32_e32 vcc_lo, 0, v13
	s_delay_alu instid0(VALU_DEP_3) | instskip(NEXT) | instid1(VALU_DEP_3)
	v_cndmask_b32_e32 v13, v3, v16, vcc_lo
	v_cndmask_b32_e32 v14, v15, v14, vcc_lo
.LBB65_16:                              ;   in Loop: Header=BB65_14 Depth=2
	s_and_not1_saveexec_b32 s0, s43
	s_cbranch_execz .LBB65_18
; %bb.17:                               ;   in Loop: Header=BB65_14 Depth=2
	v_cvt_f32_u32_e32 v3, s26
	s_sub_i32 s43, 0, s26
	s_delay_alu instid0(VALU_DEP_1) | instskip(SKIP_2) | instid1(VALU_DEP_1)
	v_rcp_iflag_f32_e32 v3, v3
	s_waitcnt_depctr 0xfff
	v_mul_f32_e32 v3, 0x4f7ffffe, v3
	v_cvt_u32_f32_e32 v3, v3
	s_delay_alu instid0(VALU_DEP_1) | instskip(NEXT) | instid1(VALU_DEP_1)
	v_mul_lo_u32 v13, s43, v3
	v_mul_hi_u32 v13, v3, v13
	s_delay_alu instid0(VALU_DEP_1) | instskip(NEXT) | instid1(VALU_DEP_1)
	v_add_nc_u32_e32 v3, v3, v13
	v_mul_hi_u32 v3, v11, v3
	s_delay_alu instid0(VALU_DEP_1) | instskip(SKIP_1) | instid1(VALU_DEP_2)
	v_mul_lo_u32 v13, v3, s26
	v_add_nc_u32_e32 v14, 1, v3
	v_sub_nc_u32_e32 v13, v11, v13
	s_delay_alu instid0(VALU_DEP_1) | instskip(SKIP_1) | instid1(VALU_DEP_2)
	v_subrev_nc_u32_e32 v15, s26, v13
	v_cmp_le_u32_e32 vcc_lo, s26, v13
	v_cndmask_b32_e32 v13, v13, v15, vcc_lo
	v_cndmask_b32_e32 v3, v3, v14, vcc_lo
	s_delay_alu instid0(VALU_DEP_2) | instskip(NEXT) | instid1(VALU_DEP_2)
	v_cmp_le_u32_e32 vcc_lo, s26, v13
	v_add_nc_u32_e32 v14, 1, v3
	s_delay_alu instid0(VALU_DEP_1)
	v_dual_cndmask_b32 v13, v3, v14 :: v_dual_mov_b32 v14, v2
.LBB65_18:                              ;   in Loop: Header=BB65_14 Depth=2
	s_or_b32 exec_lo, exec_lo, s0
	s_load_b64 s[44:45], s[24:25], 0xc8
	s_delay_alu instid0(VALU_DEP_1) | instskip(NEXT) | instid1(VALU_DEP_2)
	v_mul_lo_u32 v3, v14, s26
	v_mul_lo_u32 v17, v13, s27
	v_mad_u64_u32 v[15:16], null, v13, s26, 0
	s_add_i32 s42, s42, -1
	s_add_u32 s24, s24, -8
	s_addc_u32 s25, s25, -1
	s_cmp_gt_u32 s42, 2
	s_delay_alu instid0(VALU_DEP_1) | instskip(NEXT) | instid1(VALU_DEP_2)
	v_add3_u32 v3, v16, v17, v3
	v_sub_co_u32 v15, vcc_lo, v11, v15
	s_delay_alu instid0(VALU_DEP_2) | instskip(SKIP_1) | instid1(VALU_DEP_2)
	v_sub_co_ci_u32_e32 v3, vcc_lo, v12, v3, vcc_lo
	s_waitcnt lgkmcnt(0)
	v_mul_lo_u32 v16, s45, v15
	s_delay_alu instid0(VALU_DEP_2) | instskip(SKIP_1) | instid1(VALU_DEP_1)
	v_mul_lo_u32 v3, s44, v3
	v_mad_u64_u32 v[11:12], null, s44, v15, v[9:10]
	v_add3_u32 v10, v16, v12, v3
	s_delay_alu instid0(VALU_DEP_2)
	v_mov_b32_e32 v9, v11
	s_cbranch_scc0 .LBB65_20
; %bb.19:                               ;   in Loop: Header=BB65_14 Depth=2
	v_dual_mov_b32 v11, v13 :: v_dual_mov_b32 v12, v14
	s_branch .LBB65_14
.LBB65_20:                              ;   in Loop: Header=BB65_3 Depth=1
	s_delay_alu instid0(VALU_DEP_1) | instskip(SKIP_2) | instid1(VALU_DEP_1)
	v_mad_u64_u32 v[11:12], null, s2, v13, v[9:10]
	v_mul_lo_u32 v3, s2, v14
	v_mul_lo_u32 v9, s3, v13
	v_add3_u32 v12, v9, v12, v3
.LBB65_21:                              ;   in Loop: Header=BB65_3 Depth=1
	s_or_b32 exec_lo, exec_lo, s1
	v_dual_mov_b32 v14, v5 :: v_dual_mov_b32 v9, 0
	v_or_b32_e32 v13, 1, v4
	v_mov_b32_e32 v10, 0
	v_cmp_lt_i32_e64 s0, 1, v32
	s_delay_alu instid0(VALU_DEP_1)
	s_and_saveexec_b32 s42, s0
	s_cbranch_execz .LBB65_30
; %bb.22:                               ;   in Loop: Header=BB65_3 Depth=1
	v_mov_b32_e32 v15, 0
	v_dual_mov_b32 v16, 0 :: v_dual_mov_b32 v9, v13
	v_mov_b32_e32 v10, v14
	v_dual_mov_b32 v18, v14 :: v_dual_mov_b32 v17, v13
	s_and_not1_b32 vcc_lo, exec_lo, s28
	s_mov_b64 s[24:25], s[20:21]
	s_mov_b32 s43, s33
	s_cbranch_vccnz .LBB65_29
.LBB65_23:                              ;   Parent Loop BB65_3 Depth=1
                                        ; =>  This Inner Loop Header: Depth=2
	s_load_b64 s[26:27], s[24:25], 0x0
                                        ; implicit-def: $vgpr17_vgpr18
	s_mov_b32 s1, exec_lo
	s_waitcnt lgkmcnt(0)
	v_or_b32_e32 v3, s27, v10
	s_delay_alu instid0(VALU_DEP_1)
	v_cmpx_ne_u64_e32 0, v[2:3]
	s_xor_b32 s44, exec_lo, s1
	s_cbranch_execz .LBB65_25
; %bb.24:                               ;   in Loop: Header=BB65_23 Depth=2
	v_cvt_f32_u32_e32 v3, s26
	v_cvt_f32_u32_e32 v17, s27
	s_sub_u32 s1, 0, s26
	s_subb_u32 s45, 0, s27
	s_delay_alu instid0(VALU_DEP_1) | instskip(NEXT) | instid1(VALU_DEP_1)
	v_fmac_f32_e32 v3, 0x4f800000, v17
	v_rcp_f32_e32 v3, v3
	s_waitcnt_depctr 0xfff
	v_mul_f32_e32 v3, 0x5f7ffffc, v3
	s_delay_alu instid0(VALU_DEP_1) | instskip(NEXT) | instid1(VALU_DEP_1)
	v_mul_f32_e32 v17, 0x2f800000, v3
	v_trunc_f32_e32 v17, v17
	s_delay_alu instid0(VALU_DEP_1) | instskip(SKIP_1) | instid1(VALU_DEP_2)
	v_fmac_f32_e32 v3, 0xcf800000, v17
	v_cvt_u32_f32_e32 v17, v17
	v_cvt_u32_f32_e32 v3, v3
	s_delay_alu instid0(VALU_DEP_2) | instskip(NEXT) | instid1(VALU_DEP_2)
	v_mul_lo_u32 v18, s1, v17
	v_mul_hi_u32 v19, s1, v3
	v_mul_lo_u32 v20, s45, v3
	s_delay_alu instid0(VALU_DEP_2) | instskip(SKIP_1) | instid1(VALU_DEP_2)
	v_add_nc_u32_e32 v18, v19, v18
	v_mul_lo_u32 v19, s1, v3
	v_add_nc_u32_e32 v18, v18, v20
	s_delay_alu instid0(VALU_DEP_2) | instskip(NEXT) | instid1(VALU_DEP_2)
	v_mul_hi_u32 v20, v3, v19
	v_mul_lo_u32 v21, v3, v18
	v_mul_hi_u32 v22, v3, v18
	v_mul_hi_u32 v23, v17, v19
	v_mul_lo_u32 v19, v17, v19
	v_mul_hi_u32 v24, v17, v18
	v_mul_lo_u32 v18, v17, v18
	v_add_co_u32 v20, vcc_lo, v20, v21
	v_add_co_ci_u32_e32 v21, vcc_lo, 0, v22, vcc_lo
	s_delay_alu instid0(VALU_DEP_2) | instskip(NEXT) | instid1(VALU_DEP_2)
	v_add_co_u32 v19, vcc_lo, v20, v19
	v_add_co_ci_u32_e32 v19, vcc_lo, v21, v23, vcc_lo
	v_add_co_ci_u32_e32 v20, vcc_lo, 0, v24, vcc_lo
	s_delay_alu instid0(VALU_DEP_2) | instskip(NEXT) | instid1(VALU_DEP_2)
	v_add_co_u32 v18, vcc_lo, v19, v18
	v_add_co_ci_u32_e32 v19, vcc_lo, 0, v20, vcc_lo
	s_delay_alu instid0(VALU_DEP_2) | instskip(NEXT) | instid1(VALU_DEP_2)
	v_add_co_u32 v3, vcc_lo, v3, v18
	v_add_co_ci_u32_e32 v17, vcc_lo, v17, v19, vcc_lo
	s_delay_alu instid0(VALU_DEP_2) | instskip(SKIP_1) | instid1(VALU_DEP_3)
	v_mul_hi_u32 v18, s1, v3
	v_mul_lo_u32 v20, s45, v3
	v_mul_lo_u32 v19, s1, v17
	s_delay_alu instid0(VALU_DEP_1) | instskip(SKIP_1) | instid1(VALU_DEP_2)
	v_add_nc_u32_e32 v18, v18, v19
	v_mul_lo_u32 v19, s1, v3
	v_add_nc_u32_e32 v18, v18, v20
	s_delay_alu instid0(VALU_DEP_2) | instskip(NEXT) | instid1(VALU_DEP_2)
	v_mul_hi_u32 v20, v3, v19
	v_mul_lo_u32 v21, v3, v18
	v_mul_hi_u32 v22, v3, v18
	v_mul_hi_u32 v23, v17, v19
	v_mul_lo_u32 v19, v17, v19
	v_mul_hi_u32 v24, v17, v18
	v_mul_lo_u32 v18, v17, v18
	v_add_co_u32 v20, vcc_lo, v20, v21
	v_add_co_ci_u32_e32 v21, vcc_lo, 0, v22, vcc_lo
	s_delay_alu instid0(VALU_DEP_2) | instskip(NEXT) | instid1(VALU_DEP_2)
	v_add_co_u32 v19, vcc_lo, v20, v19
	v_add_co_ci_u32_e32 v19, vcc_lo, v21, v23, vcc_lo
	v_add_co_ci_u32_e32 v20, vcc_lo, 0, v24, vcc_lo
	s_delay_alu instid0(VALU_DEP_2) | instskip(NEXT) | instid1(VALU_DEP_2)
	v_add_co_u32 v18, vcc_lo, v19, v18
	v_add_co_ci_u32_e32 v19, vcc_lo, 0, v20, vcc_lo
	s_delay_alu instid0(VALU_DEP_2) | instskip(NEXT) | instid1(VALU_DEP_2)
	v_add_co_u32 v3, vcc_lo, v3, v18
	v_add_co_ci_u32_e32 v23, vcc_lo, v17, v19, vcc_lo
	s_delay_alu instid0(VALU_DEP_2) | instskip(SKIP_1) | instid1(VALU_DEP_3)
	v_mul_hi_u32 v24, v9, v3
	v_mad_u64_u32 v[19:20], null, v10, v3, 0
	v_mad_u64_u32 v[17:18], null, v9, v23, 0
	;; [unrolled: 1-line block ×3, first 2 shown]
	s_delay_alu instid0(VALU_DEP_2) | instskip(NEXT) | instid1(VALU_DEP_3)
	v_add_co_u32 v3, vcc_lo, v24, v17
	v_add_co_ci_u32_e32 v17, vcc_lo, 0, v18, vcc_lo
	s_delay_alu instid0(VALU_DEP_2) | instskip(NEXT) | instid1(VALU_DEP_2)
	v_add_co_u32 v3, vcc_lo, v3, v19
	v_add_co_ci_u32_e32 v3, vcc_lo, v17, v20, vcc_lo
	v_add_co_ci_u32_e32 v17, vcc_lo, 0, v22, vcc_lo
	s_delay_alu instid0(VALU_DEP_2) | instskip(NEXT) | instid1(VALU_DEP_2)
	v_add_co_u32 v3, vcc_lo, v3, v21
	v_add_co_ci_u32_e32 v19, vcc_lo, 0, v17, vcc_lo
	s_delay_alu instid0(VALU_DEP_2) | instskip(SKIP_1) | instid1(VALU_DEP_3)
	v_mul_lo_u32 v20, s27, v3
	v_mad_u64_u32 v[17:18], null, s26, v3, 0
	v_mul_lo_u32 v21, s26, v19
	s_delay_alu instid0(VALU_DEP_2) | instskip(NEXT) | instid1(VALU_DEP_2)
	v_sub_co_u32 v17, vcc_lo, v9, v17
	v_add3_u32 v18, v18, v21, v20
	s_delay_alu instid0(VALU_DEP_1) | instskip(NEXT) | instid1(VALU_DEP_1)
	v_sub_nc_u32_e32 v20, v10, v18
	v_subrev_co_ci_u32_e64 v20, s1, s27, v20, vcc_lo
	v_add_co_u32 v21, s1, v3, 2
	s_delay_alu instid0(VALU_DEP_1) | instskip(SKIP_3) | instid1(VALU_DEP_3)
	v_add_co_ci_u32_e64 v22, s1, 0, v19, s1
	v_sub_co_u32 v23, s1, v17, s26
	v_sub_co_ci_u32_e32 v18, vcc_lo, v10, v18, vcc_lo
	v_subrev_co_ci_u32_e64 v20, s1, 0, v20, s1
	v_cmp_le_u32_e32 vcc_lo, s26, v23
	s_delay_alu instid0(VALU_DEP_3) | instskip(SKIP_1) | instid1(VALU_DEP_4)
	v_cmp_eq_u32_e64 s1, s27, v18
	v_cndmask_b32_e64 v23, 0, -1, vcc_lo
	v_cmp_le_u32_e32 vcc_lo, s27, v20
	v_cndmask_b32_e64 v24, 0, -1, vcc_lo
	v_cmp_le_u32_e32 vcc_lo, s26, v17
	;; [unrolled: 2-line block ×3, first 2 shown]
	v_cndmask_b32_e64 v25, 0, -1, vcc_lo
	v_cmp_eq_u32_e32 vcc_lo, s27, v20
	s_delay_alu instid0(VALU_DEP_2) | instskip(SKIP_3) | instid1(VALU_DEP_3)
	v_cndmask_b32_e64 v17, v25, v17, s1
	v_cndmask_b32_e32 v20, v24, v23, vcc_lo
	v_add_co_u32 v23, vcc_lo, v3, 1
	v_add_co_ci_u32_e32 v24, vcc_lo, 0, v19, vcc_lo
	v_cmp_ne_u32_e32 vcc_lo, 0, v20
	s_delay_alu instid0(VALU_DEP_3) | instskip(NEXT) | instid1(VALU_DEP_3)
	v_cndmask_b32_e32 v20, v23, v21, vcc_lo
	v_cndmask_b32_e32 v18, v24, v22, vcc_lo
	v_cmp_ne_u32_e32 vcc_lo, 0, v17
	s_delay_alu instid0(VALU_DEP_3) | instskip(NEXT) | instid1(VALU_DEP_3)
	v_cndmask_b32_e32 v17, v3, v20, vcc_lo
	v_cndmask_b32_e32 v18, v19, v18, vcc_lo
.LBB65_25:                              ;   in Loop: Header=BB65_23 Depth=2
	s_and_not1_saveexec_b32 s1, s44
	s_cbranch_execz .LBB65_27
; %bb.26:                               ;   in Loop: Header=BB65_23 Depth=2
	v_cvt_f32_u32_e32 v3, s26
	s_sub_i32 s44, 0, s26
	s_delay_alu instid0(VALU_DEP_1) | instskip(SKIP_2) | instid1(VALU_DEP_1)
	v_rcp_iflag_f32_e32 v3, v3
	s_waitcnt_depctr 0xfff
	v_mul_f32_e32 v3, 0x4f7ffffe, v3
	v_cvt_u32_f32_e32 v3, v3
	s_delay_alu instid0(VALU_DEP_1) | instskip(NEXT) | instid1(VALU_DEP_1)
	v_mul_lo_u32 v17, s44, v3
	v_mul_hi_u32 v17, v3, v17
	s_delay_alu instid0(VALU_DEP_1) | instskip(NEXT) | instid1(VALU_DEP_1)
	v_add_nc_u32_e32 v3, v3, v17
	v_mul_hi_u32 v3, v9, v3
	s_delay_alu instid0(VALU_DEP_1) | instskip(SKIP_1) | instid1(VALU_DEP_2)
	v_mul_lo_u32 v17, v3, s26
	v_add_nc_u32_e32 v18, 1, v3
	v_sub_nc_u32_e32 v17, v9, v17
	s_delay_alu instid0(VALU_DEP_1) | instskip(SKIP_1) | instid1(VALU_DEP_2)
	v_subrev_nc_u32_e32 v19, s26, v17
	v_cmp_le_u32_e32 vcc_lo, s26, v17
	v_cndmask_b32_e32 v17, v17, v19, vcc_lo
	v_cndmask_b32_e32 v3, v3, v18, vcc_lo
	s_delay_alu instid0(VALU_DEP_2) | instskip(NEXT) | instid1(VALU_DEP_2)
	v_cmp_le_u32_e32 vcc_lo, s26, v17
	v_add_nc_u32_e32 v18, 1, v3
	s_delay_alu instid0(VALU_DEP_1)
	v_dual_cndmask_b32 v17, v3, v18 :: v_dual_mov_b32 v18, v2
.LBB65_27:                              ;   in Loop: Header=BB65_23 Depth=2
	s_or_b32 exec_lo, exec_lo, s1
	s_load_b64 s[44:45], s[24:25], 0xc8
	s_delay_alu instid0(VALU_DEP_1) | instskip(NEXT) | instid1(VALU_DEP_2)
	v_mul_lo_u32 v3, v18, s26
	v_mul_lo_u32 v21, v17, s27
	v_mad_u64_u32 v[19:20], null, v17, s26, 0
	s_add_i32 s43, s43, -1
	s_add_u32 s24, s24, -8
	s_addc_u32 s25, s25, -1
	s_cmp_gt_u32 s43, 2
	s_delay_alu instid0(VALU_DEP_1) | instskip(NEXT) | instid1(VALU_DEP_2)
	v_add3_u32 v3, v20, v21, v3
	v_sub_co_u32 v19, vcc_lo, v9, v19
	s_delay_alu instid0(VALU_DEP_2) | instskip(SKIP_1) | instid1(VALU_DEP_2)
	v_sub_co_ci_u32_e32 v3, vcc_lo, v10, v3, vcc_lo
	s_waitcnt lgkmcnt(0)
	v_mul_lo_u32 v20, s45, v19
	s_delay_alu instid0(VALU_DEP_2) | instskip(SKIP_1) | instid1(VALU_DEP_1)
	v_mul_lo_u32 v3, s44, v3
	v_mad_u64_u32 v[9:10], null, s44, v19, v[15:16]
	v_add3_u32 v16, v20, v10, v3
	s_delay_alu instid0(VALU_DEP_2)
	v_mov_b32_e32 v15, v9
	s_cbranch_scc0 .LBB65_29
; %bb.28:                               ;   in Loop: Header=BB65_23 Depth=2
	v_dual_mov_b32 v9, v17 :: v_dual_mov_b32 v10, v18
	s_branch .LBB65_23
.LBB65_29:                              ;   in Loop: Header=BB65_3 Depth=1
	s_delay_alu instid0(VALU_DEP_1) | instskip(SKIP_2) | instid1(VALU_DEP_1)
	v_mad_u64_u32 v[9:10], null, s14, v17, v[15:16]
	v_mul_lo_u32 v3, s14, v18
	v_mul_lo_u32 v15, s15, v17
	v_add3_u32 v10, v15, v10, v3
.LBB65_30:                              ;   in Loop: Header=BB65_3 Depth=1
	s_or_b32 exec_lo, exec_lo, s42
	v_mov_b32_e32 v15, 0
	v_mov_b32_e32 v16, 0
	s_and_saveexec_b32 s1, s0
	s_cbranch_execz .LBB65_33
; %bb.31:                               ;   in Loop: Header=BB65_3 Depth=1
	v_mov_b32_e32 v17, 0
	v_mov_b32_e32 v18, 0
	s_and_not1_b32 vcc_lo, exec_lo, s29
	s_mov_b64 s[24:25], s[22:23]
	s_mov_b32 s42, s34
	s_cbranch_vccz .LBB65_42
.LBB65_32:                              ;   in Loop: Header=BB65_3 Depth=1
	s_delay_alu instid0(VALU_DEP_1) | instskip(NEXT) | instid1(VALU_DEP_2)
	v_mad_u64_u32 v[15:16], null, s2, v13, v[17:18]
	v_mul_lo_u32 v3, s2, v14
	v_mul_lo_u32 v13, s3, v13
	s_delay_alu instid0(VALU_DEP_1)
	v_add3_u32 v16, v13, v16, v3
.LBB65_33:                              ;   in Loop: Header=BB65_3 Depth=1
	s_or_b32 exec_lo, exec_lo, s1
	v_dual_mov_b32 v18, v5 :: v_dual_mov_b32 v13, 0
	v_or_b32_e32 v17, 2, v4
	v_mov_b32_e32 v14, 0
	v_cmp_lt_i32_e64 s0, 2, v32
	s_delay_alu instid0(VALU_DEP_1)
	s_and_saveexec_b32 s42, s0
	s_cbranch_execz .LBB65_47
; %bb.34:                               ;   in Loop: Header=BB65_3 Depth=1
	v_mov_b32_e32 v19, 0
	v_dual_mov_b32 v20, 0 :: v_dual_mov_b32 v13, v17
	v_mov_b32_e32 v14, v18
	v_dual_mov_b32 v22, v18 :: v_dual_mov_b32 v21, v17
	s_and_not1_b32 vcc_lo, exec_lo, s28
	s_mov_b64 s[24:25], s[20:21]
	s_mov_b32 s43, s33
	s_cbranch_vccnz .LBB65_46
.LBB65_35:                              ;   Parent Loop BB65_3 Depth=1
                                        ; =>  This Inner Loop Header: Depth=2
	s_load_b64 s[26:27], s[24:25], 0x0
                                        ; implicit-def: $vgpr21_vgpr22
	s_mov_b32 s1, exec_lo
	s_waitcnt lgkmcnt(0)
	v_or_b32_e32 v3, s27, v14
	s_delay_alu instid0(VALU_DEP_1)
	v_cmpx_ne_u64_e32 0, v[2:3]
	s_xor_b32 s44, exec_lo, s1
	s_cbranch_execz .LBB65_37
; %bb.36:                               ;   in Loop: Header=BB65_35 Depth=2
	v_cvt_f32_u32_e32 v3, s26
	v_cvt_f32_u32_e32 v21, s27
	s_sub_u32 s1, 0, s26
	s_subb_u32 s45, 0, s27
	s_delay_alu instid0(VALU_DEP_1) | instskip(NEXT) | instid1(VALU_DEP_1)
	v_fmac_f32_e32 v3, 0x4f800000, v21
	v_rcp_f32_e32 v3, v3
	s_waitcnt_depctr 0xfff
	v_mul_f32_e32 v3, 0x5f7ffffc, v3
	s_delay_alu instid0(VALU_DEP_1) | instskip(NEXT) | instid1(VALU_DEP_1)
	v_mul_f32_e32 v21, 0x2f800000, v3
	v_trunc_f32_e32 v21, v21
	s_delay_alu instid0(VALU_DEP_1) | instskip(SKIP_1) | instid1(VALU_DEP_2)
	v_fmac_f32_e32 v3, 0xcf800000, v21
	v_cvt_u32_f32_e32 v21, v21
	v_cvt_u32_f32_e32 v3, v3
	s_delay_alu instid0(VALU_DEP_2) | instskip(NEXT) | instid1(VALU_DEP_2)
	v_mul_lo_u32 v22, s1, v21
	v_mul_hi_u32 v23, s1, v3
	v_mul_lo_u32 v24, s45, v3
	s_delay_alu instid0(VALU_DEP_2) | instskip(SKIP_1) | instid1(VALU_DEP_2)
	v_add_nc_u32_e32 v22, v23, v22
	v_mul_lo_u32 v23, s1, v3
	v_add_nc_u32_e32 v22, v22, v24
	s_delay_alu instid0(VALU_DEP_2) | instskip(NEXT) | instid1(VALU_DEP_2)
	v_mul_hi_u32 v24, v3, v23
	v_mul_lo_u32 v25, v3, v22
	v_mul_hi_u32 v26, v3, v22
	v_mul_hi_u32 v27, v21, v23
	v_mul_lo_u32 v23, v21, v23
	v_mul_hi_u32 v28, v21, v22
	v_mul_lo_u32 v22, v21, v22
	v_add_co_u32 v24, vcc_lo, v24, v25
	v_add_co_ci_u32_e32 v25, vcc_lo, 0, v26, vcc_lo
	s_delay_alu instid0(VALU_DEP_2) | instskip(NEXT) | instid1(VALU_DEP_2)
	v_add_co_u32 v23, vcc_lo, v24, v23
	v_add_co_ci_u32_e32 v23, vcc_lo, v25, v27, vcc_lo
	v_add_co_ci_u32_e32 v24, vcc_lo, 0, v28, vcc_lo
	s_delay_alu instid0(VALU_DEP_2) | instskip(NEXT) | instid1(VALU_DEP_2)
	v_add_co_u32 v22, vcc_lo, v23, v22
	v_add_co_ci_u32_e32 v23, vcc_lo, 0, v24, vcc_lo
	s_delay_alu instid0(VALU_DEP_2) | instskip(NEXT) | instid1(VALU_DEP_2)
	v_add_co_u32 v3, vcc_lo, v3, v22
	v_add_co_ci_u32_e32 v21, vcc_lo, v21, v23, vcc_lo
	s_delay_alu instid0(VALU_DEP_2) | instskip(SKIP_1) | instid1(VALU_DEP_3)
	v_mul_hi_u32 v22, s1, v3
	v_mul_lo_u32 v24, s45, v3
	v_mul_lo_u32 v23, s1, v21
	s_delay_alu instid0(VALU_DEP_1) | instskip(SKIP_1) | instid1(VALU_DEP_2)
	v_add_nc_u32_e32 v22, v22, v23
	v_mul_lo_u32 v23, s1, v3
	v_add_nc_u32_e32 v22, v22, v24
	s_delay_alu instid0(VALU_DEP_2) | instskip(NEXT) | instid1(VALU_DEP_2)
	v_mul_hi_u32 v24, v3, v23
	v_mul_lo_u32 v25, v3, v22
	v_mul_hi_u32 v26, v3, v22
	v_mul_hi_u32 v27, v21, v23
	v_mul_lo_u32 v23, v21, v23
	v_mul_hi_u32 v28, v21, v22
	v_mul_lo_u32 v22, v21, v22
	v_add_co_u32 v24, vcc_lo, v24, v25
	v_add_co_ci_u32_e32 v25, vcc_lo, 0, v26, vcc_lo
	s_delay_alu instid0(VALU_DEP_2) | instskip(NEXT) | instid1(VALU_DEP_2)
	v_add_co_u32 v23, vcc_lo, v24, v23
	v_add_co_ci_u32_e32 v23, vcc_lo, v25, v27, vcc_lo
	v_add_co_ci_u32_e32 v24, vcc_lo, 0, v28, vcc_lo
	s_delay_alu instid0(VALU_DEP_2) | instskip(NEXT) | instid1(VALU_DEP_2)
	v_add_co_u32 v22, vcc_lo, v23, v22
	v_add_co_ci_u32_e32 v23, vcc_lo, 0, v24, vcc_lo
	s_delay_alu instid0(VALU_DEP_2) | instskip(NEXT) | instid1(VALU_DEP_2)
	v_add_co_u32 v3, vcc_lo, v3, v22
	v_add_co_ci_u32_e32 v27, vcc_lo, v21, v23, vcc_lo
	s_delay_alu instid0(VALU_DEP_2) | instskip(SKIP_1) | instid1(VALU_DEP_3)
	v_mul_hi_u32 v28, v13, v3
	v_mad_u64_u32 v[23:24], null, v14, v3, 0
	v_mad_u64_u32 v[21:22], null, v13, v27, 0
	;; [unrolled: 1-line block ×3, first 2 shown]
	s_delay_alu instid0(VALU_DEP_2) | instskip(NEXT) | instid1(VALU_DEP_3)
	v_add_co_u32 v3, vcc_lo, v28, v21
	v_add_co_ci_u32_e32 v21, vcc_lo, 0, v22, vcc_lo
	s_delay_alu instid0(VALU_DEP_2) | instskip(NEXT) | instid1(VALU_DEP_2)
	v_add_co_u32 v3, vcc_lo, v3, v23
	v_add_co_ci_u32_e32 v3, vcc_lo, v21, v24, vcc_lo
	v_add_co_ci_u32_e32 v21, vcc_lo, 0, v26, vcc_lo
	s_delay_alu instid0(VALU_DEP_2) | instskip(NEXT) | instid1(VALU_DEP_2)
	v_add_co_u32 v3, vcc_lo, v3, v25
	v_add_co_ci_u32_e32 v23, vcc_lo, 0, v21, vcc_lo
	s_delay_alu instid0(VALU_DEP_2) | instskip(SKIP_1) | instid1(VALU_DEP_3)
	v_mul_lo_u32 v24, s27, v3
	v_mad_u64_u32 v[21:22], null, s26, v3, 0
	v_mul_lo_u32 v25, s26, v23
	s_delay_alu instid0(VALU_DEP_2) | instskip(NEXT) | instid1(VALU_DEP_2)
	v_sub_co_u32 v21, vcc_lo, v13, v21
	v_add3_u32 v22, v22, v25, v24
	s_delay_alu instid0(VALU_DEP_1) | instskip(NEXT) | instid1(VALU_DEP_1)
	v_sub_nc_u32_e32 v24, v14, v22
	v_subrev_co_ci_u32_e64 v24, s1, s27, v24, vcc_lo
	v_add_co_u32 v25, s1, v3, 2
	s_delay_alu instid0(VALU_DEP_1) | instskip(SKIP_3) | instid1(VALU_DEP_3)
	v_add_co_ci_u32_e64 v26, s1, 0, v23, s1
	v_sub_co_u32 v27, s1, v21, s26
	v_sub_co_ci_u32_e32 v22, vcc_lo, v14, v22, vcc_lo
	v_subrev_co_ci_u32_e64 v24, s1, 0, v24, s1
	v_cmp_le_u32_e32 vcc_lo, s26, v27
	s_delay_alu instid0(VALU_DEP_3) | instskip(SKIP_1) | instid1(VALU_DEP_4)
	v_cmp_eq_u32_e64 s1, s27, v22
	v_cndmask_b32_e64 v27, 0, -1, vcc_lo
	v_cmp_le_u32_e32 vcc_lo, s27, v24
	v_cndmask_b32_e64 v28, 0, -1, vcc_lo
	v_cmp_le_u32_e32 vcc_lo, s26, v21
	;; [unrolled: 2-line block ×3, first 2 shown]
	v_cndmask_b32_e64 v29, 0, -1, vcc_lo
	v_cmp_eq_u32_e32 vcc_lo, s27, v24
	s_delay_alu instid0(VALU_DEP_2) | instskip(SKIP_3) | instid1(VALU_DEP_3)
	v_cndmask_b32_e64 v21, v29, v21, s1
	v_cndmask_b32_e32 v24, v28, v27, vcc_lo
	v_add_co_u32 v27, vcc_lo, v3, 1
	v_add_co_ci_u32_e32 v28, vcc_lo, 0, v23, vcc_lo
	v_cmp_ne_u32_e32 vcc_lo, 0, v24
	s_delay_alu instid0(VALU_DEP_3) | instskip(NEXT) | instid1(VALU_DEP_3)
	v_cndmask_b32_e32 v24, v27, v25, vcc_lo
	v_cndmask_b32_e32 v22, v28, v26, vcc_lo
	v_cmp_ne_u32_e32 vcc_lo, 0, v21
	s_delay_alu instid0(VALU_DEP_3) | instskip(NEXT) | instid1(VALU_DEP_3)
	v_cndmask_b32_e32 v21, v3, v24, vcc_lo
	v_cndmask_b32_e32 v22, v23, v22, vcc_lo
.LBB65_37:                              ;   in Loop: Header=BB65_35 Depth=2
	s_and_not1_saveexec_b32 s1, s44
	s_cbranch_execz .LBB65_39
; %bb.38:                               ;   in Loop: Header=BB65_35 Depth=2
	v_cvt_f32_u32_e32 v3, s26
	s_sub_i32 s44, 0, s26
	s_delay_alu instid0(VALU_DEP_1) | instskip(SKIP_2) | instid1(VALU_DEP_1)
	v_rcp_iflag_f32_e32 v3, v3
	s_waitcnt_depctr 0xfff
	v_mul_f32_e32 v3, 0x4f7ffffe, v3
	v_cvt_u32_f32_e32 v3, v3
	s_delay_alu instid0(VALU_DEP_1) | instskip(NEXT) | instid1(VALU_DEP_1)
	v_mul_lo_u32 v21, s44, v3
	v_mul_hi_u32 v21, v3, v21
	s_delay_alu instid0(VALU_DEP_1) | instskip(NEXT) | instid1(VALU_DEP_1)
	v_add_nc_u32_e32 v3, v3, v21
	v_mul_hi_u32 v3, v13, v3
	s_delay_alu instid0(VALU_DEP_1) | instskip(SKIP_1) | instid1(VALU_DEP_2)
	v_mul_lo_u32 v21, v3, s26
	v_add_nc_u32_e32 v22, 1, v3
	v_sub_nc_u32_e32 v21, v13, v21
	s_delay_alu instid0(VALU_DEP_1) | instskip(SKIP_1) | instid1(VALU_DEP_2)
	v_subrev_nc_u32_e32 v23, s26, v21
	v_cmp_le_u32_e32 vcc_lo, s26, v21
	v_cndmask_b32_e32 v21, v21, v23, vcc_lo
	v_cndmask_b32_e32 v3, v3, v22, vcc_lo
	s_delay_alu instid0(VALU_DEP_2) | instskip(NEXT) | instid1(VALU_DEP_2)
	v_cmp_le_u32_e32 vcc_lo, s26, v21
	v_add_nc_u32_e32 v22, 1, v3
	s_delay_alu instid0(VALU_DEP_1)
	v_dual_cndmask_b32 v21, v3, v22 :: v_dual_mov_b32 v22, v2
.LBB65_39:                              ;   in Loop: Header=BB65_35 Depth=2
	s_or_b32 exec_lo, exec_lo, s1
	s_load_b64 s[44:45], s[24:25], 0xc8
	s_delay_alu instid0(VALU_DEP_1) | instskip(NEXT) | instid1(VALU_DEP_2)
	v_mul_lo_u32 v3, v22, s26
	v_mul_lo_u32 v25, v21, s27
	v_mad_u64_u32 v[23:24], null, v21, s26, 0
	s_add_i32 s43, s43, -1
	s_add_u32 s24, s24, -8
	s_addc_u32 s25, s25, -1
	s_cmp_gt_u32 s43, 2
	s_delay_alu instid0(VALU_DEP_1) | instskip(NEXT) | instid1(VALU_DEP_2)
	v_add3_u32 v3, v24, v25, v3
	v_sub_co_u32 v23, vcc_lo, v13, v23
	s_delay_alu instid0(VALU_DEP_2) | instskip(SKIP_1) | instid1(VALU_DEP_2)
	v_sub_co_ci_u32_e32 v3, vcc_lo, v14, v3, vcc_lo
	s_waitcnt lgkmcnt(0)
	v_mul_lo_u32 v24, s45, v23
	s_delay_alu instid0(VALU_DEP_2) | instskip(SKIP_1) | instid1(VALU_DEP_1)
	v_mul_lo_u32 v3, s44, v3
	v_mad_u64_u32 v[13:14], null, s44, v23, v[19:20]
	v_add3_u32 v20, v24, v14, v3
	s_delay_alu instid0(VALU_DEP_2)
	v_mov_b32_e32 v19, v13
	s_cbranch_scc0 .LBB65_46
; %bb.40:                               ;   in Loop: Header=BB65_35 Depth=2
	v_dual_mov_b32 v13, v21 :: v_dual_mov_b32 v14, v22
	s_branch .LBB65_35
.LBB65_41:                              ;   in Loop: Header=BB65_42 Depth=2
	s_or_b32 exec_lo, exec_lo, s0
	s_load_b64 s[44:45], s[24:25], 0xc8
	s_delay_alu instid0(VALU_DEP_1)
	v_mul_lo_u32 v3, v16, s26
	v_mul_lo_u32 v21, v15, s27
	v_mad_u64_u32 v[19:20], null, v15, s26, 0
	s_add_i32 s42, s42, -1
	s_add_u32 s24, s24, -8
	s_addc_u32 s25, s25, -1
	s_cmp_gt_u32 s42, 2
	s_delay_alu instid0(VALU_DEP_1) | instskip(NEXT) | instid1(VALU_DEP_2)
	v_add3_u32 v3, v20, v21, v3
	v_sub_co_u32 v19, vcc_lo, v13, v19
	s_delay_alu instid0(VALU_DEP_2) | instskip(SKIP_1) | instid1(VALU_DEP_2)
	v_sub_co_ci_u32_e32 v3, vcc_lo, v14, v3, vcc_lo
	s_waitcnt lgkmcnt(0)
	v_mul_lo_u32 v20, s45, v19
	s_delay_alu instid0(VALU_DEP_2) | instskip(SKIP_1) | instid1(VALU_DEP_1)
	v_mul_lo_u32 v3, s44, v3
	v_mad_u64_u32 v[13:14], null, s44, v19, v[17:18]
	v_add3_u32 v18, v20, v14, v3
	s_delay_alu instid0(VALU_DEP_2)
	v_mov_b32_e32 v17, v13
	v_dual_mov_b32 v13, v15 :: v_dual_mov_b32 v14, v16
	s_cbranch_scc0 .LBB65_32
.LBB65_42:                              ;   Parent Loop BB65_3 Depth=1
                                        ; =>  This Inner Loop Header: Depth=2
	s_load_b64 s[26:27], s[24:25], 0x0
                                        ; implicit-def: $vgpr15_vgpr16
	s_mov_b32 s0, exec_lo
	s_waitcnt lgkmcnt(0)
	v_or_b32_e32 v3, s27, v14
	s_delay_alu instid0(VALU_DEP_1)
	v_cmpx_ne_u64_e32 0, v[2:3]
	s_xor_b32 s43, exec_lo, s0
	s_cbranch_execz .LBB65_44
; %bb.43:                               ;   in Loop: Header=BB65_42 Depth=2
	v_cvt_f32_u32_e32 v3, s26
	v_cvt_f32_u32_e32 v15, s27
	s_sub_u32 s0, 0, s26
	s_subb_u32 s44, 0, s27
	s_delay_alu instid0(VALU_DEP_1) | instskip(NEXT) | instid1(VALU_DEP_1)
	v_fmac_f32_e32 v3, 0x4f800000, v15
	v_rcp_f32_e32 v3, v3
	s_waitcnt_depctr 0xfff
	v_mul_f32_e32 v3, 0x5f7ffffc, v3
	s_delay_alu instid0(VALU_DEP_1) | instskip(NEXT) | instid1(VALU_DEP_1)
	v_mul_f32_e32 v15, 0x2f800000, v3
	v_trunc_f32_e32 v15, v15
	s_delay_alu instid0(VALU_DEP_1) | instskip(SKIP_1) | instid1(VALU_DEP_2)
	v_fmac_f32_e32 v3, 0xcf800000, v15
	v_cvt_u32_f32_e32 v15, v15
	v_cvt_u32_f32_e32 v3, v3
	s_delay_alu instid0(VALU_DEP_2) | instskip(NEXT) | instid1(VALU_DEP_2)
	v_mul_lo_u32 v16, s0, v15
	v_mul_hi_u32 v19, s0, v3
	v_mul_lo_u32 v20, s44, v3
	s_delay_alu instid0(VALU_DEP_2) | instskip(SKIP_1) | instid1(VALU_DEP_2)
	v_add_nc_u32_e32 v16, v19, v16
	v_mul_lo_u32 v19, s0, v3
	v_add_nc_u32_e32 v16, v16, v20
	s_delay_alu instid0(VALU_DEP_2) | instskip(NEXT) | instid1(VALU_DEP_2)
	v_mul_hi_u32 v20, v3, v19
	v_mul_lo_u32 v21, v3, v16
	v_mul_hi_u32 v22, v3, v16
	v_mul_hi_u32 v23, v15, v19
	v_mul_lo_u32 v19, v15, v19
	v_mul_hi_u32 v24, v15, v16
	v_mul_lo_u32 v16, v15, v16
	v_add_co_u32 v20, vcc_lo, v20, v21
	v_add_co_ci_u32_e32 v21, vcc_lo, 0, v22, vcc_lo
	s_delay_alu instid0(VALU_DEP_2) | instskip(NEXT) | instid1(VALU_DEP_2)
	v_add_co_u32 v19, vcc_lo, v20, v19
	v_add_co_ci_u32_e32 v19, vcc_lo, v21, v23, vcc_lo
	v_add_co_ci_u32_e32 v20, vcc_lo, 0, v24, vcc_lo
	s_delay_alu instid0(VALU_DEP_2) | instskip(NEXT) | instid1(VALU_DEP_2)
	v_add_co_u32 v16, vcc_lo, v19, v16
	v_add_co_ci_u32_e32 v19, vcc_lo, 0, v20, vcc_lo
	s_delay_alu instid0(VALU_DEP_2) | instskip(NEXT) | instid1(VALU_DEP_2)
	v_add_co_u32 v3, vcc_lo, v3, v16
	v_add_co_ci_u32_e32 v15, vcc_lo, v15, v19, vcc_lo
	s_delay_alu instid0(VALU_DEP_2) | instskip(SKIP_1) | instid1(VALU_DEP_3)
	v_mul_hi_u32 v16, s0, v3
	v_mul_lo_u32 v20, s44, v3
	v_mul_lo_u32 v19, s0, v15
	s_delay_alu instid0(VALU_DEP_1) | instskip(SKIP_1) | instid1(VALU_DEP_2)
	v_add_nc_u32_e32 v16, v16, v19
	v_mul_lo_u32 v19, s0, v3
	v_add_nc_u32_e32 v16, v16, v20
	s_delay_alu instid0(VALU_DEP_2) | instskip(NEXT) | instid1(VALU_DEP_2)
	v_mul_hi_u32 v20, v3, v19
	v_mul_lo_u32 v21, v3, v16
	v_mul_hi_u32 v22, v3, v16
	v_mul_hi_u32 v23, v15, v19
	v_mul_lo_u32 v19, v15, v19
	v_mul_hi_u32 v24, v15, v16
	v_mul_lo_u32 v16, v15, v16
	v_add_co_u32 v20, vcc_lo, v20, v21
	v_add_co_ci_u32_e32 v21, vcc_lo, 0, v22, vcc_lo
	s_delay_alu instid0(VALU_DEP_2) | instskip(NEXT) | instid1(VALU_DEP_2)
	v_add_co_u32 v19, vcc_lo, v20, v19
	v_add_co_ci_u32_e32 v19, vcc_lo, v21, v23, vcc_lo
	v_add_co_ci_u32_e32 v20, vcc_lo, 0, v24, vcc_lo
	s_delay_alu instid0(VALU_DEP_2) | instskip(NEXT) | instid1(VALU_DEP_2)
	v_add_co_u32 v16, vcc_lo, v19, v16
	v_add_co_ci_u32_e32 v19, vcc_lo, 0, v20, vcc_lo
	s_delay_alu instid0(VALU_DEP_2) | instskip(NEXT) | instid1(VALU_DEP_2)
	v_add_co_u32 v3, vcc_lo, v3, v16
	v_add_co_ci_u32_e32 v23, vcc_lo, v15, v19, vcc_lo
	s_delay_alu instid0(VALU_DEP_2) | instskip(SKIP_1) | instid1(VALU_DEP_3)
	v_mul_hi_u32 v24, v13, v3
	v_mad_u64_u32 v[19:20], null, v14, v3, 0
	v_mad_u64_u32 v[15:16], null, v13, v23, 0
	;; [unrolled: 1-line block ×3, first 2 shown]
	s_delay_alu instid0(VALU_DEP_2) | instskip(NEXT) | instid1(VALU_DEP_3)
	v_add_co_u32 v3, vcc_lo, v24, v15
	v_add_co_ci_u32_e32 v15, vcc_lo, 0, v16, vcc_lo
	s_delay_alu instid0(VALU_DEP_2) | instskip(NEXT) | instid1(VALU_DEP_2)
	v_add_co_u32 v3, vcc_lo, v3, v19
	v_add_co_ci_u32_e32 v3, vcc_lo, v15, v20, vcc_lo
	v_add_co_ci_u32_e32 v15, vcc_lo, 0, v22, vcc_lo
	s_delay_alu instid0(VALU_DEP_2) | instskip(NEXT) | instid1(VALU_DEP_2)
	v_add_co_u32 v3, vcc_lo, v3, v21
	v_add_co_ci_u32_e32 v19, vcc_lo, 0, v15, vcc_lo
	s_delay_alu instid0(VALU_DEP_2) | instskip(SKIP_1) | instid1(VALU_DEP_3)
	v_mul_lo_u32 v20, s27, v3
	v_mad_u64_u32 v[15:16], null, s26, v3, 0
	v_mul_lo_u32 v21, s26, v19
	s_delay_alu instid0(VALU_DEP_2) | instskip(NEXT) | instid1(VALU_DEP_2)
	v_sub_co_u32 v15, vcc_lo, v13, v15
	v_add3_u32 v16, v16, v21, v20
	s_delay_alu instid0(VALU_DEP_1) | instskip(NEXT) | instid1(VALU_DEP_1)
	v_sub_nc_u32_e32 v20, v14, v16
	v_subrev_co_ci_u32_e64 v20, s0, s27, v20, vcc_lo
	v_add_co_u32 v21, s0, v3, 2
	s_delay_alu instid0(VALU_DEP_1) | instskip(SKIP_3) | instid1(VALU_DEP_3)
	v_add_co_ci_u32_e64 v22, s0, 0, v19, s0
	v_sub_co_u32 v23, s0, v15, s26
	v_sub_co_ci_u32_e32 v16, vcc_lo, v14, v16, vcc_lo
	v_subrev_co_ci_u32_e64 v20, s0, 0, v20, s0
	v_cmp_le_u32_e32 vcc_lo, s26, v23
	s_delay_alu instid0(VALU_DEP_3) | instskip(SKIP_1) | instid1(VALU_DEP_4)
	v_cmp_eq_u32_e64 s0, s27, v16
	v_cndmask_b32_e64 v23, 0, -1, vcc_lo
	v_cmp_le_u32_e32 vcc_lo, s27, v20
	v_cndmask_b32_e64 v24, 0, -1, vcc_lo
	v_cmp_le_u32_e32 vcc_lo, s26, v15
	;; [unrolled: 2-line block ×3, first 2 shown]
	v_cndmask_b32_e64 v25, 0, -1, vcc_lo
	v_cmp_eq_u32_e32 vcc_lo, s27, v20
	s_delay_alu instid0(VALU_DEP_2) | instskip(SKIP_3) | instid1(VALU_DEP_3)
	v_cndmask_b32_e64 v15, v25, v15, s0
	v_cndmask_b32_e32 v20, v24, v23, vcc_lo
	v_add_co_u32 v23, vcc_lo, v3, 1
	v_add_co_ci_u32_e32 v24, vcc_lo, 0, v19, vcc_lo
	v_cmp_ne_u32_e32 vcc_lo, 0, v20
	s_delay_alu instid0(VALU_DEP_2) | instskip(NEXT) | instid1(VALU_DEP_4)
	v_cndmask_b32_e32 v16, v24, v22, vcc_lo
	v_cndmask_b32_e32 v20, v23, v21, vcc_lo
	v_cmp_ne_u32_e32 vcc_lo, 0, v15
	s_delay_alu instid0(VALU_DEP_2) | instskip(NEXT) | instid1(VALU_DEP_4)
	v_cndmask_b32_e32 v15, v3, v20, vcc_lo
	v_cndmask_b32_e32 v16, v19, v16, vcc_lo
.LBB65_44:                              ;   in Loop: Header=BB65_42 Depth=2
	s_and_not1_saveexec_b32 s0, s43
	s_cbranch_execz .LBB65_41
; %bb.45:                               ;   in Loop: Header=BB65_42 Depth=2
	v_cvt_f32_u32_e32 v3, s26
	s_sub_i32 s43, 0, s26
	s_delay_alu instid0(VALU_DEP_1) | instskip(SKIP_2) | instid1(VALU_DEP_1)
	v_rcp_iflag_f32_e32 v3, v3
	s_waitcnt_depctr 0xfff
	v_mul_f32_e32 v3, 0x4f7ffffe, v3
	v_cvt_u32_f32_e32 v3, v3
	s_delay_alu instid0(VALU_DEP_1) | instskip(NEXT) | instid1(VALU_DEP_1)
	v_mul_lo_u32 v15, s43, v3
	v_mul_hi_u32 v15, v3, v15
	s_delay_alu instid0(VALU_DEP_1) | instskip(NEXT) | instid1(VALU_DEP_1)
	v_add_nc_u32_e32 v3, v3, v15
	v_mul_hi_u32 v3, v13, v3
	s_delay_alu instid0(VALU_DEP_1) | instskip(SKIP_1) | instid1(VALU_DEP_2)
	v_mul_lo_u32 v15, v3, s26
	v_add_nc_u32_e32 v16, 1, v3
	v_sub_nc_u32_e32 v15, v13, v15
	s_delay_alu instid0(VALU_DEP_1) | instskip(SKIP_1) | instid1(VALU_DEP_2)
	v_subrev_nc_u32_e32 v19, s26, v15
	v_cmp_le_u32_e32 vcc_lo, s26, v15
	v_cndmask_b32_e32 v15, v15, v19, vcc_lo
	v_cndmask_b32_e32 v3, v3, v16, vcc_lo
	s_delay_alu instid0(VALU_DEP_2) | instskip(NEXT) | instid1(VALU_DEP_2)
	v_cmp_le_u32_e32 vcc_lo, s26, v15
	v_add_nc_u32_e32 v16, 1, v3
	s_delay_alu instid0(VALU_DEP_1)
	v_dual_cndmask_b32 v15, v3, v16 :: v_dual_mov_b32 v16, v2
	s_branch .LBB65_41
.LBB65_46:                              ;   in Loop: Header=BB65_3 Depth=1
	s_delay_alu instid0(VALU_DEP_1) | instskip(SKIP_2) | instid1(VALU_DEP_1)
	v_mad_u64_u32 v[13:14], null, s14, v21, v[19:20]
	v_mul_lo_u32 v3, s14, v22
	v_mul_lo_u32 v19, s15, v21
	v_add3_u32 v14, v19, v14, v3
.LBB65_47:                              ;   in Loop: Header=BB65_3 Depth=1
	s_or_b32 exec_lo, exec_lo, s42
	v_mov_b32_e32 v19, 0
	v_mov_b32_e32 v20, 0
	s_and_saveexec_b32 s1, s0
	s_cbranch_execz .LBB65_50
; %bb.48:                               ;   in Loop: Header=BB65_3 Depth=1
	v_mov_b32_e32 v21, 0
	v_mov_b32_e32 v22, 0
	s_and_not1_b32 vcc_lo, exec_lo, s29
	s_mov_b64 s[24:25], s[22:23]
	s_mov_b32 s42, s34
	s_cbranch_vccz .LBB65_59
.LBB65_49:                              ;   in Loop: Header=BB65_3 Depth=1
	s_delay_alu instid0(VALU_DEP_1) | instskip(NEXT) | instid1(VALU_DEP_2)
	v_mad_u64_u32 v[19:20], null, s2, v17, v[21:22]
	v_mul_lo_u32 v3, s2, v18
	v_mul_lo_u32 v17, s3, v17
	s_delay_alu instid0(VALU_DEP_1)
	v_add3_u32 v20, v17, v20, v3
.LBB65_50:                              ;   in Loop: Header=BB65_3 Depth=1
	s_or_b32 exec_lo, exec_lo, s1
	v_dual_mov_b32 v22, v5 :: v_dual_mov_b32 v17, 0
	v_or_b32_e32 v21, 3, v4
	v_mov_b32_e32 v18, 0
	v_cmp_lt_i32_e64 s0, 3, v32
	s_delay_alu instid0(VALU_DEP_1)
	s_and_saveexec_b32 s42, s0
	s_cbranch_execz .LBB65_64
; %bb.51:                               ;   in Loop: Header=BB65_3 Depth=1
	v_mov_b32_e32 v23, 0
	v_dual_mov_b32 v24, 0 :: v_dual_mov_b32 v17, v21
	v_mov_b32_e32 v18, v22
	v_dual_mov_b32 v26, v22 :: v_dual_mov_b32 v25, v21
	s_and_not1_b32 vcc_lo, exec_lo, s28
	s_mov_b64 s[24:25], s[20:21]
	s_mov_b32 s43, s33
	s_cbranch_vccnz .LBB65_63
.LBB65_52:                              ;   Parent Loop BB65_3 Depth=1
                                        ; =>  This Inner Loop Header: Depth=2
	s_load_b64 s[26:27], s[24:25], 0x0
                                        ; implicit-def: $vgpr25_vgpr26
	s_mov_b32 s1, exec_lo
	s_waitcnt lgkmcnt(0)
	v_or_b32_e32 v3, s27, v18
	s_delay_alu instid0(VALU_DEP_1)
	v_cmpx_ne_u64_e32 0, v[2:3]
	s_xor_b32 s44, exec_lo, s1
	s_cbranch_execz .LBB65_54
; %bb.53:                               ;   in Loop: Header=BB65_52 Depth=2
	v_cvt_f32_u32_e32 v3, s26
	v_cvt_f32_u32_e32 v25, s27
	s_sub_u32 s1, 0, s26
	s_subb_u32 s45, 0, s27
	s_delay_alu instid0(VALU_DEP_1) | instskip(NEXT) | instid1(VALU_DEP_1)
	v_fmac_f32_e32 v3, 0x4f800000, v25
	v_rcp_f32_e32 v3, v3
	s_waitcnt_depctr 0xfff
	v_mul_f32_e32 v3, 0x5f7ffffc, v3
	s_delay_alu instid0(VALU_DEP_1) | instskip(NEXT) | instid1(VALU_DEP_1)
	v_mul_f32_e32 v25, 0x2f800000, v3
	v_trunc_f32_e32 v25, v25
	s_delay_alu instid0(VALU_DEP_1) | instskip(SKIP_1) | instid1(VALU_DEP_2)
	v_fmac_f32_e32 v3, 0xcf800000, v25
	v_cvt_u32_f32_e32 v25, v25
	v_cvt_u32_f32_e32 v3, v3
	s_delay_alu instid0(VALU_DEP_2) | instskip(NEXT) | instid1(VALU_DEP_2)
	v_mul_lo_u32 v26, s1, v25
	v_mul_hi_u32 v27, s1, v3
	v_mul_lo_u32 v28, s45, v3
	s_delay_alu instid0(VALU_DEP_2) | instskip(SKIP_1) | instid1(VALU_DEP_2)
	v_add_nc_u32_e32 v26, v27, v26
	v_mul_lo_u32 v27, s1, v3
	v_add_nc_u32_e32 v26, v26, v28
	s_delay_alu instid0(VALU_DEP_2) | instskip(NEXT) | instid1(VALU_DEP_2)
	v_mul_hi_u32 v28, v3, v27
	v_mul_lo_u32 v29, v3, v26
	v_mul_hi_u32 v30, v3, v26
	v_mul_hi_u32 v31, v25, v27
	v_mul_lo_u32 v27, v25, v27
	v_mul_hi_u32 v33, v25, v26
	v_mul_lo_u32 v26, v25, v26
	v_add_co_u32 v28, vcc_lo, v28, v29
	v_add_co_ci_u32_e32 v29, vcc_lo, 0, v30, vcc_lo
	s_delay_alu instid0(VALU_DEP_2) | instskip(NEXT) | instid1(VALU_DEP_2)
	v_add_co_u32 v27, vcc_lo, v28, v27
	v_add_co_ci_u32_e32 v27, vcc_lo, v29, v31, vcc_lo
	v_add_co_ci_u32_e32 v28, vcc_lo, 0, v33, vcc_lo
	s_delay_alu instid0(VALU_DEP_2) | instskip(NEXT) | instid1(VALU_DEP_2)
	v_add_co_u32 v26, vcc_lo, v27, v26
	v_add_co_ci_u32_e32 v27, vcc_lo, 0, v28, vcc_lo
	s_delay_alu instid0(VALU_DEP_2) | instskip(NEXT) | instid1(VALU_DEP_2)
	v_add_co_u32 v3, vcc_lo, v3, v26
	v_add_co_ci_u32_e32 v25, vcc_lo, v25, v27, vcc_lo
	s_delay_alu instid0(VALU_DEP_2) | instskip(SKIP_1) | instid1(VALU_DEP_3)
	v_mul_hi_u32 v26, s1, v3
	v_mul_lo_u32 v28, s45, v3
	v_mul_lo_u32 v27, s1, v25
	s_delay_alu instid0(VALU_DEP_1) | instskip(SKIP_1) | instid1(VALU_DEP_2)
	v_add_nc_u32_e32 v26, v26, v27
	v_mul_lo_u32 v27, s1, v3
	v_add_nc_u32_e32 v26, v26, v28
	s_delay_alu instid0(VALU_DEP_2) | instskip(NEXT) | instid1(VALU_DEP_2)
	v_mul_hi_u32 v28, v3, v27
	v_mul_lo_u32 v29, v3, v26
	v_mul_hi_u32 v30, v3, v26
	v_mul_hi_u32 v31, v25, v27
	v_mul_lo_u32 v27, v25, v27
	v_mul_hi_u32 v33, v25, v26
	v_mul_lo_u32 v26, v25, v26
	v_add_co_u32 v28, vcc_lo, v28, v29
	v_add_co_ci_u32_e32 v29, vcc_lo, 0, v30, vcc_lo
	s_delay_alu instid0(VALU_DEP_2) | instskip(NEXT) | instid1(VALU_DEP_2)
	v_add_co_u32 v27, vcc_lo, v28, v27
	v_add_co_ci_u32_e32 v27, vcc_lo, v29, v31, vcc_lo
	v_add_co_ci_u32_e32 v28, vcc_lo, 0, v33, vcc_lo
	s_delay_alu instid0(VALU_DEP_2) | instskip(NEXT) | instid1(VALU_DEP_2)
	v_add_co_u32 v26, vcc_lo, v27, v26
	v_add_co_ci_u32_e32 v27, vcc_lo, 0, v28, vcc_lo
	s_delay_alu instid0(VALU_DEP_2) | instskip(NEXT) | instid1(VALU_DEP_2)
	v_add_co_u32 v3, vcc_lo, v3, v26
	v_add_co_ci_u32_e32 v31, vcc_lo, v25, v27, vcc_lo
	s_delay_alu instid0(VALU_DEP_2) | instskip(SKIP_1) | instid1(VALU_DEP_3)
	v_mul_hi_u32 v33, v17, v3
	v_mad_u64_u32 v[27:28], null, v18, v3, 0
	v_mad_u64_u32 v[25:26], null, v17, v31, 0
	;; [unrolled: 1-line block ×3, first 2 shown]
	s_delay_alu instid0(VALU_DEP_2) | instskip(NEXT) | instid1(VALU_DEP_3)
	v_add_co_u32 v3, vcc_lo, v33, v25
	v_add_co_ci_u32_e32 v25, vcc_lo, 0, v26, vcc_lo
	s_delay_alu instid0(VALU_DEP_2) | instskip(NEXT) | instid1(VALU_DEP_2)
	v_add_co_u32 v3, vcc_lo, v3, v27
	v_add_co_ci_u32_e32 v3, vcc_lo, v25, v28, vcc_lo
	v_add_co_ci_u32_e32 v25, vcc_lo, 0, v30, vcc_lo
	s_delay_alu instid0(VALU_DEP_2) | instskip(NEXT) | instid1(VALU_DEP_2)
	v_add_co_u32 v3, vcc_lo, v3, v29
	v_add_co_ci_u32_e32 v27, vcc_lo, 0, v25, vcc_lo
	s_delay_alu instid0(VALU_DEP_2) | instskip(SKIP_1) | instid1(VALU_DEP_3)
	v_mul_lo_u32 v28, s27, v3
	v_mad_u64_u32 v[25:26], null, s26, v3, 0
	v_mul_lo_u32 v29, s26, v27
	s_delay_alu instid0(VALU_DEP_2) | instskip(NEXT) | instid1(VALU_DEP_2)
	v_sub_co_u32 v25, vcc_lo, v17, v25
	v_add3_u32 v26, v26, v29, v28
	s_delay_alu instid0(VALU_DEP_1) | instskip(NEXT) | instid1(VALU_DEP_1)
	v_sub_nc_u32_e32 v28, v18, v26
	v_subrev_co_ci_u32_e64 v28, s1, s27, v28, vcc_lo
	v_add_co_u32 v29, s1, v3, 2
	s_delay_alu instid0(VALU_DEP_1) | instskip(SKIP_3) | instid1(VALU_DEP_3)
	v_add_co_ci_u32_e64 v30, s1, 0, v27, s1
	v_sub_co_u32 v31, s1, v25, s26
	v_sub_co_ci_u32_e32 v26, vcc_lo, v18, v26, vcc_lo
	v_subrev_co_ci_u32_e64 v28, s1, 0, v28, s1
	v_cmp_le_u32_e32 vcc_lo, s26, v31
	s_delay_alu instid0(VALU_DEP_3) | instskip(SKIP_1) | instid1(VALU_DEP_4)
	v_cmp_eq_u32_e64 s1, s27, v26
	v_cndmask_b32_e64 v31, 0, -1, vcc_lo
	v_cmp_le_u32_e32 vcc_lo, s27, v28
	v_cndmask_b32_e64 v33, 0, -1, vcc_lo
	v_cmp_le_u32_e32 vcc_lo, s26, v25
	;; [unrolled: 2-line block ×3, first 2 shown]
	v_cndmask_b32_e64 v34, 0, -1, vcc_lo
	v_cmp_eq_u32_e32 vcc_lo, s27, v28
	s_delay_alu instid0(VALU_DEP_2) | instskip(SKIP_3) | instid1(VALU_DEP_3)
	v_cndmask_b32_e64 v25, v34, v25, s1
	v_cndmask_b32_e32 v28, v33, v31, vcc_lo
	v_add_co_u32 v31, vcc_lo, v3, 1
	v_add_co_ci_u32_e32 v33, vcc_lo, 0, v27, vcc_lo
	v_cmp_ne_u32_e32 vcc_lo, 0, v28
	s_delay_alu instid0(VALU_DEP_3) | instskip(NEXT) | instid1(VALU_DEP_3)
	v_cndmask_b32_e32 v28, v31, v29, vcc_lo
	v_cndmask_b32_e32 v26, v33, v30, vcc_lo
	v_cmp_ne_u32_e32 vcc_lo, 0, v25
	s_delay_alu instid0(VALU_DEP_3) | instskip(NEXT) | instid1(VALU_DEP_3)
	v_cndmask_b32_e32 v25, v3, v28, vcc_lo
	v_cndmask_b32_e32 v26, v27, v26, vcc_lo
.LBB65_54:                              ;   in Loop: Header=BB65_52 Depth=2
	s_and_not1_saveexec_b32 s1, s44
	s_cbranch_execz .LBB65_56
; %bb.55:                               ;   in Loop: Header=BB65_52 Depth=2
	v_cvt_f32_u32_e32 v3, s26
	s_sub_i32 s44, 0, s26
	s_delay_alu instid0(VALU_DEP_1) | instskip(SKIP_2) | instid1(VALU_DEP_1)
	v_rcp_iflag_f32_e32 v3, v3
	s_waitcnt_depctr 0xfff
	v_mul_f32_e32 v3, 0x4f7ffffe, v3
	v_cvt_u32_f32_e32 v3, v3
	s_delay_alu instid0(VALU_DEP_1) | instskip(NEXT) | instid1(VALU_DEP_1)
	v_mul_lo_u32 v25, s44, v3
	v_mul_hi_u32 v25, v3, v25
	s_delay_alu instid0(VALU_DEP_1) | instskip(NEXT) | instid1(VALU_DEP_1)
	v_add_nc_u32_e32 v3, v3, v25
	v_mul_hi_u32 v3, v17, v3
	s_delay_alu instid0(VALU_DEP_1) | instskip(SKIP_1) | instid1(VALU_DEP_2)
	v_mul_lo_u32 v25, v3, s26
	v_add_nc_u32_e32 v26, 1, v3
	v_sub_nc_u32_e32 v25, v17, v25
	s_delay_alu instid0(VALU_DEP_1) | instskip(SKIP_1) | instid1(VALU_DEP_2)
	v_subrev_nc_u32_e32 v27, s26, v25
	v_cmp_le_u32_e32 vcc_lo, s26, v25
	v_cndmask_b32_e32 v25, v25, v27, vcc_lo
	v_cndmask_b32_e32 v3, v3, v26, vcc_lo
	s_delay_alu instid0(VALU_DEP_2) | instskip(NEXT) | instid1(VALU_DEP_2)
	v_cmp_le_u32_e32 vcc_lo, s26, v25
	v_add_nc_u32_e32 v26, 1, v3
	s_delay_alu instid0(VALU_DEP_1)
	v_dual_cndmask_b32 v25, v3, v26 :: v_dual_mov_b32 v26, v2
.LBB65_56:                              ;   in Loop: Header=BB65_52 Depth=2
	s_or_b32 exec_lo, exec_lo, s1
	s_load_b64 s[44:45], s[24:25], 0xc8
	s_delay_alu instid0(VALU_DEP_1) | instskip(NEXT) | instid1(VALU_DEP_2)
	v_mul_lo_u32 v3, v26, s26
	v_mul_lo_u32 v29, v25, s27
	v_mad_u64_u32 v[27:28], null, v25, s26, 0
	s_add_i32 s43, s43, -1
	s_add_u32 s24, s24, -8
	s_addc_u32 s25, s25, -1
	s_cmp_gt_u32 s43, 2
	s_delay_alu instid0(VALU_DEP_1) | instskip(NEXT) | instid1(VALU_DEP_2)
	v_add3_u32 v3, v28, v29, v3
	v_sub_co_u32 v27, vcc_lo, v17, v27
	s_delay_alu instid0(VALU_DEP_2) | instskip(SKIP_1) | instid1(VALU_DEP_2)
	v_sub_co_ci_u32_e32 v3, vcc_lo, v18, v3, vcc_lo
	s_waitcnt lgkmcnt(0)
	v_mul_lo_u32 v28, s45, v27
	s_delay_alu instid0(VALU_DEP_2) | instskip(SKIP_1) | instid1(VALU_DEP_1)
	v_mul_lo_u32 v3, s44, v3
	v_mad_u64_u32 v[17:18], null, s44, v27, v[23:24]
	v_add3_u32 v24, v28, v18, v3
	s_delay_alu instid0(VALU_DEP_2)
	v_mov_b32_e32 v23, v17
	s_cbranch_scc0 .LBB65_63
; %bb.57:                               ;   in Loop: Header=BB65_52 Depth=2
	v_dual_mov_b32 v17, v25 :: v_dual_mov_b32 v18, v26
	s_branch .LBB65_52
.LBB65_58:                              ;   in Loop: Header=BB65_59 Depth=2
	s_or_b32 exec_lo, exec_lo, s0
	s_load_b64 s[44:45], s[24:25], 0xc8
	s_delay_alu instid0(VALU_DEP_1)
	v_mul_lo_u32 v3, v20, s26
	v_mul_lo_u32 v25, v19, s27
	v_mad_u64_u32 v[23:24], null, v19, s26, 0
	s_add_i32 s42, s42, -1
	s_add_u32 s24, s24, -8
	s_addc_u32 s25, s25, -1
	s_cmp_gt_u32 s42, 2
	s_delay_alu instid0(VALU_DEP_1) | instskip(NEXT) | instid1(VALU_DEP_2)
	v_add3_u32 v3, v24, v25, v3
	v_sub_co_u32 v23, vcc_lo, v17, v23
	s_delay_alu instid0(VALU_DEP_2) | instskip(SKIP_1) | instid1(VALU_DEP_2)
	v_sub_co_ci_u32_e32 v3, vcc_lo, v18, v3, vcc_lo
	s_waitcnt lgkmcnt(0)
	v_mul_lo_u32 v24, s45, v23
	s_delay_alu instid0(VALU_DEP_2) | instskip(SKIP_1) | instid1(VALU_DEP_1)
	v_mul_lo_u32 v3, s44, v3
	v_mad_u64_u32 v[17:18], null, s44, v23, v[21:22]
	v_add3_u32 v22, v24, v18, v3
	s_delay_alu instid0(VALU_DEP_2)
	v_mov_b32_e32 v21, v17
	v_dual_mov_b32 v17, v19 :: v_dual_mov_b32 v18, v20
	s_cbranch_scc0 .LBB65_49
.LBB65_59:                              ;   Parent Loop BB65_3 Depth=1
                                        ; =>  This Inner Loop Header: Depth=2
	s_load_b64 s[26:27], s[24:25], 0x0
                                        ; implicit-def: $vgpr19_vgpr20
	s_mov_b32 s0, exec_lo
	s_waitcnt lgkmcnt(0)
	v_or_b32_e32 v3, s27, v18
	s_delay_alu instid0(VALU_DEP_1)
	v_cmpx_ne_u64_e32 0, v[2:3]
	s_xor_b32 s43, exec_lo, s0
	s_cbranch_execz .LBB65_61
; %bb.60:                               ;   in Loop: Header=BB65_59 Depth=2
	v_cvt_f32_u32_e32 v3, s26
	v_cvt_f32_u32_e32 v19, s27
	s_sub_u32 s0, 0, s26
	s_subb_u32 s44, 0, s27
	s_delay_alu instid0(VALU_DEP_1) | instskip(NEXT) | instid1(VALU_DEP_1)
	v_fmac_f32_e32 v3, 0x4f800000, v19
	v_rcp_f32_e32 v3, v3
	s_waitcnt_depctr 0xfff
	v_mul_f32_e32 v3, 0x5f7ffffc, v3
	s_delay_alu instid0(VALU_DEP_1) | instskip(NEXT) | instid1(VALU_DEP_1)
	v_mul_f32_e32 v19, 0x2f800000, v3
	v_trunc_f32_e32 v19, v19
	s_delay_alu instid0(VALU_DEP_1) | instskip(SKIP_1) | instid1(VALU_DEP_2)
	v_fmac_f32_e32 v3, 0xcf800000, v19
	v_cvt_u32_f32_e32 v19, v19
	v_cvt_u32_f32_e32 v3, v3
	s_delay_alu instid0(VALU_DEP_2) | instskip(NEXT) | instid1(VALU_DEP_2)
	v_mul_lo_u32 v20, s0, v19
	v_mul_hi_u32 v23, s0, v3
	v_mul_lo_u32 v24, s44, v3
	s_delay_alu instid0(VALU_DEP_2) | instskip(SKIP_1) | instid1(VALU_DEP_2)
	v_add_nc_u32_e32 v20, v23, v20
	v_mul_lo_u32 v23, s0, v3
	v_add_nc_u32_e32 v20, v20, v24
	s_delay_alu instid0(VALU_DEP_2) | instskip(NEXT) | instid1(VALU_DEP_2)
	v_mul_hi_u32 v24, v3, v23
	v_mul_lo_u32 v25, v3, v20
	v_mul_hi_u32 v26, v3, v20
	v_mul_hi_u32 v27, v19, v23
	v_mul_lo_u32 v23, v19, v23
	v_mul_hi_u32 v28, v19, v20
	v_mul_lo_u32 v20, v19, v20
	v_add_co_u32 v24, vcc_lo, v24, v25
	v_add_co_ci_u32_e32 v25, vcc_lo, 0, v26, vcc_lo
	s_delay_alu instid0(VALU_DEP_2) | instskip(NEXT) | instid1(VALU_DEP_2)
	v_add_co_u32 v23, vcc_lo, v24, v23
	v_add_co_ci_u32_e32 v23, vcc_lo, v25, v27, vcc_lo
	v_add_co_ci_u32_e32 v24, vcc_lo, 0, v28, vcc_lo
	s_delay_alu instid0(VALU_DEP_2) | instskip(NEXT) | instid1(VALU_DEP_2)
	v_add_co_u32 v20, vcc_lo, v23, v20
	v_add_co_ci_u32_e32 v23, vcc_lo, 0, v24, vcc_lo
	s_delay_alu instid0(VALU_DEP_2) | instskip(NEXT) | instid1(VALU_DEP_2)
	v_add_co_u32 v3, vcc_lo, v3, v20
	v_add_co_ci_u32_e32 v19, vcc_lo, v19, v23, vcc_lo
	s_delay_alu instid0(VALU_DEP_2) | instskip(SKIP_1) | instid1(VALU_DEP_3)
	v_mul_hi_u32 v20, s0, v3
	v_mul_lo_u32 v24, s44, v3
	v_mul_lo_u32 v23, s0, v19
	s_delay_alu instid0(VALU_DEP_1) | instskip(SKIP_1) | instid1(VALU_DEP_2)
	v_add_nc_u32_e32 v20, v20, v23
	v_mul_lo_u32 v23, s0, v3
	v_add_nc_u32_e32 v20, v20, v24
	s_delay_alu instid0(VALU_DEP_2) | instskip(NEXT) | instid1(VALU_DEP_2)
	v_mul_hi_u32 v24, v3, v23
	v_mul_lo_u32 v25, v3, v20
	v_mul_hi_u32 v26, v3, v20
	v_mul_hi_u32 v27, v19, v23
	v_mul_lo_u32 v23, v19, v23
	v_mul_hi_u32 v28, v19, v20
	v_mul_lo_u32 v20, v19, v20
	v_add_co_u32 v24, vcc_lo, v24, v25
	v_add_co_ci_u32_e32 v25, vcc_lo, 0, v26, vcc_lo
	s_delay_alu instid0(VALU_DEP_2) | instskip(NEXT) | instid1(VALU_DEP_2)
	v_add_co_u32 v23, vcc_lo, v24, v23
	v_add_co_ci_u32_e32 v23, vcc_lo, v25, v27, vcc_lo
	v_add_co_ci_u32_e32 v24, vcc_lo, 0, v28, vcc_lo
	s_delay_alu instid0(VALU_DEP_2) | instskip(NEXT) | instid1(VALU_DEP_2)
	v_add_co_u32 v20, vcc_lo, v23, v20
	v_add_co_ci_u32_e32 v23, vcc_lo, 0, v24, vcc_lo
	s_delay_alu instid0(VALU_DEP_2) | instskip(NEXT) | instid1(VALU_DEP_2)
	v_add_co_u32 v3, vcc_lo, v3, v20
	v_add_co_ci_u32_e32 v27, vcc_lo, v19, v23, vcc_lo
	s_delay_alu instid0(VALU_DEP_2) | instskip(SKIP_1) | instid1(VALU_DEP_3)
	v_mul_hi_u32 v28, v17, v3
	v_mad_u64_u32 v[23:24], null, v18, v3, 0
	v_mad_u64_u32 v[19:20], null, v17, v27, 0
	v_mad_u64_u32 v[25:26], null, v18, v27, 0
	s_delay_alu instid0(VALU_DEP_2) | instskip(NEXT) | instid1(VALU_DEP_3)
	v_add_co_u32 v3, vcc_lo, v28, v19
	v_add_co_ci_u32_e32 v19, vcc_lo, 0, v20, vcc_lo
	s_delay_alu instid0(VALU_DEP_2) | instskip(NEXT) | instid1(VALU_DEP_2)
	v_add_co_u32 v3, vcc_lo, v3, v23
	v_add_co_ci_u32_e32 v3, vcc_lo, v19, v24, vcc_lo
	v_add_co_ci_u32_e32 v19, vcc_lo, 0, v26, vcc_lo
	s_delay_alu instid0(VALU_DEP_2) | instskip(NEXT) | instid1(VALU_DEP_2)
	v_add_co_u32 v3, vcc_lo, v3, v25
	v_add_co_ci_u32_e32 v23, vcc_lo, 0, v19, vcc_lo
	s_delay_alu instid0(VALU_DEP_2) | instskip(SKIP_1) | instid1(VALU_DEP_3)
	v_mul_lo_u32 v24, s27, v3
	v_mad_u64_u32 v[19:20], null, s26, v3, 0
	v_mul_lo_u32 v25, s26, v23
	s_delay_alu instid0(VALU_DEP_2) | instskip(NEXT) | instid1(VALU_DEP_2)
	v_sub_co_u32 v19, vcc_lo, v17, v19
	v_add3_u32 v20, v20, v25, v24
	s_delay_alu instid0(VALU_DEP_1) | instskip(NEXT) | instid1(VALU_DEP_1)
	v_sub_nc_u32_e32 v24, v18, v20
	v_subrev_co_ci_u32_e64 v24, s0, s27, v24, vcc_lo
	v_add_co_u32 v25, s0, v3, 2
	s_delay_alu instid0(VALU_DEP_1) | instskip(SKIP_3) | instid1(VALU_DEP_3)
	v_add_co_ci_u32_e64 v26, s0, 0, v23, s0
	v_sub_co_u32 v27, s0, v19, s26
	v_sub_co_ci_u32_e32 v20, vcc_lo, v18, v20, vcc_lo
	v_subrev_co_ci_u32_e64 v24, s0, 0, v24, s0
	v_cmp_le_u32_e32 vcc_lo, s26, v27
	s_delay_alu instid0(VALU_DEP_3) | instskip(SKIP_1) | instid1(VALU_DEP_4)
	v_cmp_eq_u32_e64 s0, s27, v20
	v_cndmask_b32_e64 v27, 0, -1, vcc_lo
	v_cmp_le_u32_e32 vcc_lo, s27, v24
	v_cndmask_b32_e64 v28, 0, -1, vcc_lo
	v_cmp_le_u32_e32 vcc_lo, s26, v19
	;; [unrolled: 2-line block ×3, first 2 shown]
	v_cndmask_b32_e64 v29, 0, -1, vcc_lo
	v_cmp_eq_u32_e32 vcc_lo, s27, v24
	s_delay_alu instid0(VALU_DEP_2) | instskip(SKIP_3) | instid1(VALU_DEP_3)
	v_cndmask_b32_e64 v19, v29, v19, s0
	v_cndmask_b32_e32 v24, v28, v27, vcc_lo
	v_add_co_u32 v27, vcc_lo, v3, 1
	v_add_co_ci_u32_e32 v28, vcc_lo, 0, v23, vcc_lo
	v_cmp_ne_u32_e32 vcc_lo, 0, v24
	s_delay_alu instid0(VALU_DEP_2) | instskip(NEXT) | instid1(VALU_DEP_4)
	v_cndmask_b32_e32 v20, v28, v26, vcc_lo
	v_cndmask_b32_e32 v24, v27, v25, vcc_lo
	v_cmp_ne_u32_e32 vcc_lo, 0, v19
	s_delay_alu instid0(VALU_DEP_2) | instskip(NEXT) | instid1(VALU_DEP_4)
	v_cndmask_b32_e32 v19, v3, v24, vcc_lo
	v_cndmask_b32_e32 v20, v23, v20, vcc_lo
.LBB65_61:                              ;   in Loop: Header=BB65_59 Depth=2
	s_and_not1_saveexec_b32 s0, s43
	s_cbranch_execz .LBB65_58
; %bb.62:                               ;   in Loop: Header=BB65_59 Depth=2
	v_cvt_f32_u32_e32 v3, s26
	s_sub_i32 s43, 0, s26
	s_delay_alu instid0(VALU_DEP_1) | instskip(SKIP_2) | instid1(VALU_DEP_1)
	v_rcp_iflag_f32_e32 v3, v3
	s_waitcnt_depctr 0xfff
	v_mul_f32_e32 v3, 0x4f7ffffe, v3
	v_cvt_u32_f32_e32 v3, v3
	s_delay_alu instid0(VALU_DEP_1) | instskip(NEXT) | instid1(VALU_DEP_1)
	v_mul_lo_u32 v19, s43, v3
	v_mul_hi_u32 v19, v3, v19
	s_delay_alu instid0(VALU_DEP_1) | instskip(NEXT) | instid1(VALU_DEP_1)
	v_add_nc_u32_e32 v3, v3, v19
	v_mul_hi_u32 v3, v17, v3
	s_delay_alu instid0(VALU_DEP_1) | instskip(SKIP_1) | instid1(VALU_DEP_2)
	v_mul_lo_u32 v19, v3, s26
	v_add_nc_u32_e32 v20, 1, v3
	v_sub_nc_u32_e32 v19, v17, v19
	s_delay_alu instid0(VALU_DEP_1) | instskip(SKIP_1) | instid1(VALU_DEP_2)
	v_subrev_nc_u32_e32 v23, s26, v19
	v_cmp_le_u32_e32 vcc_lo, s26, v19
	v_cndmask_b32_e32 v19, v19, v23, vcc_lo
	v_cndmask_b32_e32 v3, v3, v20, vcc_lo
	s_delay_alu instid0(VALU_DEP_2) | instskip(NEXT) | instid1(VALU_DEP_2)
	v_cmp_le_u32_e32 vcc_lo, s26, v19
	v_add_nc_u32_e32 v20, 1, v3
	s_delay_alu instid0(VALU_DEP_1)
	v_dual_cndmask_b32 v19, v3, v20 :: v_dual_mov_b32 v20, v2
	s_branch .LBB65_58
.LBB65_63:                              ;   in Loop: Header=BB65_3 Depth=1
	s_delay_alu instid0(VALU_DEP_1) | instskip(SKIP_2) | instid1(VALU_DEP_1)
	v_mad_u64_u32 v[17:18], null, s14, v25, v[23:24]
	v_mul_lo_u32 v3, s14, v26
	v_mul_lo_u32 v23, s15, v25
	v_add3_u32 v18, v23, v18, v3
.LBB65_64:                              ;   in Loop: Header=BB65_3 Depth=1
	s_or_b32 exec_lo, exec_lo, s42
	v_mov_b32_e32 v25, 0
	v_mov_b32_e32 v26, 0
	s_and_saveexec_b32 s1, s0
	s_cbranch_execz .LBB65_67
; %bb.65:                               ;   in Loop: Header=BB65_3 Depth=1
	v_mov_b32_e32 v23, 0
	v_mov_b32_e32 v24, 0
	s_and_not1_b32 vcc_lo, exec_lo, s29
	s_mov_b64 s[24:25], s[22:23]
	s_mov_b32 s42, s34
	s_cbranch_vccz .LBB65_97
.LBB65_66:                              ;   in Loop: Header=BB65_3 Depth=1
	s_delay_alu instid0(VALU_DEP_1) | instskip(NEXT) | instid1(VALU_DEP_2)
	v_mad_u64_u32 v[25:26], null, s2, v21, v[23:24]
	v_mul_lo_u32 v3, s2, v22
	v_mul_lo_u32 v21, s3, v21
	s_delay_alu instid0(VALU_DEP_1)
	v_add3_u32 v26, v21, v26, v3
.LBB65_67:                              ;   in Loop: Header=BB65_3 Depth=1
	s_or_b32 exec_lo, exec_lo, s1
	v_lshlrev_b64 v[11:12], 2, v[11:12]
	v_lshlrev_b64 v[15:16], 2, v[15:16]
	;; [unrolled: 1-line block ×4, first 2 shown]
	s_delay_alu instid0(VALU_DEP_4)
	v_add_co_u32 v11, vcc_lo, s12, v11
	v_add_co_ci_u32_e32 v12, vcc_lo, s13, v12, vcc_lo
	v_add_co_u32 v15, vcc_lo, s12, v15
	v_add_co_ci_u32_e32 v16, vcc_lo, s13, v16, vcc_lo
	;; [unrolled: 2-line block ×4, first 2 shown]
	s_clause 0x3
	global_load_b32 v3, v[11:12], off
	global_load_b32 v33, v[15:16], off
	;; [unrolled: 1-line block ×4, first 2 shown]
	v_dual_mov_b32 v20, s9 :: v_dual_mov_b32 v19, s8
	v_dual_mov_b32 v22, s7 :: v_dual_mov_b32 v21, s6
	s_and_not1_b32 vcc_lo, exec_lo, s30
	s_cbranch_vccnz .LBB65_69
; %bb.68:                               ;   in Loop: Header=BB65_3 Depth=1
	v_dual_mov_b32 v12, s9 :: v_dual_mov_b32 v11, s8
	v_dual_mov_b32 v16, s7 :: v_dual_mov_b32 v15, s6
	flat_load_b64 v[11:12], v[11:12]
	flat_load_b64 v[21:22], v[15:16]
	s_waitcnt vmcnt(1) lgkmcnt(1)
	v_add_co_u32 v19, vcc_lo, v11, s10
	v_add_co_ci_u32_e32 v20, vcc_lo, s11, v12, vcc_lo
.LBB65_69:                              ;   in Loop: Header=BB65_3 Depth=1
	s_delay_alu instid0(VALU_DEP_1)
	v_alignbit_b32 v23, v20, v19, 2
	v_lshrrev_b32_e32 v15, 2, v20
	s_waitcnt vmcnt(0) lgkmcnt(0)
	v_add_nc_u32_e32 v36, 0x9e3779b9, v21
	v_add_nc_u32_e32 v38, 0x3c6ef372, v21
	;; [unrolled: 1-line block ×3, first 2 shown]
	v_add_co_u32 v16, vcc_lo, v23, 1
	s_delay_alu instid0(VALU_DEP_1) | instskip(SKIP_4) | instid1(VALU_DEP_4)
	v_cndmask_b32_e64 v11, 0, 1, vcc_lo
	v_add_co_ci_u32_e32 v20, vcc_lo, 0, v15, vcc_lo
	v_xor3_b32 v25, v0, v21, v15
	v_add_nc_u32_e32 v40, 0x32370b8f, v22
	v_add_nc_u32_e32 v41, 0xed9eba14, v22
	v_cmp_eq_u32_e32 vcc_lo, 0, v20
	v_add_nc_u32_e32 v42, 0x646e171e, v22
	v_add_nc_u32_e32 v43, 0x1fd5c5a3, v22
	s_mov_b32 s0, exec_lo
	v_dual_cndmask_b32 v24, 0, v11 :: v_dual_add_nc_u32 v37, 0xbb67ae85, v22
	v_mad_u64_u32 v[11:12], null, 0xd2511f53, v16, 0
	v_mad_u64_u32 v[15:16], null, 0xd2511f53, v23, 0
	s_delay_alu instid0(VALU_DEP_3) | instskip(NEXT) | instid1(VALU_DEP_3)
	v_add_nc_u32_e32 v27, v24, v1
	v_xor_b32_e32 v12, v12, v22
	s_delay_alu instid0(VALU_DEP_2) | instskip(SKIP_1) | instid1(VALU_DEP_1)
	v_cmp_eq_u32_e32 vcc_lo, 0, v27
	v_cndmask_b32_e32 v24, 0, v24, vcc_lo
	v_xor_b32_e32 v12, v24, v12
	v_mad_u64_u32 v[23:24], null, 0xd2511f53, v25, 0
	v_mad_u64_u32 v[25:26], null, 0xcd9e8d57, v27, 0
	s_delay_alu instid0(VALU_DEP_3) | instskip(SKIP_1) | instid1(VALU_DEP_4)
	v_mad_u64_u32 v[27:28], null, 0xcd9e8d57, v12, 0
	v_xor_b32_e32 v12, v16, v22
	v_xor3_b32 v29, v37, v24, v15
	s_delay_alu instid0(VALU_DEP_2) | instskip(SKIP_2) | instid1(VALU_DEP_4)
	v_mad_u64_u32 v[15:16], null, 0xcd9e8d57, v12, 0
	v_xor3_b32 v12, v26, v21, v20
	v_xor3_b32 v20, v36, v28, v25
	v_mad_u64_u32 v[24:25], null, 0xcd9e8d57, v29, 0
	s_delay_alu instid0(VALU_DEP_3) | instskip(NEXT) | instid1(VALU_DEP_3)
	v_mad_u64_u32 v[28:29], null, 0xd2511f53, v12, 0
	v_mad_u64_u32 v[30:31], null, 0xd2511f53, v20, 0
	v_xor3_b32 v12, v6, v16, v36
	s_delay_alu instid0(VALU_DEP_4) | instskip(SKIP_2) | instid1(VALU_DEP_4)
	v_xor3_b32 v25, v38, v25, v15
	v_add_nc_u32_e32 v20, 0xdaa66d2b, v21
	v_xor3_b32 v29, v37, v29, v11
	v_mad_u64_u32 v[15:16], null, 0xd2511f53, v12, 0
	v_xor3_b32 v31, v39, v31, v28
	v_mad_u64_u32 v[11:12], null, 0xd2511f53, v25, 0
	s_delay_alu instid0(VALU_DEP_4) | instskip(NEXT) | instid1(VALU_DEP_3)
	v_mad_u64_u32 v[25:26], null, 0xcd9e8d57, v29, 0
	v_mad_u64_u32 v[28:29], null, 0xcd9e8d57, v31, 0
	v_xor3_b32 v23, v39, v16, v23
	v_add_nc_u32_e32 v31, 0x78dde6e4, v21
	v_xor3_b32 v12, v40, v12, v15
	s_delay_alu instid0(VALU_DEP_3) | instskip(SKIP_2) | instid1(VALU_DEP_4)
	v_mad_u64_u32 v[15:16], null, 0xcd9e8d57, v23, 0
	v_xor3_b32 v23, v38, v26, v27
	v_xor3_b32 v27, v20, v29, v25
	v_mad_u64_u32 v[25:26], null, 0xcd9e8d57, v12, 0
	s_delay_alu instid0(VALU_DEP_3) | instskip(NEXT) | instid1(VALU_DEP_3)
	v_mad_u64_u32 v[36:37], null, 0xd2511f53, v23, 0
	v_mad_u64_u32 v[38:39], null, 0xd2511f53, v27, 0
	v_xor3_b32 v12, v20, v16, v24
	s_delay_alu instid0(VALU_DEP_4) | instskip(SKIP_2) | instid1(VALU_DEP_4)
	v_xor3_b32 v23, v31, v26, v15
	v_add_nc_u32_e32 v20, 0x1715609d, v21
	v_add_nc_u32_e32 v27, 0xa9066899, v22
	v_mad_u64_u32 v[15:16], null, 0xd2511f53, v12, 0
	v_xor3_b32 v12, v40, v37, v30
	v_xor3_b32 v26, v41, v39, v36
	v_mad_u64_u32 v[29:30], null, 0xd2511f53, v23, 0
	s_delay_alu instid0(VALU_DEP_3) | instskip(NEXT) | instid1(VALU_DEP_3)
	v_mad_u64_u32 v[23:24], null, 0xcd9e8d57, v12, 0
	v_mad_u64_u32 v[36:37], null, 0xcd9e8d57, v26, 0
	v_xor3_b32 v16, v41, v16, v11
	s_delay_alu instid0(VALU_DEP_4) | instskip(SKIP_2) | instid1(VALU_DEP_4)
	v_xor3_b32 v26, v27, v30, v15
	v_add_nc_u32_e32 v41, 0xb54cda56, v21
	v_xor3_b32 v28, v31, v24, v28
	v_mad_u64_u32 v[11:12], null, 0xcd9e8d57, v16, 0
	v_xor3_b32 v30, v20, v37, v23
	v_mad_u64_u32 v[15:16], null, 0xcd9e8d57, v26, 0
	s_delay_alu instid0(VALU_DEP_4) | instskip(NEXT) | instid1(VALU_DEP_3)
	v_mad_u64_u32 v[23:24], null, 0xd2511f53, v28, 0
	v_mad_u64_u32 v[39:40], null, 0xd2511f53, v30, 0
	v_xor3_b32 v20, v20, v12, v25
	v_add_nc_u32_e32 v28, 0x5384540f, v21
	v_xor3_b32 v16, v41, v16, v11
	v_add_nc_u32_e32 v37, 0xdb3d7428, v22
	s_delay_alu instid0(VALU_DEP_4) | instskip(SKIP_4) | instid1(VALU_DEP_4)
	v_mad_u64_u32 v[11:12], null, 0xd2511f53, v20, 0
	v_xor3_b32 v20, v27, v24, v38
	v_xor3_b32 v25, v42, v40, v23
	v_mad_u64_u32 v[23:24], null, 0xd2511f53, v16, 0
	v_add_nc_u32_e32 v38, 0x96a522ad, v22
	v_mad_u64_u32 v[30:31], null, 0xcd9e8d57, v20, 0
	s_delay_alu instid0(VALU_DEP_4) | instskip(SKIP_3) | instid1(VALU_DEP_3)
	v_mad_u64_u32 v[26:27], null, 0xcd9e8d57, v25, 0
	v_xor3_b32 v16, v42, v12, v29
	v_xor3_b32 v29, v43, v24, v11
	v_add_co_u32 v20, null, 0xf1bbcdc8, v21
	v_mad_u64_u32 v[11:12], null, 0xcd9e8d57, v16, 0
	v_xor3_b32 v16, v41, v31, v36
	v_xor3_b32 v27, v28, v27, v30
	v_mad_u64_u32 v[24:25], null, 0xcd9e8d57, v29, 0
	v_and_b32_e32 v36, 3, v19
	s_delay_alu instid0(VALU_DEP_4) | instskip(NEXT) | instid1(VALU_DEP_4)
	v_mad_u64_u32 v[40:41], null, 0xd2511f53, v16, 0
	v_mad_u64_u32 v[29:30], null, 0xd2511f53, v27, 0
	v_xor3_b32 v12, v28, v12, v15
	v_xor3_b32 v15, v20, v25, v11
	s_delay_alu instid0(VALU_DEP_4) | instskip(NEXT) | instid1(VALU_DEP_3)
	v_xor3_b32 v16, v43, v41, v39
	v_mad_u64_u32 v[27:28], null, 0xd2511f53, v12, 0
	v_xor3_b32 v25, v37, v30, v40
	s_delay_alu instid0(VALU_DEP_4) | instskip(NEXT) | instid1(VALU_DEP_4)
	v_mad_u64_u32 v[11:12], null, 0xd2511f53, v15, 0
	v_mad_u64_u32 v[30:31], null, 0xcd9e8d57, v16, 0
	s_delay_alu instid0(VALU_DEP_3) | instskip(SKIP_1) | instid1(VALU_DEP_4)
	v_mad_u64_u32 v[15:16], null, 0xcd9e8d57, v25, 0
	v_add_nc_u32_e32 v25, 0x8ff34781, v21
                                        ; implicit-def: $vgpr21
	v_xor3_b32 v22, v12, v27, v38
	s_delay_alu instid0(VALU_DEP_2)
	v_xor3_b32 v12, v16, v30, v25
	v_cmpx_lt_i32_e32 1, v36
	s_xor_b32 s0, exec_lo, s0
	s_cbranch_execz .LBB65_75
; %bb.70:                               ;   in Loop: Header=BB65_3 Depth=1
	s_mov_b32 s1, exec_lo
                                        ; implicit-def: $vgpr21
	v_cmpx_lt_i32_e32 2, v36
	s_xor_b32 s1, exec_lo, s1
; %bb.71:                               ;   in Loop: Header=BB65_3 Depth=1
	v_xor3_b32 v16, v20, v31, v26
                                        ; implicit-def: $vgpr22
	s_delay_alu instid0(VALU_DEP_1) | instskip(NEXT) | instid1(VALU_DEP_1)
	v_mul_hi_u32 v16, 0xd2511f53, v16
	v_xor3_b32 v21, v16, v29, v38
; %bb.72:                               ;   in Loop: Header=BB65_3 Depth=1
	s_and_not1_saveexec_b32 s1, s1
; %bb.73:                               ;   in Loop: Header=BB65_3 Depth=1
	v_mov_b32_e32 v21, v15
	v_dual_mov_b32 v15, v12 :: v_dual_mov_b32 v12, v11
	v_mov_b32_e32 v11, v22
; %bb.74:                               ;   in Loop: Header=BB65_3 Depth=1
	s_or_b32 exec_lo, exec_lo, s1
                                        ; implicit-def: $vgpr23_vgpr24
                                        ; implicit-def: $vgpr36
                                        ; implicit-def: $vgpr22
                                        ; implicit-def: $vgpr37
                                        ; implicit-def: $vgpr27_vgpr28
                                        ; implicit-def: $vgpr24_vgpr25
                                        ; implicit-def: $vgpr25
.LBB65_75:                              ;   in Loop: Header=BB65_3 Depth=1
	s_and_not1_saveexec_b32 s0, s0
	s_cbranch_execz .LBB65_79
; %bb.76:                               ;   in Loop: Header=BB65_3 Depth=1
	v_xor3_b32 v15, v37, v28, v23
	v_mov_b32_e32 v21, v11
	s_mov_b32 s1, exec_lo
	s_delay_alu instid0(VALU_DEP_2) | instskip(NEXT) | instid1(VALU_DEP_1)
	v_mad_u64_u32 v[19:20], null, 0xcd9e8d57, v15, 0
	v_dual_mov_b32 v15, v22 :: v_dual_mov_b32 v16, v19
	s_delay_alu instid0(VALU_DEP_2)
	v_xor3_b32 v20, v20, v24, v25
	v_cmpx_eq_u32_e32 1, v36
; %bb.77:                               ;   in Loop: Header=BB65_3 Depth=1
	v_dual_mov_b32 v21, v12 :: v_dual_mov_b32 v16, v22
	v_mov_b32_e32 v15, v11
	v_mov_b32_e32 v20, v19
; %bb.78:                               ;   in Loop: Header=BB65_3 Depth=1
	s_or_b32 exec_lo, exec_lo, s1
	s_delay_alu instid0(VALU_DEP_1)
	v_mov_b32_e32 v11, v20
	v_mov_b32_e32 v12, v16
.LBB65_79:                              ;   in Loop: Header=BB65_3 Depth=1
	s_or_b32 exec_lo, exec_lo, s0
	v_min_i32_e32 v16, 4, v32
	s_mov_b32 s1, 0
	s_mov_b32 s43, 0
	;; [unrolled: 1-line block ×3, first 2 shown]
                                        ; implicit-def: $sgpr25
                                        ; implicit-def: $sgpr26
                                        ; implicit-def: $sgpr27
	s_mov_b32 s0, exec_lo
	v_cmpx_lt_i32_e32 2, v16
	s_xor_b32 s42, exec_lo, s0
	s_cbranch_execz .LBB65_91
; %bb.80:                               ;   in Loop: Header=BB65_3 Depth=1
	s_mov_b32 s0, -1
	s_mov_b32 s44, 0
	s_mov_b32 s26, exec_lo
                                        ; implicit-def: $sgpr24
                                        ; implicit-def: $sgpr25
	v_cmpx_lt_i32_e32 3, v16
	s_cbranch_execz .LBB65_86
; %bb.81:                               ;   in Loop: Header=BB65_3 Depth=1
	s_mov_b32 s0, 0
	s_mov_b32 s44, -1
	s_mov_b32 s27, exec_lo
                                        ; implicit-def: $sgpr24
                                        ; implicit-def: $sgpr25
	v_cmpx_eq_u32_e32 4, v16
	s_cbranch_execz .LBB65_85
; %bb.82:                               ;   in Loop: Header=BB65_3 Depth=1
	v_cmp_le_f32_e32 vcc_lo, 0, v35
	v_cmp_ge_f32_e64 s0, 1.0, v35
	s_mov_b32 s24, 0
	s_delay_alu instid0(VALU_DEP_1)
	s_and_b32 s44, vcc_lo, s0
	s_mov_b32 s0, 0
	s_and_saveexec_b32 s25, s44
	s_cbranch_execz .LBB65_84
; %bb.83:                               ;   in Loop: Header=BB65_3 Depth=1
	v_cvt_f32_u32_e32 v19, v21
	v_lshlrev_b64 v[17:18], 1, v[17:18]
	s_mov_b32 s0, exec_lo
	s_delay_alu instid0(VALU_DEP_2) | instskip(NEXT) | instid1(VALU_DEP_2)
	v_fmaak_f32 v19, 0x2f800000, v19, 0x2f800000
	v_add_co_u32 v17, vcc_lo, s16, v17
	s_delay_alu instid0(VALU_DEP_3) | instskip(NEXT) | instid1(VALU_DEP_3)
	v_add_co_ci_u32_e32 v18, vcc_lo, s17, v18, vcc_lo
	v_cmp_le_f32_e32 vcc_lo, v19, v35
	v_cndmask_b32_e64 v19, 0, 1, vcc_lo
	global_store_b16 v[17:18], v19, off
.LBB65_84:                              ;   in Loop: Header=BB65_3 Depth=1
	s_or_b32 exec_lo, exec_lo, s25
	s_mov_b32 s25, -1
	s_xor_b32 s44, exec_lo, -1
	s_and_b32 s0, s0, exec_lo
.LBB65_85:                              ;   in Loop: Header=BB65_3 Depth=1
	s_or_b32 exec_lo, exec_lo, s27
	s_delay_alu instid0(SALU_CYCLE_1)
	s_and_b32 s44, s44, exec_lo
	s_or_not1_b32 s0, s0, exec_lo
.LBB65_86:                              ;   in Loop: Header=BB65_3 Depth=1
	s_or_b32 exec_lo, exec_lo, s26
	s_mov_b32 s27, s24
	s_and_saveexec_b32 s26, s0
	s_cbranch_execz .LBB65_90
; %bb.87:                               ;   in Loop: Header=BB65_3 Depth=1
	v_cmp_le_f32_e32 vcc_lo, 0, v34
	v_cmp_ge_f32_e64 s0, 1.0, v34
	s_delay_alu instid0(VALU_DEP_1) | instskip(SKIP_2) | instid1(SALU_CYCLE_1)
	s_and_b32 s27, vcc_lo, s0
	s_mov_b32 s0, 0
	s_and_saveexec_b32 s43, s27
	s_xor_b32 s27, exec_lo, s43
	s_cbranch_execz .LBB65_89
; %bb.88:                               ;   in Loop: Header=BB65_3 Depth=1
	v_cvt_f32_u32_e32 v15, v15
	v_lshlrev_b64 v[13:14], 1, v[13:14]
	s_mov_b32 s0, exec_lo
	s_delay_alu instid0(VALU_DEP_2) | instskip(NEXT) | instid1(VALU_DEP_2)
	v_fmaak_f32 v15, 0x2f800000, v15, 0x2f800000
	v_add_co_u32 v13, vcc_lo, s16, v13
	s_delay_alu instid0(VALU_DEP_3) | instskip(NEXT) | instid1(VALU_DEP_3)
	v_add_co_ci_u32_e32 v14, vcc_lo, s17, v14, vcc_lo
	v_cmp_le_f32_e32 vcc_lo, v15, v34
	v_cndmask_b32_e64 v15, 0, 1, vcc_lo
	global_store_b16 v[13:14], v15, off
.LBB65_89:                              ;   in Loop: Header=BB65_3 Depth=1
	s_or_b32 exec_lo, exec_lo, s27
	s_delay_alu instid0(SALU_CYCLE_1)
	s_and_not1_b32 s27, s24, exec_lo
	s_or_b32 s24, s24, exec_lo
	s_and_not1_b32 s25, s25, exec_lo
	s_and_b32 s43, s0, exec_lo
.LBB65_90:                              ;   in Loop: Header=BB65_3 Depth=1
	s_or_b32 exec_lo, exec_lo, s26
	s_delay_alu instid0(SALU_CYCLE_1)
	s_and_b32 s27, s27, exec_lo
	s_and_b32 s26, s24, exec_lo
	;; [unrolled: 1-line block ×5, first 2 shown]
.LBB65_91:                              ;   in Loop: Header=BB65_3 Depth=1
	s_and_not1_saveexec_b32 s0, s42
; %bb.92:                               ;   in Loop: Header=BB65_3 Depth=1
	v_cmp_lt_i32_e32 vcc_lo, 1, v16
	s_and_not1_b32 s42, s43, exec_lo
	s_mov_b32 s1, exec_lo
	s_and_not1_b32 s27, s27, exec_lo
	s_and_not1_b32 s26, s26, exec_lo
	s_and_b32 s43, vcc_lo, exec_lo
	s_and_not1_b32 s25, s25, exec_lo
	s_or_b32 s43, s42, s43
; %bb.93:                               ;   in Loop: Header=BB65_3 Depth=1
	s_or_b32 exec_lo, exec_lo, s0
	s_mov_b32 s0, 0
	s_mov_b32 s42, s27
	s_and_saveexec_b32 s44, s43
	s_cbranch_execnz .LBB65_101
; %bb.94:                               ;   in Loop: Header=BB65_3 Depth=1
	s_or_b32 exec_lo, exec_lo, s44
	s_and_saveexec_b32 s43, s1
	s_cbranch_execnz .LBB65_104
.LBB65_95:                              ;   in Loop: Header=BB65_3 Depth=1
	s_or_b32 exec_lo, exec_lo, s43
	s_and_saveexec_b32 s1, s0
	s_cbranch_execnz .LBB65_105
	s_branch .LBB65_108
.LBB65_96:                              ;   in Loop: Header=BB65_97 Depth=2
	s_or_b32 exec_lo, exec_lo, s0
	s_load_b64 s[44:45], s[24:25], 0xc8
	s_delay_alu instid0(VALU_DEP_1)
	v_mul_lo_u32 v3, v26, s26
	v_mul_lo_u32 v29, v25, s27
	v_mad_u64_u32 v[27:28], null, v25, s26, 0
	s_add_i32 s42, s42, -1
	s_add_u32 s24, s24, -8
	s_addc_u32 s25, s25, -1
	s_cmp_gt_u32 s42, 2
	s_delay_alu instid0(VALU_DEP_1) | instskip(NEXT) | instid1(VALU_DEP_2)
	v_add3_u32 v3, v28, v29, v3
	v_sub_co_u32 v27, vcc_lo, v21, v27
	s_delay_alu instid0(VALU_DEP_2) | instskip(SKIP_1) | instid1(VALU_DEP_2)
	v_sub_co_ci_u32_e32 v3, vcc_lo, v22, v3, vcc_lo
	s_waitcnt lgkmcnt(0)
	v_mul_lo_u32 v28, s45, v27
	s_delay_alu instid0(VALU_DEP_2) | instskip(SKIP_1) | instid1(VALU_DEP_1)
	v_mul_lo_u32 v3, s44, v3
	v_mad_u64_u32 v[21:22], null, s44, v27, v[23:24]
	v_add3_u32 v24, v28, v22, v3
	s_delay_alu instid0(VALU_DEP_2)
	v_mov_b32_e32 v23, v21
	v_dual_mov_b32 v21, v25 :: v_dual_mov_b32 v22, v26
	s_cbranch_scc0 .LBB65_66
.LBB65_97:                              ;   Parent Loop BB65_3 Depth=1
                                        ; =>  This Inner Loop Header: Depth=2
	s_load_b64 s[26:27], s[24:25], 0x0
                                        ; implicit-def: $vgpr25_vgpr26
	s_mov_b32 s0, exec_lo
	s_waitcnt lgkmcnt(0)
	v_or_b32_e32 v3, s27, v22
	s_delay_alu instid0(VALU_DEP_1)
	v_cmpx_ne_u64_e32 0, v[2:3]
	s_xor_b32 s43, exec_lo, s0
	s_cbranch_execz .LBB65_99
; %bb.98:                               ;   in Loop: Header=BB65_97 Depth=2
	v_cvt_f32_u32_e32 v3, s26
	v_cvt_f32_u32_e32 v25, s27
	s_sub_u32 s0, 0, s26
	s_subb_u32 s44, 0, s27
	s_delay_alu instid0(VALU_DEP_1) | instskip(NEXT) | instid1(VALU_DEP_1)
	v_fmac_f32_e32 v3, 0x4f800000, v25
	v_rcp_f32_e32 v3, v3
	s_waitcnt_depctr 0xfff
	v_mul_f32_e32 v3, 0x5f7ffffc, v3
	s_delay_alu instid0(VALU_DEP_1) | instskip(NEXT) | instid1(VALU_DEP_1)
	v_mul_f32_e32 v25, 0x2f800000, v3
	v_trunc_f32_e32 v25, v25
	s_delay_alu instid0(VALU_DEP_1) | instskip(SKIP_1) | instid1(VALU_DEP_2)
	v_fmac_f32_e32 v3, 0xcf800000, v25
	v_cvt_u32_f32_e32 v25, v25
	v_cvt_u32_f32_e32 v3, v3
	s_delay_alu instid0(VALU_DEP_2) | instskip(NEXT) | instid1(VALU_DEP_2)
	v_mul_lo_u32 v26, s0, v25
	v_mul_hi_u32 v27, s0, v3
	v_mul_lo_u32 v28, s44, v3
	s_delay_alu instid0(VALU_DEP_2) | instskip(SKIP_1) | instid1(VALU_DEP_2)
	v_add_nc_u32_e32 v26, v27, v26
	v_mul_lo_u32 v27, s0, v3
	v_add_nc_u32_e32 v26, v26, v28
	s_delay_alu instid0(VALU_DEP_2) | instskip(NEXT) | instid1(VALU_DEP_2)
	v_mul_hi_u32 v28, v3, v27
	v_mul_lo_u32 v29, v3, v26
	v_mul_hi_u32 v30, v3, v26
	v_mul_hi_u32 v31, v25, v27
	v_mul_lo_u32 v27, v25, v27
	v_mul_hi_u32 v33, v25, v26
	v_mul_lo_u32 v26, v25, v26
	v_add_co_u32 v28, vcc_lo, v28, v29
	v_add_co_ci_u32_e32 v29, vcc_lo, 0, v30, vcc_lo
	s_delay_alu instid0(VALU_DEP_2) | instskip(NEXT) | instid1(VALU_DEP_2)
	v_add_co_u32 v27, vcc_lo, v28, v27
	v_add_co_ci_u32_e32 v27, vcc_lo, v29, v31, vcc_lo
	v_add_co_ci_u32_e32 v28, vcc_lo, 0, v33, vcc_lo
	s_delay_alu instid0(VALU_DEP_2) | instskip(NEXT) | instid1(VALU_DEP_2)
	v_add_co_u32 v26, vcc_lo, v27, v26
	v_add_co_ci_u32_e32 v27, vcc_lo, 0, v28, vcc_lo
	s_delay_alu instid0(VALU_DEP_2) | instskip(NEXT) | instid1(VALU_DEP_2)
	v_add_co_u32 v3, vcc_lo, v3, v26
	v_add_co_ci_u32_e32 v25, vcc_lo, v25, v27, vcc_lo
	s_delay_alu instid0(VALU_DEP_2) | instskip(SKIP_1) | instid1(VALU_DEP_3)
	v_mul_hi_u32 v26, s0, v3
	v_mul_lo_u32 v28, s44, v3
	v_mul_lo_u32 v27, s0, v25
	s_delay_alu instid0(VALU_DEP_1) | instskip(SKIP_1) | instid1(VALU_DEP_2)
	v_add_nc_u32_e32 v26, v26, v27
	v_mul_lo_u32 v27, s0, v3
	v_add_nc_u32_e32 v26, v26, v28
	s_delay_alu instid0(VALU_DEP_2) | instskip(NEXT) | instid1(VALU_DEP_2)
	v_mul_hi_u32 v28, v3, v27
	v_mul_lo_u32 v29, v3, v26
	v_mul_hi_u32 v30, v3, v26
	v_mul_hi_u32 v31, v25, v27
	v_mul_lo_u32 v27, v25, v27
	v_mul_hi_u32 v33, v25, v26
	v_mul_lo_u32 v26, v25, v26
	v_add_co_u32 v28, vcc_lo, v28, v29
	v_add_co_ci_u32_e32 v29, vcc_lo, 0, v30, vcc_lo
	s_delay_alu instid0(VALU_DEP_2) | instskip(NEXT) | instid1(VALU_DEP_2)
	v_add_co_u32 v27, vcc_lo, v28, v27
	v_add_co_ci_u32_e32 v27, vcc_lo, v29, v31, vcc_lo
	v_add_co_ci_u32_e32 v28, vcc_lo, 0, v33, vcc_lo
	s_delay_alu instid0(VALU_DEP_2) | instskip(NEXT) | instid1(VALU_DEP_2)
	v_add_co_u32 v26, vcc_lo, v27, v26
	v_add_co_ci_u32_e32 v27, vcc_lo, 0, v28, vcc_lo
	s_delay_alu instid0(VALU_DEP_2) | instskip(NEXT) | instid1(VALU_DEP_2)
	v_add_co_u32 v3, vcc_lo, v3, v26
	v_add_co_ci_u32_e32 v31, vcc_lo, v25, v27, vcc_lo
	s_delay_alu instid0(VALU_DEP_2) | instskip(SKIP_1) | instid1(VALU_DEP_3)
	v_mul_hi_u32 v33, v21, v3
	v_mad_u64_u32 v[27:28], null, v22, v3, 0
	v_mad_u64_u32 v[25:26], null, v21, v31, 0
	;; [unrolled: 1-line block ×3, first 2 shown]
	s_delay_alu instid0(VALU_DEP_2) | instskip(NEXT) | instid1(VALU_DEP_3)
	v_add_co_u32 v3, vcc_lo, v33, v25
	v_add_co_ci_u32_e32 v25, vcc_lo, 0, v26, vcc_lo
	s_delay_alu instid0(VALU_DEP_2) | instskip(NEXT) | instid1(VALU_DEP_2)
	v_add_co_u32 v3, vcc_lo, v3, v27
	v_add_co_ci_u32_e32 v3, vcc_lo, v25, v28, vcc_lo
	v_add_co_ci_u32_e32 v25, vcc_lo, 0, v30, vcc_lo
	s_delay_alu instid0(VALU_DEP_2) | instskip(NEXT) | instid1(VALU_DEP_2)
	v_add_co_u32 v3, vcc_lo, v3, v29
	v_add_co_ci_u32_e32 v27, vcc_lo, 0, v25, vcc_lo
	s_delay_alu instid0(VALU_DEP_2) | instskip(SKIP_1) | instid1(VALU_DEP_3)
	v_mul_lo_u32 v28, s27, v3
	v_mad_u64_u32 v[25:26], null, s26, v3, 0
	v_mul_lo_u32 v29, s26, v27
	s_delay_alu instid0(VALU_DEP_2) | instskip(NEXT) | instid1(VALU_DEP_2)
	v_sub_co_u32 v25, vcc_lo, v21, v25
	v_add3_u32 v26, v26, v29, v28
	s_delay_alu instid0(VALU_DEP_1) | instskip(NEXT) | instid1(VALU_DEP_1)
	v_sub_nc_u32_e32 v28, v22, v26
	v_subrev_co_ci_u32_e64 v28, s0, s27, v28, vcc_lo
	v_add_co_u32 v29, s0, v3, 2
	s_delay_alu instid0(VALU_DEP_1) | instskip(SKIP_3) | instid1(VALU_DEP_3)
	v_add_co_ci_u32_e64 v30, s0, 0, v27, s0
	v_sub_co_u32 v31, s0, v25, s26
	v_sub_co_ci_u32_e32 v26, vcc_lo, v22, v26, vcc_lo
	v_subrev_co_ci_u32_e64 v28, s0, 0, v28, s0
	v_cmp_le_u32_e32 vcc_lo, s26, v31
	s_delay_alu instid0(VALU_DEP_3) | instskip(SKIP_1) | instid1(VALU_DEP_4)
	v_cmp_eq_u32_e64 s0, s27, v26
	v_cndmask_b32_e64 v31, 0, -1, vcc_lo
	v_cmp_le_u32_e32 vcc_lo, s27, v28
	v_cndmask_b32_e64 v33, 0, -1, vcc_lo
	v_cmp_le_u32_e32 vcc_lo, s26, v25
	;; [unrolled: 2-line block ×3, first 2 shown]
	v_cndmask_b32_e64 v34, 0, -1, vcc_lo
	v_cmp_eq_u32_e32 vcc_lo, s27, v28
	s_delay_alu instid0(VALU_DEP_2) | instskip(SKIP_3) | instid1(VALU_DEP_3)
	v_cndmask_b32_e64 v25, v34, v25, s0
	v_cndmask_b32_e32 v28, v33, v31, vcc_lo
	v_add_co_u32 v31, vcc_lo, v3, 1
	v_add_co_ci_u32_e32 v33, vcc_lo, 0, v27, vcc_lo
	v_cmp_ne_u32_e32 vcc_lo, 0, v28
	s_delay_alu instid0(VALU_DEP_3) | instskip(NEXT) | instid1(VALU_DEP_3)
	v_cndmask_b32_e32 v28, v31, v29, vcc_lo
	v_cndmask_b32_e32 v26, v33, v30, vcc_lo
	v_cmp_ne_u32_e32 vcc_lo, 0, v25
	s_delay_alu instid0(VALU_DEP_3) | instskip(NEXT) | instid1(VALU_DEP_3)
	v_cndmask_b32_e32 v25, v3, v28, vcc_lo
	v_cndmask_b32_e32 v26, v27, v26, vcc_lo
.LBB65_99:                              ;   in Loop: Header=BB65_97 Depth=2
	s_and_not1_saveexec_b32 s0, s43
	s_cbranch_execz .LBB65_96
; %bb.100:                              ;   in Loop: Header=BB65_97 Depth=2
	v_cvt_f32_u32_e32 v3, s26
	s_sub_i32 s43, 0, s26
	s_delay_alu instid0(VALU_DEP_1) | instskip(SKIP_2) | instid1(VALU_DEP_1)
	v_rcp_iflag_f32_e32 v3, v3
	s_waitcnt_depctr 0xfff
	v_mul_f32_e32 v3, 0x4f7ffffe, v3
	v_cvt_u32_f32_e32 v3, v3
	s_delay_alu instid0(VALU_DEP_1) | instskip(NEXT) | instid1(VALU_DEP_1)
	v_mul_lo_u32 v25, s43, v3
	v_mul_hi_u32 v25, v3, v25
	s_delay_alu instid0(VALU_DEP_1) | instskip(NEXT) | instid1(VALU_DEP_1)
	v_add_nc_u32_e32 v3, v3, v25
	v_mul_hi_u32 v3, v21, v3
	s_delay_alu instid0(VALU_DEP_1) | instskip(SKIP_1) | instid1(VALU_DEP_2)
	v_mul_lo_u32 v25, v3, s26
	v_add_nc_u32_e32 v26, 1, v3
	v_sub_nc_u32_e32 v25, v21, v25
	s_delay_alu instid0(VALU_DEP_1) | instskip(SKIP_1) | instid1(VALU_DEP_2)
	v_subrev_nc_u32_e32 v27, s26, v25
	v_cmp_le_u32_e32 vcc_lo, s26, v25
	v_cndmask_b32_e32 v25, v25, v27, vcc_lo
	v_cndmask_b32_e32 v3, v3, v26, vcc_lo
	s_delay_alu instid0(VALU_DEP_2) | instskip(NEXT) | instid1(VALU_DEP_2)
	v_cmp_le_u32_e32 vcc_lo, s26, v25
	v_add_nc_u32_e32 v26, 1, v3
	s_delay_alu instid0(VALU_DEP_1)
	v_dual_cndmask_b32 v25, v3, v26 :: v_dual_mov_b32 v26, v2
	s_branch .LBB65_96
.LBB65_101:                             ;   in Loop: Header=BB65_3 Depth=1
	v_cmp_le_f32_e32 vcc_lo, 0, v33
	v_cmp_ge_f32_e64 s0, 1.0, v33
	s_delay_alu instid0(VALU_DEP_1) | instskip(SKIP_2) | instid1(SALU_CYCLE_1)
	s_and_b32 s42, vcc_lo, s0
	s_mov_b32 s0, 0
	s_and_saveexec_b32 s43, s42
	s_xor_b32 s42, exec_lo, s43
	s_cbranch_execz .LBB65_103
; %bb.102:                              ;   in Loop: Header=BB65_3 Depth=1
	v_cvt_f32_u32_e32 v12, v12
	v_lshlrev_b64 v[9:10], 1, v[9:10]
	s_mov_b32 s0, exec_lo
	s_delay_alu instid0(VALU_DEP_2) | instskip(NEXT) | instid1(VALU_DEP_2)
	v_fmaak_f32 v12, 0x2f800000, v12, 0x2f800000
	v_add_co_u32 v9, vcc_lo, s16, v9
	s_delay_alu instid0(VALU_DEP_3) | instskip(NEXT) | instid1(VALU_DEP_3)
	v_add_co_ci_u32_e32 v10, vcc_lo, s17, v10, vcc_lo
	v_cmp_le_f32_e32 vcc_lo, v12, v33
	v_cndmask_b32_e64 v12, 0, 1, vcc_lo
	global_store_b16 v[9:10], v12, off
.LBB65_103:                             ;   in Loop: Header=BB65_3 Depth=1
	s_or_b32 exec_lo, exec_lo, s42
	s_delay_alu instid0(SALU_CYCLE_1)
	s_and_not1_b32 s42, s27, exec_lo
	s_or_b32 s27, s27, exec_lo
	s_and_not1_b32 s26, s26, exec_lo
	s_and_not1_b32 s25, s25, exec_lo
	s_and_b32 s0, s0, exec_lo
	s_and_not1_b32 s1, s1, exec_lo
	s_or_b32 exec_lo, exec_lo, s44
	s_and_saveexec_b32 s43, s1
	s_cbranch_execz .LBB65_95
.LBB65_104:                             ;   in Loop: Header=BB65_3 Depth=1
	v_cmp_eq_u32_e32 vcc_lo, 1, v16
	s_and_not1_b32 s0, s0, exec_lo
	s_and_not1_b32 s42, s42, exec_lo
	;; [unrolled: 1-line block ×4, first 2 shown]
	s_and_b32 s1, vcc_lo, exec_lo
	s_and_not1_b32 s25, s25, exec_lo
	s_or_b32 s24, s24, exec_lo
	s_or_b32 s0, s0, s1
	s_or_b32 exec_lo, exec_lo, s43
	s_and_saveexec_b32 s1, s0
	s_cbranch_execz .LBB65_108
.LBB65_105:                             ;   in Loop: Header=BB65_3 Depth=1
	v_cmp_le_f32_e32 vcc_lo, 0, v3
	v_cmp_ge_f32_e64 s0, 1.0, v3
	s_delay_alu instid0(VALU_DEP_1)
	s_and_b32 s44, vcc_lo, s0
	s_mov_b32 s0, 0
	s_and_saveexec_b32 s43, s44
	s_cbranch_execz .LBB65_107
; %bb.106:                              ;   in Loop: Header=BB65_3 Depth=1
	v_cvt_f32_u32_e32 v9, v11
	v_lshlrev_b64 v[7:8], 1, v[7:8]
	s_mov_b32 s0, exec_lo
	s_delay_alu instid0(VALU_DEP_2) | instskip(NEXT) | instid1(VALU_DEP_2)
	v_fmaak_f32 v9, 0x2f800000, v9, 0x2f800000
	v_add_co_u32 v7, vcc_lo, s16, v7
	s_delay_alu instid0(VALU_DEP_3) | instskip(NEXT) | instid1(VALU_DEP_3)
	v_add_co_ci_u32_e32 v8, vcc_lo, s17, v8, vcc_lo
	v_cmp_le_f32_e32 vcc_lo, v9, v3
	v_cndmask_b32_e64 v3, 0, 1, vcc_lo
	global_store_b16 v[7:8], v3, off
.LBB65_107:                             ;   in Loop: Header=BB65_3 Depth=1
	s_or_b32 exec_lo, exec_lo, s43
	s_delay_alu instid0(SALU_CYCLE_1)
	s_and_not1_b32 s24, s24, exec_lo
	s_and_b32 s0, s0, exec_lo
	s_or_b32 s42, s42, exec_lo
	s_and_not1_b32 s27, s27, exec_lo
	s_and_not1_b32 s26, s26, exec_lo
	;; [unrolled: 1-line block ×3, first 2 shown]
	s_or_b32 s24, s24, s0
.LBB65_108:                             ;   in Loop: Header=BB65_3 Depth=1
	s_or_b32 exec_lo, exec_lo, s1
	s_delay_alu instid0(SALU_CYCLE_1)
	s_and_not1_b32 s1, s41, exec_lo
	s_and_b32 s41, s42, exec_lo
	s_and_not1_b32 s39, s39, exec_lo
	s_and_b32 s27, s27, exec_lo
	s_or_b32 s41, s1, s41
	s_or_b32 s39, s39, s27
	s_and_not1_b32 s1, s40, exec_lo
	s_and_b32 s26, s26, exec_lo
	s_and_not1_b32 s27, s38, exec_lo
	s_and_b32 s25, s25, exec_lo
	s_mov_b32 s0, -1
	s_or_b32 s40, s1, s26
	s_or_b32 s38, s27, s25
	s_and_saveexec_b32 s1, s24
	s_cbranch_execz .LBB65_2
; %bb.109:                              ;   in Loop: Header=BB65_3 Depth=1
	v_add_co_u32 v4, vcc_lo, v4, s31
	v_add_co_ci_u32_e32 v5, vcc_lo, 0, v5, vcc_lo
	s_and_not1_b32 s41, s41, exec_lo
	s_and_not1_b32 s39, s39, exec_lo
	;; [unrolled: 1-line block ×3, first 2 shown]
	s_delay_alu instid0(VALU_DEP_1)
	v_cmp_le_u64_e32 vcc_lo, s[4:5], v[4:5]
	s_and_not1_b32 s38, s38, exec_lo
	s_or_not1_b32 s0, vcc_lo, exec_lo
	s_branch .LBB65_2
.LBB65_110:
	s_or_b32 exec_lo, exec_lo, s19
	s_xor_b32 s3, s36, -1
	s_xor_b32 s4, s37, -1
	;; [unrolled: 1-line block ×3, first 2 shown]
	s_mov_b32 s1, 0
	s_and_saveexec_b32 s2, s0
	s_delay_alu instid0(SALU_CYCLE_1)
	s_xor_b32 s0, exec_lo, s2
	s_cbranch_execz .LBB65_119
; %bb.111:
	s_mov_b32 s2, 0
	s_and_saveexec_b32 s1, s4
	s_delay_alu instid0(SALU_CYCLE_1)
	s_xor_b32 s1, exec_lo, s1
	s_cbranch_execz .LBB65_117
; %bb.112:
	s_and_saveexec_b32 s4, s3
	s_delay_alu instid0(SALU_CYCLE_1)
	s_xor_b32 s3, exec_lo, s4
	s_cbranch_execz .LBB65_115
; %bb.113:
	s_and_saveexec_b32 s4, s18
	s_delay_alu instid0(SALU_CYCLE_1)
	s_xor_b32 s4, exec_lo, s4
	s_cbranch_execnz .LBB65_133
.LBB65_114:
	s_or_b32 exec_lo, exec_lo, s4
	s_delay_alu instid0(SALU_CYCLE_1)
	s_and_b32 s2, s2, exec_lo
.LBB65_115:
	s_and_not1_saveexec_b32 s3, s3
	s_cbranch_execnz .LBB65_129
.LBB65_116:
	s_or_b32 exec_lo, exec_lo, s3
	s_delay_alu instid0(SALU_CYCLE_1)
	s_and_b32 s2, s2, exec_lo
.LBB65_117:
	s_and_not1_saveexec_b32 s1, s1
	s_cbranch_execnz .LBB65_125
.LBB65_118:
	s_or_b32 exec_lo, exec_lo, s1
	s_delay_alu instid0(SALU_CYCLE_1)
	s_and_b32 s1, s2, exec_lo
.LBB65_119:
	s_and_not1_saveexec_b32 s0, s0
	s_cbranch_execnz .LBB65_123
; %bb.120:
	s_or_b32 exec_lo, exec_lo, s0
	s_delay_alu instid0(SALU_CYCLE_1)
	s_and_b32 exec_lo, exec_lo, s1
.LBB65_121:
	; divergent unreachable
.LBB65_122:
	s_nop 0
	s_sendmsg sendmsg(MSG_DEALLOC_VGPRS)
	s_endpgm
.LBB65_123:
	s_cbranch_execnz .LBB65_127
; %bb.124:
	s_or_b32 s1, s1, exec_lo
	s_or_b32 exec_lo, exec_lo, s0
	s_delay_alu instid0(SALU_CYCLE_1)
	s_and_b32 exec_lo, exec_lo, s1
	s_cbranch_execnz .LBB65_121
	s_branch .LBB65_122
.LBB65_125:
	s_cbranch_execnz .LBB65_131
; %bb.126:
	s_or_b32 s2, s2, exec_lo
	s_branch .LBB65_118
.LBB65_127:
	s_trap 2
	s_sendmsg_rtn_b32 s0, sendmsg(MSG_RTN_GET_DOORBELL)
	s_mov_b32 ttmp2, m0
	s_waitcnt lgkmcnt(0)
	s_and_b32 s0, s0, 0x3ff
	s_delay_alu instid0(SALU_CYCLE_1) | instskip(NEXT) | instid1(SALU_CYCLE_1)
	s_bitset1_b32 s0, 10
	s_mov_b32 m0, s0
	s_sendmsg sendmsg(MSG_INTERRUPT)
	s_mov_b32 m0, ttmp2
.LBB65_128:                             ; =>This Inner Loop Header: Depth=1
	s_sethalt 5
	s_branch .LBB65_128
.LBB65_129:
	s_cbranch_execnz .LBB65_135
; %bb.130:
	s_or_b32 s2, s2, exec_lo
	s_branch .LBB65_116
.LBB65_131:
	s_trap 2
	s_sendmsg_rtn_b32 s0, sendmsg(MSG_RTN_GET_DOORBELL)
	s_mov_b32 ttmp2, m0
	s_waitcnt lgkmcnt(0)
	s_and_b32 s0, s0, 0x3ff
	s_delay_alu instid0(SALU_CYCLE_1) | instskip(NEXT) | instid1(SALU_CYCLE_1)
	s_bitset1_b32 s0, 10
	s_mov_b32 m0, s0
	s_sendmsg sendmsg(MSG_INTERRUPT)
	s_mov_b32 m0, ttmp2
.LBB65_132:                             ; =>This Inner Loop Header: Depth=1
	s_sethalt 5
	s_branch .LBB65_132
.LBB65_133:
	s_cbranch_execnz .LBB65_137
; %bb.134:
	s_mov_b32 s2, exec_lo
	s_branch .LBB65_114
.LBB65_135:
	s_trap 2
	s_sendmsg_rtn_b32 s0, sendmsg(MSG_RTN_GET_DOORBELL)
	s_mov_b32 ttmp2, m0
	s_waitcnt lgkmcnt(0)
	s_and_b32 s0, s0, 0x3ff
	s_delay_alu instid0(SALU_CYCLE_1) | instskip(NEXT) | instid1(SALU_CYCLE_1)
	s_bitset1_b32 s0, 10
	s_mov_b32 m0, s0
	s_sendmsg sendmsg(MSG_INTERRUPT)
	s_mov_b32 m0, ttmp2
.LBB65_136:                             ; =>This Inner Loop Header: Depth=1
	s_sethalt 5
	s_branch .LBB65_136
.LBB65_137:
	s_trap 2
	s_sendmsg_rtn_b32 s0, sendmsg(MSG_RTN_GET_DOORBELL)
	s_mov_b32 ttmp2, m0
	s_waitcnt lgkmcnt(0)
	s_and_b32 s0, s0, 0x3ff
	s_delay_alu instid0(SALU_CYCLE_1) | instskip(NEXT) | instid1(SALU_CYCLE_1)
	s_bitset1_b32 s0, 10
	s_mov_b32 m0, s0
	s_sendmsg sendmsg(MSG_INTERRUPT)
	s_mov_b32 m0, ttmp2
.LBB65_138:                             ; =>This Inner Loop Header: Depth=1
	s_sethalt 5
	s_branch .LBB65_138
	.section	.rodata,"a",@progbits
	.p2align	6, 0x0
	.amdhsa_kernel _ZN2at4cuda12_GLOBAL__N_121kernelPointwiseApply2IZNS_6native9templates4cuda28bernoulli_tensor_cuda_kernelIsfEEvRKNS_10TensorBaseES9_NS_15PhiloxCudaStateEEUliRsSB_SB_SB_RKfSD_SD_SD_E_sSC_mLin1ELin1ELi4ELi512ELi2EEEvNS0_6detail10TensorInfoIT0_T2_EENSG_IT1_SI_EESI_T_
		.amdhsa_group_segment_fixed_size 0
		.amdhsa_private_segment_fixed_size 0
		.amdhsa_kernarg_size 1128
		.amdhsa_user_sgpr_count 15
		.amdhsa_user_sgpr_dispatch_ptr 0
		.amdhsa_user_sgpr_queue_ptr 0
		.amdhsa_user_sgpr_kernarg_segment_ptr 1
		.amdhsa_user_sgpr_dispatch_id 0
		.amdhsa_user_sgpr_private_segment_size 0
		.amdhsa_wavefront_size32 1
		.amdhsa_uses_dynamic_stack 0
		.amdhsa_enable_private_segment 0
		.amdhsa_system_sgpr_workgroup_id_x 1
		.amdhsa_system_sgpr_workgroup_id_y 0
		.amdhsa_system_sgpr_workgroup_id_z 0
		.amdhsa_system_sgpr_workgroup_info 0
		.amdhsa_system_vgpr_workitem_id 0
		.amdhsa_next_free_vgpr 44
		.amdhsa_next_free_sgpr 46
		.amdhsa_reserve_vcc 1
		.amdhsa_float_round_mode_32 0
		.amdhsa_float_round_mode_16_64 0
		.amdhsa_float_denorm_mode_32 3
		.amdhsa_float_denorm_mode_16_64 3
		.amdhsa_dx10_clamp 1
		.amdhsa_ieee_mode 1
		.amdhsa_fp16_overflow 0
		.amdhsa_workgroup_processor_mode 1
		.amdhsa_memory_ordered 1
		.amdhsa_forward_progress 0
		.amdhsa_shared_vgpr_count 0
		.amdhsa_exception_fp_ieee_invalid_op 0
		.amdhsa_exception_fp_denorm_src 0
		.amdhsa_exception_fp_ieee_div_zero 0
		.amdhsa_exception_fp_ieee_overflow 0
		.amdhsa_exception_fp_ieee_underflow 0
		.amdhsa_exception_fp_ieee_inexact 0
		.amdhsa_exception_int_div_zero 0
	.end_amdhsa_kernel
	.section	.text._ZN2at4cuda12_GLOBAL__N_121kernelPointwiseApply2IZNS_6native9templates4cuda28bernoulli_tensor_cuda_kernelIsfEEvRKNS_10TensorBaseES9_NS_15PhiloxCudaStateEEUliRsSB_SB_SB_RKfSD_SD_SD_E_sSC_mLin1ELin1ELi4ELi512ELi2EEEvNS0_6detail10TensorInfoIT0_T2_EENSG_IT1_SI_EESI_T_,"axG",@progbits,_ZN2at4cuda12_GLOBAL__N_121kernelPointwiseApply2IZNS_6native9templates4cuda28bernoulli_tensor_cuda_kernelIsfEEvRKNS_10TensorBaseES9_NS_15PhiloxCudaStateEEUliRsSB_SB_SB_RKfSD_SD_SD_E_sSC_mLin1ELin1ELi4ELi512ELi2EEEvNS0_6detail10TensorInfoIT0_T2_EENSG_IT1_SI_EESI_T_,comdat
.Lfunc_end65:
	.size	_ZN2at4cuda12_GLOBAL__N_121kernelPointwiseApply2IZNS_6native9templates4cuda28bernoulli_tensor_cuda_kernelIsfEEvRKNS_10TensorBaseES9_NS_15PhiloxCudaStateEEUliRsSB_SB_SB_RKfSD_SD_SD_E_sSC_mLin1ELin1ELi4ELi512ELi2EEEvNS0_6detail10TensorInfoIT0_T2_EENSG_IT1_SI_EESI_T_, .Lfunc_end65-_ZN2at4cuda12_GLOBAL__N_121kernelPointwiseApply2IZNS_6native9templates4cuda28bernoulli_tensor_cuda_kernelIsfEEvRKNS_10TensorBaseES9_NS_15PhiloxCudaStateEEUliRsSB_SB_SB_RKfSD_SD_SD_E_sSC_mLin1ELin1ELi4ELi512ELi2EEEvNS0_6detail10TensorInfoIT0_T2_EENSG_IT1_SI_EESI_T_
                                        ; -- End function
	.section	.AMDGPU.csdata,"",@progbits
; Kernel info:
; codeLenInByte = 12420
; NumSgprs: 48
; NumVgprs: 44
; ScratchSize: 0
; MemoryBound: 0
; FloatMode: 240
; IeeeMode: 1
; LDSByteSize: 0 bytes/workgroup (compile time only)
; SGPRBlocks: 5
; VGPRBlocks: 5
; NumSGPRsForWavesPerEU: 48
; NumVGPRsForWavesPerEU: 44
; Occupancy: 16
; WaveLimiterHint : 1
; COMPUTE_PGM_RSRC2:SCRATCH_EN: 0
; COMPUTE_PGM_RSRC2:USER_SGPR: 15
; COMPUTE_PGM_RSRC2:TRAP_HANDLER: 0
; COMPUTE_PGM_RSRC2:TGID_X_EN: 1
; COMPUTE_PGM_RSRC2:TGID_Y_EN: 0
; COMPUTE_PGM_RSRC2:TGID_Z_EN: 0
; COMPUTE_PGM_RSRC2:TIDIG_COMP_CNT: 0
	.section	.text._ZN2at4cuda12_GLOBAL__N_121kernelPointwiseApply2IZNS_6native9templates4cuda28bernoulli_tensor_cuda_kernelIdfEEvRKNS_10TensorBaseES9_NS_15PhiloxCudaStateEEUliRdSB_SB_SB_RKfSD_SD_SD_E_dSC_jLi1ELi1ELi4ELi512ELi2EEEvNS0_6detail10TensorInfoIT0_T2_EENSG_IT1_SI_EESI_T_,"axG",@progbits,_ZN2at4cuda12_GLOBAL__N_121kernelPointwiseApply2IZNS_6native9templates4cuda28bernoulli_tensor_cuda_kernelIdfEEvRKNS_10TensorBaseES9_NS_15PhiloxCudaStateEEUliRdSB_SB_SB_RKfSD_SD_SD_E_dSC_jLi1ELi1ELi4ELi512ELi2EEEvNS0_6detail10TensorInfoIT0_T2_EENSG_IT1_SI_EESI_T_,comdat
	.globl	_ZN2at4cuda12_GLOBAL__N_121kernelPointwiseApply2IZNS_6native9templates4cuda28bernoulli_tensor_cuda_kernelIdfEEvRKNS_10TensorBaseES9_NS_15PhiloxCudaStateEEUliRdSB_SB_SB_RKfSD_SD_SD_E_dSC_jLi1ELi1ELi4ELi512ELi2EEEvNS0_6detail10TensorInfoIT0_T2_EENSG_IT1_SI_EESI_T_ ; -- Begin function _ZN2at4cuda12_GLOBAL__N_121kernelPointwiseApply2IZNS_6native9templates4cuda28bernoulli_tensor_cuda_kernelIdfEEvRKNS_10TensorBaseES9_NS_15PhiloxCudaStateEEUliRdSB_SB_SB_RKfSD_SD_SD_E_dSC_jLi1ELi1ELi4ELi512ELi2EEEvNS0_6detail10TensorInfoIT0_T2_EENSG_IT1_SI_EESI_T_
	.p2align	8
	.type	_ZN2at4cuda12_GLOBAL__N_121kernelPointwiseApply2IZNS_6native9templates4cuda28bernoulli_tensor_cuda_kernelIdfEEvRKNS_10TensorBaseES9_NS_15PhiloxCudaStateEEUliRdSB_SB_SB_RKfSD_SD_SD_E_dSC_jLi1ELi1ELi4ELi512ELi2EEEvNS0_6detail10TensorInfoIT0_T2_EENSG_IT1_SI_EESI_T_,@function
_ZN2at4cuda12_GLOBAL__N_121kernelPointwiseApply2IZNS_6native9templates4cuda28bernoulli_tensor_cuda_kernelIdfEEvRKNS_10TensorBaseES9_NS_15PhiloxCudaStateEEUliRdSB_SB_SB_RKfSD_SD_SD_E_dSC_jLi1ELi1ELi4ELi512ELi2EEEvNS0_6detail10TensorInfoIT0_T2_EENSG_IT1_SI_EESI_T_: ; @_ZN2at4cuda12_GLOBAL__N_121kernelPointwiseApply2IZNS_6native9templates4cuda28bernoulli_tensor_cuda_kernelIdfEEvRKNS_10TensorBaseES9_NS_15PhiloxCudaStateEEUliRdSB_SB_SB_RKfSD_SD_SD_E_dSC_jLi1ELi1ELi4ELi512ELi2EEEvNS0_6detail10TensorInfoIT0_T2_EENSG_IT1_SI_EESI_T_
; %bb.0:
	s_clause 0x1
	s_load_b32 s4, s[0:1], 0x1e4
	s_load_b32 s5, s[0:1], 0x1b0
	s_add_u32 s2, s0, 0x1d8
	s_addc_u32 s3, s1, 0
	s_mov_b32 s6, exec_lo
	s_waitcnt lgkmcnt(0)
	s_and_b32 s4, s4, 0xffff
	s_delay_alu instid0(SALU_CYCLE_1) | instskip(NEXT) | instid1(VALU_DEP_1)
	v_mad_u64_u32 v[1:2], null, s15, s4, v[0:1]
	v_lshlrev_b32_e32 v0, 2, v1
	s_delay_alu instid0(VALU_DEP_1)
	v_cmpx_gt_u32_e64 s5, v0
	s_cbranch_execz .LBB66_51
; %bb.1:
	s_load_b32 s3, s[2:3], 0x0
	s_clause 0x4
	s_load_b32 s17, s[0:1], 0x1d0
	s_load_b32 s2, s[0:1], 0x6c
	;; [unrolled: 1-line block ×3, first 2 shown]
	s_load_b64 s[6:7], s[0:1], 0x0
	s_load_b64 s[12:13], s[0:1], 0xd8
	v_mad_u64_u32 v[2:3], null, 0xcd9e8d57, v1, 0
	s_clause 0x1
	s_load_b64 s[14:15], s[0:1], 0x1c8
	s_load_b128 s[8:11], s[0:1], 0x1b8
	v_dual_mov_b32 v4, 0 :: v_dual_add_nc_u32 v9, 3, v0
	v_add_nc_u32_e32 v8, 2, v0
	v_sub_nc_u32_e32 v24, s5, v0
	s_mov_b32 s16, 0
	v_mov_b32_e32 v25, v3
	s_mov_b32 s24, 0
                                        ; implicit-def: $sgpr26
                                        ; implicit-def: $sgpr25
                                        ; implicit-def: $sgpr27
                                        ; implicit-def: $sgpr29
                                        ; implicit-def: $sgpr28
                                        ; implicit-def: $sgpr30
	s_waitcnt lgkmcnt(0)
	s_mul_i32 s0, s3, s4
	s_bitcmp1_b32 s17, 0
	v_mul_lo_u32 v3, s2, v1
	v_mul_lo_u32 v10, s22, v1
	v_mad_u64_u32 v[5:6], null, s2, v0, s[2:3]
	v_mul_lo_u32 v26, s2, v8
	v_mul_lo_u32 v27, s2, v9
	v_mad_u64_u32 v[6:7], null, s22, v0, s[22:23]
	v_mul_lo_u32 v29, s22, v8
	v_mul_lo_u32 v30, s22, v9
	v_lshlrev_b32_e32 v28, 2, v3
	v_lshlrev_b32_e32 v31, 2, v10
	s_mul_i32 s1, s0, s2
	s_cselect_b32 s18, -1, 0
	s_lshl_b32 s19, s0, 2
	s_mul_i32 s0, s0, s22
	s_lshl_b32 s20, s1, 2
	s_lshl_b32 s21, s0, 2
	s_mov_b32 s22, 0
                                        ; implicit-def: $sgpr23
                                        ; implicit-def: $sgpr17
	s_branch .LBB66_3
.LBB66_2:                               ;   in Loop: Header=BB66_3 Depth=1
	s_or_b32 exec_lo, exec_lo, s1
	s_delay_alu instid0(SALU_CYCLE_1) | instskip(NEXT) | instid1(SALU_CYCLE_1)
	s_and_b32 s0, exec_lo, s0
	s_or_b32 s16, s0, s16
	s_and_not1_b32 s0, s17, exec_lo
	s_and_b32 s1, s30, exec_lo
	s_and_not1_b32 s2, s25, exec_lo
	s_and_b32 s3, s28, exec_lo
	s_or_b32 s17, s0, s1
	s_or_b32 s25, s2, s3
	s_and_not1_b32 s0, s26, exec_lo
	s_and_b32 s1, s29, exec_lo
	s_and_not1_b32 s2, s23, exec_lo
	s_and_b32 s3, s27, exec_lo
	s_or_b32 s26, s0, s1
	s_or_b32 s23, s2, s3
	s_and_not1_b32 exec_lo, exec_lo, s16
	s_cbranch_execz .LBB66_39
.LBB66_3:                               ; =>This Inner Loop Header: Depth=1
	v_add_nc_u32_e32 v3, s22, v31
	v_cmp_lt_i32_e64 s0, 0, v24
	v_add_nc_u32_e32 v9, s22, v6
	v_cmp_lt_i32_e64 s1, 1, v24
	v_add_nc_u32_e32 v11, s22, v29
	v_cmp_lt_i32_e64 s2, 2, v24
	v_cndmask_b32_e64 v3, 0, v3, s0
	v_add_nc_u32_e32 v13, s22, v30
	v_cmp_lt_i32_e64 s3, 3, v24
	s_delay_alu instid0(VALU_DEP_3) | instskip(SKIP_1) | instid1(VALU_DEP_1)
	v_lshlrev_b64 v[7:8], 2, v[3:4]
	v_cndmask_b32_e64 v3, 0, v9, s1
	v_lshlrev_b64 v[9:10], 2, v[3:4]
	v_cndmask_b32_e64 v3, 0, v11, s2
	s_delay_alu instid0(VALU_DEP_4) | instskip(SKIP_1) | instid1(VALU_DEP_3)
	v_add_co_u32 v7, vcc_lo, s12, v7
	v_add_co_ci_u32_e32 v8, vcc_lo, s13, v8, vcc_lo
	v_lshlrev_b64 v[11:12], 2, v[3:4]
	v_cndmask_b32_e64 v3, 0, v13, s3
	v_add_co_u32 v9, vcc_lo, s12, v9
	v_add_co_ci_u32_e32 v10, vcc_lo, s13, v10, vcc_lo
	s_delay_alu instid0(VALU_DEP_3) | instskip(SKIP_2) | instid1(VALU_DEP_3)
	v_lshlrev_b64 v[13:14], 2, v[3:4]
	v_add_co_u32 v11, vcc_lo, s12, v11
	v_add_co_ci_u32_e32 v12, vcc_lo, s13, v12, vcc_lo
	v_add_co_u32 v13, vcc_lo, s12, v13
	s_delay_alu instid0(VALU_DEP_4)
	v_add_co_ci_u32_e32 v14, vcc_lo, s13, v14, vcc_lo
	s_clause 0x3
	global_load_b32 v32, v[7:8], off
	global_load_b32 v33, v[9:10], off
	;; [unrolled: 1-line block ×4, first 2 shown]
	v_mov_b32_e32 v14, s9
	v_dual_mov_b32 v12, s11 :: v_dual_mov_b32 v11, s10
	v_mov_b32_e32 v13, s8
	s_and_not1_b32 vcc_lo, exec_lo, s18
	s_cbranch_vccnz .LBB66_5
; %bb.4:                                ;   in Loop: Header=BB66_3 Depth=1
	v_dual_mov_b32 v7, s10 :: v_dual_mov_b32 v8, s11
	v_dual_mov_b32 v10, s9 :: v_dual_mov_b32 v9, s8
	flat_load_b64 v[7:8], v[7:8]
	flat_load_b64 v[13:14], v[9:10]
	s_waitcnt vmcnt(1) lgkmcnt(1)
	v_add_co_u32 v11, vcc_lo, v7, s14
	v_add_co_ci_u32_e32 v12, vcc_lo, s15, v8, vcc_lo
.LBB66_5:                               ;   in Loop: Header=BB66_3 Depth=1
	s_delay_alu instid0(VALU_DEP_1)
	v_alignbit_b32 v3, v12, v11, 2
	v_lshrrev_b32_e32 v9, 2, v12
	s_waitcnt vmcnt(0) lgkmcnt(0)
	v_add_nc_u32_e32 v37, 0xbb67ae85, v14
	v_add_nc_u32_e32 v38, 0x76cf5d0a, v14
	;; [unrolled: 1-line block ×3, first 2 shown]
	v_add_co_u32 v10, vcc_lo, v3, 1
	s_delay_alu instid0(VALU_DEP_1) | instskip(SKIP_4) | instid1(VALU_DEP_4)
	v_cndmask_b32_e64 v7, 0, 1, vcc_lo
	v_add_co_ci_u32_e32 v12, vcc_lo, 0, v9, vcc_lo
	v_xor3_b32 v17, v25, v13, v9
	v_add_nc_u32_e32 v40, 0xed9eba14, v14
	v_add_nc_u32_e32 v42, 0xa9066899, v14
	v_cmp_eq_u32_e32 vcc_lo, 0, v12
	v_add_nc_u32_e32 v43, 0x646e171e, v14
	s_mov_b32 s4, exec_lo
	v_dual_cndmask_b32 v15, 0, v7 :: v_dual_add_nc_u32 v36, 0x9e3779b9, v13
	v_mad_u64_u32 v[7:8], null, 0xd2511f53, v10, 0
	s_delay_alu instid0(VALU_DEP_2) | instskip(NEXT) | instid1(VALU_DEP_2)
	v_add_nc_u32_e32 v10, v15, v1
	v_xor_b32_e32 v16, v8, v14
	s_delay_alu instid0(VALU_DEP_2) | instskip(SKIP_2) | instid1(VALU_DEP_1)
	v_cmp_eq_u32_e32 vcc_lo, 0, v10
	v_mad_u64_u32 v[8:9], null, 0xd2511f53, v3, 0
	v_cndmask_b32_e32 v15, 0, v15, vcc_lo
	v_xor_b32_e32 v3, v15, v16
	v_mad_u64_u32 v[15:16], null, 0xd2511f53, v17, 0
	v_mad_u64_u32 v[17:18], null, 0xcd9e8d57, v10, 0
	s_delay_alu instid0(VALU_DEP_3) | instskip(SKIP_3) | instid1(VALU_DEP_3)
	v_mad_u64_u32 v[19:20], null, 0xcd9e8d57, v3, 0
	v_xor_b32_e32 v3, v9, v14
	v_add_nc_u32_e32 v10, 0x3c6ef372, v13
	v_xor3_b32 v21, v37, v16, v8
	v_mad_u64_u32 v[8:9], null, 0xcd9e8d57, v3, 0
	v_xor3_b32 v3, v18, v13, v12
	v_xor3_b32 v12, v36, v20, v17
	s_delay_alu instid0(VALU_DEP_4) | instskip(NEXT) | instid1(VALU_DEP_3)
	v_mad_u64_u32 v[16:17], null, 0xcd9e8d57, v21, 0
	v_mad_u64_u32 v[20:21], null, 0xd2511f53, v3, 0
	s_delay_alu instid0(VALU_DEP_3) | instskip(SKIP_1) | instid1(VALU_DEP_4)
	v_mad_u64_u32 v[22:23], null, 0xd2511f53, v12, 0
	v_xor3_b32 v3, v2, v9, v36
	v_xor3_b32 v36, v10, v17, v8
	v_add_nc_u32_e32 v12, 0xdaa66d2b, v13
	s_delay_alu instid0(VALU_DEP_3) | instskip(SKIP_4) | instid1(VALU_DEP_4)
	v_mad_u64_u32 v[8:9], null, 0xd2511f53, v3, 0
	v_xor3_b32 v3, v37, v21, v7
	v_xor3_b32 v7, v38, v23, v20
	v_mad_u64_u32 v[17:18], null, 0xd2511f53, v36, 0
	v_add_nc_u32_e32 v23, 0x78dde6e4, v13
	v_mad_u64_u32 v[20:21], null, 0xcd9e8d57, v3, 0
	s_delay_alu instid0(VALU_DEP_4) | instskip(SKIP_2) | instid1(VALU_DEP_2)
	v_mad_u64_u32 v[36:37], null, 0xcd9e8d57, v7, 0
	v_xor3_b32 v3, v38, v9, v15
	v_xor3_b32 v15, v39, v18, v8
	v_mad_u64_u32 v[7:8], null, 0xcd9e8d57, v3, 0
	v_xor3_b32 v3, v10, v21, v19
	v_xor3_b32 v37, v12, v37, v20
	s_delay_alu instid0(VALU_DEP_4) | instskip(NEXT) | instid1(VALU_DEP_3)
	v_mad_u64_u32 v[9:10], null, 0xcd9e8d57, v15, 0
	v_mad_u64_u32 v[18:19], null, 0xd2511f53, v3, 0
	s_delay_alu instid0(VALU_DEP_3) | instskip(SKIP_1) | instid1(VALU_DEP_4)
	v_mad_u64_u32 v[20:21], null, 0xd2511f53, v37, 0
	v_xor3_b32 v3, v12, v8, v16
	v_xor3_b32 v10, v23, v10, v7
	v_add_nc_u32_e32 v12, 0x1715609d, v13
	s_delay_alu instid0(VALU_DEP_3) | instskip(SKIP_3) | instid1(VALU_DEP_3)
	v_mad_u64_u32 v[7:8], null, 0xd2511f53, v3, 0
	v_xor3_b32 v3, v39, v19, v22
	v_xor3_b32 v18, v40, v21, v18
	v_mad_u64_u32 v[21:22], null, 0xd2511f53, v10, 0
	v_mad_u64_u32 v[15:16], null, 0xcd9e8d57, v3, 0
	s_delay_alu instid0(VALU_DEP_3) | instskip(SKIP_1) | instid1(VALU_DEP_4)
	v_mad_u64_u32 v[37:38], null, 0xcd9e8d57, v18, 0
	v_xor3_b32 v3, v40, v8, v17
	v_xor3_b32 v10, v42, v22, v7
	v_add_nc_u32_e32 v17, 0xb54cda56, v13
	s_delay_alu instid0(VALU_DEP_3) | instskip(SKIP_4) | instid1(VALU_DEP_4)
	v_mad_u64_u32 v[7:8], null, 0xcd9e8d57, v3, 0
	v_xor3_b32 v3, v23, v16, v36
	v_xor3_b32 v18, v12, v38, v15
	v_mad_u64_u32 v[38:39], null, 0xcd9e8d57, v10, 0
	v_add_nc_u32_e32 v23, 0x1fd5c5a3, v14
	v_mad_u64_u32 v[15:16], null, 0xd2511f53, v3, 0
	s_delay_alu instid0(VALU_DEP_4) | instskip(SKIP_4) | instid1(VALU_DEP_4)
	v_mad_u64_u32 v[40:41], null, 0xd2511f53, v18, 0
	v_xor3_b32 v3, v12, v8, v9
	v_xor3_b32 v9, v17, v39, v7
	v_add_nc_u32_e32 v12, 0x5384540f, v13
	v_add_co_u32 v36, null, 0xf1bbcdc8, v13
	v_mad_u64_u32 v[7:8], null, 0xd2511f53, v3, 0
	v_xor3_b32 v3, v42, v16, v20
	v_xor3_b32 v20, v43, v41, v15
	v_mad_u64_u32 v[15:16], null, 0xd2511f53, v9, 0
	s_delay_alu instid0(VALU_DEP_3) | instskip(NEXT) | instid1(VALU_DEP_3)
	v_mad_u64_u32 v[9:10], null, 0xcd9e8d57, v3, 0
	v_mad_u64_u32 v[18:19], null, 0xcd9e8d57, v20, 0
	v_xor3_b32 v3, v43, v8, v21
	s_delay_alu instid0(VALU_DEP_4) | instskip(NEXT) | instid1(VALU_DEP_2)
	v_xor3_b32 v20, v23, v16, v7
	v_mad_u64_u32 v[7:8], null, 0xcd9e8d57, v3, 0
	v_xor3_b32 v3, v17, v10, v37
	v_xor3_b32 v19, v12, v19, v9
	s_delay_alu instid0(VALU_DEP_4) | instskip(SKIP_1) | instid1(VALU_DEP_4)
	v_mad_u64_u32 v[16:17], null, 0xcd9e8d57, v20, 0
	v_add_nc_u32_e32 v37, 0xdb3d7428, v14
	v_mad_u64_u32 v[9:10], null, 0xd2511f53, v3, 0
	s_delay_alu instid0(VALU_DEP_4) | instskip(SKIP_2) | instid1(VALU_DEP_2)
	v_mad_u64_u32 v[21:22], null, 0xd2511f53, v19, 0
	v_xor3_b32 v3, v12, v8, v38
	v_xor3_b32 v12, v36, v17, v7
	v_mad_u64_u32 v[19:20], null, 0xd2511f53, v3, 0
	v_xor3_b32 v3, v23, v10, v40
	v_xor3_b32 v17, v37, v22, v9
	s_delay_alu instid0(VALU_DEP_4) | instskip(NEXT) | instid1(VALU_DEP_3)
	v_mad_u64_u32 v[7:8], null, 0xd2511f53, v12, 0
	v_mad_u64_u32 v[22:23], null, 0xcd9e8d57, v3, 0
	s_delay_alu instid0(VALU_DEP_3) | instskip(SKIP_3) | instid1(VALU_DEP_3)
	v_mad_u64_u32 v[9:10], null, 0xcd9e8d57, v17, 0
	v_add_nc_u32_e32 v17, 0x96a522ad, v14
	v_add_nc_u32_e32 v14, 0x8ff34781, v13
	v_and_b32_e32 v13, 3, v11
                                        ; implicit-def: $vgpr3
	v_xor3_b32 v12, v8, v19, v17
	s_delay_alu instid0(VALU_DEP_3) | instskip(NEXT) | instid1(VALU_DEP_3)
	v_xor3_b32 v8, v10, v22, v14
	v_cmpx_lt_i32_e32 1, v13
	s_xor_b32 s4, exec_lo, s4
	s_cbranch_execz .LBB66_11
; %bb.6:                                ;   in Loop: Header=BB66_3 Depth=1
	s_mov_b32 s31, exec_lo
                                        ; implicit-def: $vgpr3
	v_cmpx_lt_i32_e32 2, v13
	s_xor_b32 s31, exec_lo, s31
; %bb.7:                                ;   in Loop: Header=BB66_3 Depth=1
	v_xor3_b32 v3, v36, v23, v18
                                        ; implicit-def: $vgpr12
	s_delay_alu instid0(VALU_DEP_1) | instskip(NEXT) | instid1(VALU_DEP_1)
	v_mul_hi_u32 v3, 0xd2511f53, v3
	v_xor3_b32 v3, v3, v21, v17
; %bb.8:                                ;   in Loop: Header=BB66_3 Depth=1
	s_and_not1_saveexec_b32 s31, s31
; %bb.9:                                ;   in Loop: Header=BB66_3 Depth=1
	v_mov_b32_e32 v3, v9
	v_dual_mov_b32 v9, v8 :: v_dual_mov_b32 v8, v7
	v_mov_b32_e32 v7, v12
; %bb.10:                               ;   in Loop: Header=BB66_3 Depth=1
	s_or_b32 exec_lo, exec_lo, s31
                                        ; implicit-def: $vgpr15_vgpr16
                                        ; implicit-def: $vgpr13
                                        ; implicit-def: $vgpr12
                                        ; implicit-def: $vgpr37
                                        ; implicit-def: $vgpr19_vgpr20
                                        ; implicit-def: $vgpr14
                                        ; implicit-def: $vgpr16_vgpr17
.LBB66_11:                              ;   in Loop: Header=BB66_3 Depth=1
	s_and_not1_saveexec_b32 s4, s4
	s_cbranch_execz .LBB66_15
; %bb.12:                               ;   in Loop: Header=BB66_3 Depth=1
	v_xor3_b32 v3, v37, v20, v15
	v_cmp_eq_u32_e32 vcc_lo, 1, v13
	v_mov_b32_e32 v9, v12
	s_delay_alu instid0(VALU_DEP_3) | instskip(SKIP_1) | instid1(VALU_DEP_2)
	v_mad_u64_u32 v[10:11], null, 0xcd9e8d57, v3, 0
	v_mov_b32_e32 v3, v7
	v_xor3_b32 v13, v11, v16, v14
	s_delay_alu instid0(VALU_DEP_3)
	v_mov_b32_e32 v11, v10
	s_and_saveexec_b32 s31, vcc_lo
; %bb.13:                               ;   in Loop: Header=BB66_3 Depth=1
	v_mov_b32_e32 v3, v8
	v_mov_b32_e32 v9, v7
	v_mov_b32_e32 v11, v12
	v_mov_b32_e32 v13, v10
; %bb.14:                               ;   in Loop: Header=BB66_3 Depth=1
	s_or_b32 exec_lo, exec_lo, s31
	s_delay_alu instid0(VALU_DEP_1)
	v_dual_mov_b32 v7, v13 :: v_dual_mov_b32 v8, v11
.LBB66_15:                              ;   in Loop: Header=BB66_3 Depth=1
	s_or_b32 exec_lo, exec_lo, s4
	v_min_i32_e32 v10, 4, v24
	s_mov_b32 s31, 0
	s_mov_b32 s37, 0
	s_mov_b32 s35, exec_lo
                                        ; implicit-def: $sgpr4
                                        ; implicit-def: $sgpr33
                                        ; implicit-def: $sgpr34
	s_delay_alu instid0(VALU_DEP_1)
	v_cmpx_lt_i32_e32 2, v10
	s_xor_b32 s35, exec_lo, s35
	s_cbranch_execz .LBB66_25
; %bb.16:                               ;   in Loop: Header=BB66_3 Depth=1
	s_mov_b32 s36, -1
	s_mov_b32 s34, exec_lo
                                        ; implicit-def: $sgpr33
                                        ; implicit-def: $sgpr4
	v_cmpx_lt_i32_e32 3, v10
	s_cbranch_execz .LBB66_20
; %bb.17:                               ;   in Loop: Header=BB66_3 Depth=1
	v_cmp_le_f32_e32 vcc_lo, 0, v35
	v_cmp_ge_f32_e64 s4, 1.0, v35
	s_mov_b32 s33, 0
	s_mov_b32 s36, 0
	s_delay_alu instid0(VALU_DEP_1) | instskip(NEXT) | instid1(SALU_CYCLE_1)
	s_and_b32 s37, vcc_lo, s4
	s_and_saveexec_b32 s4, s37
	s_cbranch_execz .LBB66_19
; %bb.18:                               ;   in Loop: Header=BB66_3 Depth=1
	v_add_nc_u32_e32 v11, s24, v27
	v_cvt_f32_u32_e32 v12, v3
	s_mov_b32 s36, exec_lo
	s_delay_alu instid0(VALU_DEP_2) | instskip(NEXT) | instid1(VALU_DEP_2)
	v_cndmask_b32_e64 v3, 0, v11, s3
	v_fmaak_f32 v13, 0x2f800000, v12, 0x2f800000
	s_delay_alu instid0(VALU_DEP_2) | instskip(NEXT) | instid1(VALU_DEP_2)
	v_lshlrev_b64 v[11:12], 3, v[3:4]
	v_cmp_le_f32_e32 vcc_lo, v13, v35
	v_cndmask_b32_e64 v13, 0, 0x3ff00000, vcc_lo
	s_delay_alu instid0(VALU_DEP_3) | instskip(NEXT) | instid1(VALU_DEP_4)
	v_add_co_u32 v14, vcc_lo, s6, v11
	v_add_co_ci_u32_e32 v15, vcc_lo, s7, v12, vcc_lo
	v_mov_b32_e32 v12, v4
	global_store_b64 v[14:15], v[12:13], off
.LBB66_19:                              ;   in Loop: Header=BB66_3 Depth=1
	s_or_b32 exec_lo, exec_lo, s4
	s_mov_b32 s4, -1
	s_or_not1_b32 s36, s36, exec_lo
.LBB66_20:                              ;   in Loop: Header=BB66_3 Depth=1
	s_or_b32 exec_lo, exec_lo, s34
	s_mov_b32 s3, 0
	s_mov_b32 s37, s33
	s_and_saveexec_b32 s34, s36
	s_cbranch_execz .LBB66_24
; %bb.21:                               ;   in Loop: Header=BB66_3 Depth=1
	v_cmp_le_f32_e32 vcc_lo, 0, v34
	v_cmp_ge_f32_e64 s3, 1.0, v34
	s_delay_alu instid0(VALU_DEP_1) | instskip(SKIP_2) | instid1(SALU_CYCLE_1)
	s_and_b32 s36, vcc_lo, s3
	s_mov_b32 s3, 0
	s_and_saveexec_b32 s37, s36
	s_xor_b32 s36, exec_lo, s37
	s_cbranch_execz .LBB66_23
; %bb.22:                               ;   in Loop: Header=BB66_3 Depth=1
	v_add_nc_u32_e32 v3, s24, v26
	v_cvt_f32_u32_e32 v9, v9
	s_mov_b32 s3, exec_lo
	s_delay_alu instid0(VALU_DEP_2) | instskip(NEXT) | instid1(VALU_DEP_2)
	v_cndmask_b32_e64 v3, 0, v3, s2
	v_fmaak_f32 v9, 0x2f800000, v9, 0x2f800000
	s_delay_alu instid0(VALU_DEP_2) | instskip(NEXT) | instid1(VALU_DEP_2)
	v_lshlrev_b64 v[11:12], 3, v[3:4]
	v_cmp_le_f32_e32 vcc_lo, v9, v34
	v_cndmask_b32_e64 v13, 0, 0x3ff00000, vcc_lo
	s_delay_alu instid0(VALU_DEP_3) | instskip(NEXT) | instid1(VALU_DEP_4)
	v_add_co_u32 v14, vcc_lo, s6, v11
	v_add_co_ci_u32_e32 v15, vcc_lo, s7, v12, vcc_lo
	v_mov_b32_e32 v12, v4
	global_store_b64 v[14:15], v[12:13], off
.LBB66_23:                              ;   in Loop: Header=BB66_3 Depth=1
	s_or_b32 exec_lo, exec_lo, s36
	s_delay_alu instid0(SALU_CYCLE_1)
	s_and_not1_b32 s37, s33, exec_lo
	s_or_b32 s33, s33, exec_lo
	s_and_not1_b32 s4, s4, exec_lo
	s_and_b32 s3, s3, exec_lo
.LBB66_24:                              ;   in Loop: Header=BB66_3 Depth=1
	s_or_b32 exec_lo, exec_lo, s34
	s_delay_alu instid0(SALU_CYCLE_1)
	s_and_b32 s34, s37, exec_lo
	s_and_b32 s33, s33, exec_lo
	;; [unrolled: 1-line block ×4, first 2 shown]
.LBB66_25:                              ;   in Loop: Header=BB66_3 Depth=1
	s_and_not1_saveexec_b32 s2, s35
; %bb.26:                               ;   in Loop: Header=BB66_3 Depth=1
	v_cmp_lt_i32_e32 vcc_lo, 1, v10
	s_and_not1_b32 s3, s37, exec_lo
	s_mov_b32 s31, exec_lo
	s_and_not1_b32 s34, s34, exec_lo
	s_and_not1_b32 s33, s33, exec_lo
	s_and_b32 s35, vcc_lo, exec_lo
	s_and_not1_b32 s4, s4, exec_lo
	s_or_b32 s37, s3, s35
; %bb.27:                               ;   in Loop: Header=BB66_3 Depth=1
	s_or_b32 exec_lo, exec_lo, s2
	s_mov_b32 s3, 0
	s_mov_b32 s35, 0
	s_mov_b32 s2, s34
	s_and_saveexec_b32 s36, s37
	s_cbranch_execnz .LBB66_30
; %bb.28:                               ;   in Loop: Header=BB66_3 Depth=1
	s_or_b32 exec_lo, exec_lo, s36
	s_and_saveexec_b32 s1, s31
	s_cbranch_execnz .LBB66_33
.LBB66_29:                              ;   in Loop: Header=BB66_3 Depth=1
	s_or_b32 exec_lo, exec_lo, s1
	s_and_saveexec_b32 s31, s35
	s_cbranch_execnz .LBB66_34
	s_branch .LBB66_37
.LBB66_30:                              ;   in Loop: Header=BB66_3 Depth=1
	v_cmp_le_f32_e32 vcc_lo, 0, v33
	v_cmp_ge_f32_e64 s2, 1.0, v33
	s_delay_alu instid0(VALU_DEP_1) | instskip(NEXT) | instid1(SALU_CYCLE_1)
	s_and_b32 s2, vcc_lo, s2
	s_and_saveexec_b32 s37, s2
	s_delay_alu instid0(SALU_CYCLE_1)
	s_xor_b32 s2, exec_lo, s37
	s_cbranch_execz .LBB66_32
; %bb.31:                               ;   in Loop: Header=BB66_3 Depth=1
	v_add_nc_u32_e32 v3, s24, v5
	v_cvt_f32_u32_e32 v8, v8
	s_mov_b32 s35, exec_lo
	s_delay_alu instid0(VALU_DEP_2) | instskip(NEXT) | instid1(VALU_DEP_2)
	v_cndmask_b32_e64 v3, 0, v3, s1
	v_fmaak_f32 v11, 0x2f800000, v8, 0x2f800000
	s_delay_alu instid0(VALU_DEP_2) | instskip(NEXT) | instid1(VALU_DEP_2)
	v_lshlrev_b64 v[8:9], 3, v[3:4]
	v_cmp_le_f32_e32 vcc_lo, v11, v33
	v_mov_b32_e32 v11, v4
	v_cndmask_b32_e64 v12, 0, 0x3ff00000, vcc_lo
	s_delay_alu instid0(VALU_DEP_4)
	v_add_co_u32 v8, vcc_lo, s6, v8
	v_add_co_ci_u32_e32 v9, vcc_lo, s7, v9, vcc_lo
	global_store_b64 v[8:9], v[11:12], off
.LBB66_32:                              ;   in Loop: Header=BB66_3 Depth=1
	s_or_b32 exec_lo, exec_lo, s2
	s_delay_alu instid0(SALU_CYCLE_1)
	s_and_not1_b32 s2, s34, exec_lo
	s_or_b32 s34, s34, exec_lo
	s_and_not1_b32 s33, s33, exec_lo
	s_and_not1_b32 s4, s4, exec_lo
	s_and_b32 s35, s35, exec_lo
	s_and_not1_b32 s31, s31, exec_lo
	s_or_b32 exec_lo, exec_lo, s36
	s_and_saveexec_b32 s1, s31
	s_cbranch_execz .LBB66_29
.LBB66_33:                              ;   in Loop: Header=BB66_3 Depth=1
	v_cmp_eq_u32_e32 vcc_lo, 1, v10
	s_and_not1_b32 s31, s35, exec_lo
	s_mov_b32 s3, exec_lo
	s_and_not1_b32 s2, s2, exec_lo
	s_and_not1_b32 s34, s34, exec_lo
	s_and_b32 s35, vcc_lo, exec_lo
	s_and_not1_b32 s33, s33, exec_lo
	s_and_not1_b32 s4, s4, exec_lo
	s_or_b32 s35, s31, s35
	s_or_b32 exec_lo, exec_lo, s1
	s_and_saveexec_b32 s31, s35
	s_cbranch_execz .LBB66_37
.LBB66_34:                              ;   in Loop: Header=BB66_3 Depth=1
	v_cmp_le_f32_e32 vcc_lo, 0, v32
	v_cmp_ge_f32_e64 s1, 1.0, v32
	s_delay_alu instid0(VALU_DEP_1)
	s_and_b32 s36, vcc_lo, s1
	s_mov_b32 s1, 0
	s_and_saveexec_b32 s35, s36
	s_cbranch_execz .LBB66_36
; %bb.35:                               ;   in Loop: Header=BB66_3 Depth=1
	v_add_nc_u32_e32 v3, s24, v28
	v_cvt_f32_u32_e32 v7, v7
	s_mov_b32 s1, exec_lo
	s_delay_alu instid0(VALU_DEP_2) | instskip(NEXT) | instid1(VALU_DEP_2)
	v_cndmask_b32_e64 v3, 0, v3, s0
	v_fmaak_f32 v9, 0x2f800000, v7, 0x2f800000
	s_delay_alu instid0(VALU_DEP_2) | instskip(NEXT) | instid1(VALU_DEP_2)
	v_lshlrev_b64 v[7:8], 3, v[3:4]
	v_cmp_le_f32_e32 vcc_lo, v9, v32
	v_cndmask_b32_e64 v9, 0, 0x3ff00000, vcc_lo
	s_delay_alu instid0(VALU_DEP_3) | instskip(NEXT) | instid1(VALU_DEP_4)
	v_add_co_u32 v10, vcc_lo, s6, v7
	v_add_co_ci_u32_e32 v11, vcc_lo, s7, v8, vcc_lo
	v_mov_b32_e32 v8, v4
	global_store_b64 v[10:11], v[8:9], off
.LBB66_36:                              ;   in Loop: Header=BB66_3 Depth=1
	s_or_b32 exec_lo, exec_lo, s35
	s_delay_alu instid0(SALU_CYCLE_1)
	s_and_not1_b32 s0, s3, exec_lo
	s_and_b32 s1, s1, exec_lo
	s_or_b32 s2, s2, exec_lo
	s_and_not1_b32 s34, s34, exec_lo
	s_and_not1_b32 s33, s33, exec_lo
	;; [unrolled: 1-line block ×3, first 2 shown]
	s_or_b32 s3, s0, s1
.LBB66_37:                              ;   in Loop: Header=BB66_3 Depth=1
	s_or_b32 exec_lo, exec_lo, s31
	s_delay_alu instid0(SALU_CYCLE_1)
	s_and_not1_b32 s1, s30, exec_lo
	s_and_b32 s2, s2, exec_lo
	s_and_not1_b32 s28, s28, exec_lo
	s_and_b32 s31, s34, exec_lo
	s_or_b32 s30, s1, s2
	s_and_not1_b32 s1, s29, exec_lo
	s_and_b32 s2, s33, exec_lo
	s_and_not1_b32 s27, s27, exec_lo
	s_and_b32 s4, s4, exec_lo
	s_mov_b32 s0, -1
	s_or_b32 s28, s28, s31
	s_or_b32 s29, s1, s2
	;; [unrolled: 1-line block ×3, first 2 shown]
	s_and_saveexec_b32 s1, s3
	s_cbranch_execz .LBB66_2
; %bb.38:                               ;   in Loop: Header=BB66_3 Depth=1
	v_add_nc_u32_e32 v0, s19, v0
	v_subrev_nc_u32_e32 v24, s19, v24
	s_add_i32 s24, s24, s20
	s_add_i32 s22, s22, s21
	s_and_not1_b32 s30, s30, exec_lo
	v_cmp_le_u32_e32 vcc_lo, s5, v0
	s_and_not1_b32 s28, s28, exec_lo
	s_and_not1_b32 s29, s29, exec_lo
	;; [unrolled: 1-line block ×3, first 2 shown]
	s_or_not1_b32 s0, vcc_lo, exec_lo
	s_branch .LBB66_2
.LBB66_39:
	s_or_b32 exec_lo, exec_lo, s16
	s_xor_b32 s3, s25, -1
	s_xor_b32 s4, s26, -1
	;; [unrolled: 1-line block ×3, first 2 shown]
	s_mov_b32 s1, 0
	s_and_saveexec_b32 s2, s0
	s_delay_alu instid0(SALU_CYCLE_1)
	s_xor_b32 s0, exec_lo, s2
	s_cbranch_execz .LBB66_48
; %bb.40:
	s_mov_b32 s2, 0
	s_and_saveexec_b32 s1, s4
	s_delay_alu instid0(SALU_CYCLE_1)
	s_xor_b32 s1, exec_lo, s1
	s_cbranch_execz .LBB66_46
; %bb.41:
	s_and_saveexec_b32 s4, s3
	s_delay_alu instid0(SALU_CYCLE_1)
	s_xor_b32 s3, exec_lo, s4
	s_cbranch_execz .LBB66_44
; %bb.42:
	s_and_saveexec_b32 s4, s17
	s_delay_alu instid0(SALU_CYCLE_1)
	s_xor_b32 s4, exec_lo, s4
	s_cbranch_execnz .LBB66_62
.LBB66_43:
	s_or_b32 exec_lo, exec_lo, s4
	s_delay_alu instid0(SALU_CYCLE_1)
	s_and_b32 s2, s2, exec_lo
.LBB66_44:
	s_and_not1_saveexec_b32 s3, s3
	s_cbranch_execnz .LBB66_58
.LBB66_45:
	s_or_b32 exec_lo, exec_lo, s3
	s_delay_alu instid0(SALU_CYCLE_1)
	s_and_b32 s2, s2, exec_lo
.LBB66_46:
	s_and_not1_saveexec_b32 s1, s1
	s_cbranch_execnz .LBB66_54
.LBB66_47:
	s_or_b32 exec_lo, exec_lo, s1
	s_delay_alu instid0(SALU_CYCLE_1)
	s_and_b32 s1, s2, exec_lo
.LBB66_48:
	s_and_not1_saveexec_b32 s0, s0
	s_cbranch_execnz .LBB66_52
; %bb.49:
	s_or_b32 exec_lo, exec_lo, s0
	s_delay_alu instid0(SALU_CYCLE_1)
	s_and_b32 exec_lo, exec_lo, s1
.LBB66_50:
	; divergent unreachable
.LBB66_51:
	s_nop 0
	s_sendmsg sendmsg(MSG_DEALLOC_VGPRS)
	s_endpgm
.LBB66_52:
	s_cbranch_execnz .LBB66_56
; %bb.53:
	s_or_b32 s1, s1, exec_lo
	s_or_b32 exec_lo, exec_lo, s0
	s_delay_alu instid0(SALU_CYCLE_1)
	s_and_b32 exec_lo, exec_lo, s1
	s_cbranch_execnz .LBB66_50
	s_branch .LBB66_51
.LBB66_54:
	s_cbranch_execnz .LBB66_60
; %bb.55:
	s_or_b32 s2, s2, exec_lo
	s_branch .LBB66_47
.LBB66_56:
	s_trap 2
	s_sendmsg_rtn_b32 s0, sendmsg(MSG_RTN_GET_DOORBELL)
	s_mov_b32 ttmp2, m0
	s_waitcnt lgkmcnt(0)
	s_and_b32 s0, s0, 0x3ff
	s_delay_alu instid0(SALU_CYCLE_1) | instskip(NEXT) | instid1(SALU_CYCLE_1)
	s_bitset1_b32 s0, 10
	s_mov_b32 m0, s0
	s_sendmsg sendmsg(MSG_INTERRUPT)
	s_mov_b32 m0, ttmp2
.LBB66_57:                              ; =>This Inner Loop Header: Depth=1
	s_sethalt 5
	s_branch .LBB66_57
.LBB66_58:
	s_cbranch_execnz .LBB66_64
; %bb.59:
	s_or_b32 s2, s2, exec_lo
	s_branch .LBB66_45
.LBB66_60:
	s_trap 2
	s_sendmsg_rtn_b32 s0, sendmsg(MSG_RTN_GET_DOORBELL)
	s_mov_b32 ttmp2, m0
	s_waitcnt lgkmcnt(0)
	s_and_b32 s0, s0, 0x3ff
	s_delay_alu instid0(SALU_CYCLE_1) | instskip(NEXT) | instid1(SALU_CYCLE_1)
	s_bitset1_b32 s0, 10
	s_mov_b32 m0, s0
	s_sendmsg sendmsg(MSG_INTERRUPT)
	s_mov_b32 m0, ttmp2
.LBB66_61:                              ; =>This Inner Loop Header: Depth=1
	s_sethalt 5
	s_branch .LBB66_61
.LBB66_62:
	s_cbranch_execnz .LBB66_66
; %bb.63:
	s_mov_b32 s2, exec_lo
	s_branch .LBB66_43
.LBB66_64:
	s_trap 2
	s_sendmsg_rtn_b32 s0, sendmsg(MSG_RTN_GET_DOORBELL)
	s_mov_b32 ttmp2, m0
	s_waitcnt lgkmcnt(0)
	s_and_b32 s0, s0, 0x3ff
	s_delay_alu instid0(SALU_CYCLE_1) | instskip(NEXT) | instid1(SALU_CYCLE_1)
	s_bitset1_b32 s0, 10
	s_mov_b32 m0, s0
	s_sendmsg sendmsg(MSG_INTERRUPT)
	s_mov_b32 m0, ttmp2
.LBB66_65:                              ; =>This Inner Loop Header: Depth=1
	s_sethalt 5
	s_branch .LBB66_65
.LBB66_66:
	s_trap 2
	s_sendmsg_rtn_b32 s0, sendmsg(MSG_RTN_GET_DOORBELL)
	s_mov_b32 ttmp2, m0
	s_waitcnt lgkmcnt(0)
	s_and_b32 s0, s0, 0x3ff
	s_delay_alu instid0(SALU_CYCLE_1) | instskip(NEXT) | instid1(SALU_CYCLE_1)
	s_bitset1_b32 s0, 10
	s_mov_b32 m0, s0
	s_sendmsg sendmsg(MSG_INTERRUPT)
	s_mov_b32 m0, ttmp2
.LBB66_67:                              ; =>This Inner Loop Header: Depth=1
	s_sethalt 5
	s_branch .LBB66_67
	.section	.rodata,"a",@progbits
	.p2align	6, 0x0
	.amdhsa_kernel _ZN2at4cuda12_GLOBAL__N_121kernelPointwiseApply2IZNS_6native9templates4cuda28bernoulli_tensor_cuda_kernelIdfEEvRKNS_10TensorBaseES9_NS_15PhiloxCudaStateEEUliRdSB_SB_SB_RKfSD_SD_SD_E_dSC_jLi1ELi1ELi4ELi512ELi2EEEvNS0_6detail10TensorInfoIT0_T2_EENSG_IT1_SI_EESI_T_
		.amdhsa_group_segment_fixed_size 0
		.amdhsa_private_segment_fixed_size 0
		.amdhsa_kernarg_size 728
		.amdhsa_user_sgpr_count 15
		.amdhsa_user_sgpr_dispatch_ptr 0
		.amdhsa_user_sgpr_queue_ptr 0
		.amdhsa_user_sgpr_kernarg_segment_ptr 1
		.amdhsa_user_sgpr_dispatch_id 0
		.amdhsa_user_sgpr_private_segment_size 0
		.amdhsa_wavefront_size32 1
		.amdhsa_uses_dynamic_stack 0
		.amdhsa_enable_private_segment 0
		.amdhsa_system_sgpr_workgroup_id_x 1
		.amdhsa_system_sgpr_workgroup_id_y 0
		.amdhsa_system_sgpr_workgroup_id_z 0
		.amdhsa_system_sgpr_workgroup_info 0
		.amdhsa_system_vgpr_workitem_id 0
		.amdhsa_next_free_vgpr 44
		.amdhsa_next_free_sgpr 38
		.amdhsa_reserve_vcc 1
		.amdhsa_float_round_mode_32 0
		.amdhsa_float_round_mode_16_64 0
		.amdhsa_float_denorm_mode_32 3
		.amdhsa_float_denorm_mode_16_64 3
		.amdhsa_dx10_clamp 1
		.amdhsa_ieee_mode 1
		.amdhsa_fp16_overflow 0
		.amdhsa_workgroup_processor_mode 1
		.amdhsa_memory_ordered 1
		.amdhsa_forward_progress 0
		.amdhsa_shared_vgpr_count 0
		.amdhsa_exception_fp_ieee_invalid_op 0
		.amdhsa_exception_fp_denorm_src 0
		.amdhsa_exception_fp_ieee_div_zero 0
		.amdhsa_exception_fp_ieee_overflow 0
		.amdhsa_exception_fp_ieee_underflow 0
		.amdhsa_exception_fp_ieee_inexact 0
		.amdhsa_exception_int_div_zero 0
	.end_amdhsa_kernel
	.section	.text._ZN2at4cuda12_GLOBAL__N_121kernelPointwiseApply2IZNS_6native9templates4cuda28bernoulli_tensor_cuda_kernelIdfEEvRKNS_10TensorBaseES9_NS_15PhiloxCudaStateEEUliRdSB_SB_SB_RKfSD_SD_SD_E_dSC_jLi1ELi1ELi4ELi512ELi2EEEvNS0_6detail10TensorInfoIT0_T2_EENSG_IT1_SI_EESI_T_,"axG",@progbits,_ZN2at4cuda12_GLOBAL__N_121kernelPointwiseApply2IZNS_6native9templates4cuda28bernoulli_tensor_cuda_kernelIdfEEvRKNS_10TensorBaseES9_NS_15PhiloxCudaStateEEUliRdSB_SB_SB_RKfSD_SD_SD_E_dSC_jLi1ELi1ELi4ELi512ELi2EEEvNS0_6detail10TensorInfoIT0_T2_EENSG_IT1_SI_EESI_T_,comdat
.Lfunc_end66:
	.size	_ZN2at4cuda12_GLOBAL__N_121kernelPointwiseApply2IZNS_6native9templates4cuda28bernoulli_tensor_cuda_kernelIdfEEvRKNS_10TensorBaseES9_NS_15PhiloxCudaStateEEUliRdSB_SB_SB_RKfSD_SD_SD_E_dSC_jLi1ELi1ELi4ELi512ELi2EEEvNS0_6detail10TensorInfoIT0_T2_EENSG_IT1_SI_EESI_T_, .Lfunc_end66-_ZN2at4cuda12_GLOBAL__N_121kernelPointwiseApply2IZNS_6native9templates4cuda28bernoulli_tensor_cuda_kernelIdfEEvRKNS_10TensorBaseES9_NS_15PhiloxCudaStateEEUliRdSB_SB_SB_RKfSD_SD_SD_E_dSC_jLi1ELi1ELi4ELi512ELi2EEEvNS0_6detail10TensorInfoIT0_T2_EENSG_IT1_SI_EESI_T_
                                        ; -- End function
	.section	.AMDGPU.csdata,"",@progbits
; Kernel info:
; codeLenInByte = 3264
; NumSgprs: 40
; NumVgprs: 44
; ScratchSize: 0
; MemoryBound: 0
; FloatMode: 240
; IeeeMode: 1
; LDSByteSize: 0 bytes/workgroup (compile time only)
; SGPRBlocks: 4
; VGPRBlocks: 5
; NumSGPRsForWavesPerEU: 40
; NumVGPRsForWavesPerEU: 44
; Occupancy: 16
; WaveLimiterHint : 1
; COMPUTE_PGM_RSRC2:SCRATCH_EN: 0
; COMPUTE_PGM_RSRC2:USER_SGPR: 15
; COMPUTE_PGM_RSRC2:TRAP_HANDLER: 0
; COMPUTE_PGM_RSRC2:TGID_X_EN: 1
; COMPUTE_PGM_RSRC2:TGID_Y_EN: 0
; COMPUTE_PGM_RSRC2:TGID_Z_EN: 0
; COMPUTE_PGM_RSRC2:TIDIG_COMP_CNT: 0
	.section	.text._ZN2at4cuda12_GLOBAL__N_121kernelPointwiseApply2IZNS_6native9templates4cuda28bernoulli_tensor_cuda_kernelIdfEEvRKNS_10TensorBaseES9_NS_15PhiloxCudaStateEEUliRdSB_SB_SB_RKfSD_SD_SD_E_dSC_jLi1ELi2ELi4ELi512ELi2EEEvNS0_6detail10TensorInfoIT0_T2_EENSG_IT1_SI_EESI_T_,"axG",@progbits,_ZN2at4cuda12_GLOBAL__N_121kernelPointwiseApply2IZNS_6native9templates4cuda28bernoulli_tensor_cuda_kernelIdfEEvRKNS_10TensorBaseES9_NS_15PhiloxCudaStateEEUliRdSB_SB_SB_RKfSD_SD_SD_E_dSC_jLi1ELi2ELi4ELi512ELi2EEEvNS0_6detail10TensorInfoIT0_T2_EENSG_IT1_SI_EESI_T_,comdat
	.globl	_ZN2at4cuda12_GLOBAL__N_121kernelPointwiseApply2IZNS_6native9templates4cuda28bernoulli_tensor_cuda_kernelIdfEEvRKNS_10TensorBaseES9_NS_15PhiloxCudaStateEEUliRdSB_SB_SB_RKfSD_SD_SD_E_dSC_jLi1ELi2ELi4ELi512ELi2EEEvNS0_6detail10TensorInfoIT0_T2_EENSG_IT1_SI_EESI_T_ ; -- Begin function _ZN2at4cuda12_GLOBAL__N_121kernelPointwiseApply2IZNS_6native9templates4cuda28bernoulli_tensor_cuda_kernelIdfEEvRKNS_10TensorBaseES9_NS_15PhiloxCudaStateEEUliRdSB_SB_SB_RKfSD_SD_SD_E_dSC_jLi1ELi2ELi4ELi512ELi2EEEvNS0_6detail10TensorInfoIT0_T2_EENSG_IT1_SI_EESI_T_
	.p2align	8
	.type	_ZN2at4cuda12_GLOBAL__N_121kernelPointwiseApply2IZNS_6native9templates4cuda28bernoulli_tensor_cuda_kernelIdfEEvRKNS_10TensorBaseES9_NS_15PhiloxCudaStateEEUliRdSB_SB_SB_RKfSD_SD_SD_E_dSC_jLi1ELi2ELi4ELi512ELi2EEEvNS0_6detail10TensorInfoIT0_T2_EENSG_IT1_SI_EESI_T_,@function
_ZN2at4cuda12_GLOBAL__N_121kernelPointwiseApply2IZNS_6native9templates4cuda28bernoulli_tensor_cuda_kernelIdfEEvRKNS_10TensorBaseES9_NS_15PhiloxCudaStateEEUliRdSB_SB_SB_RKfSD_SD_SD_E_dSC_jLi1ELi2ELi4ELi512ELi2EEEvNS0_6detail10TensorInfoIT0_T2_EENSG_IT1_SI_EESI_T_: ; @_ZN2at4cuda12_GLOBAL__N_121kernelPointwiseApply2IZNS_6native9templates4cuda28bernoulli_tensor_cuda_kernelIdfEEvRKNS_10TensorBaseES9_NS_15PhiloxCudaStateEEUliRdSB_SB_SB_RKfSD_SD_SD_E_dSC_jLi1ELi2ELi4ELi512ELi2EEEvNS0_6detail10TensorInfoIT0_T2_EENSG_IT1_SI_EESI_T_
; %bb.0:
	s_clause 0x1
	s_load_b32 s4, s[0:1], 0x1e4
	s_load_b32 s16, s[0:1], 0x1b0
	s_add_u32 s2, s0, 0x1d8
	s_addc_u32 s3, s1, 0
	s_waitcnt lgkmcnt(0)
	s_and_b32 s20, s4, 0xffff
	s_mov_b32 s4, exec_lo
	v_mad_u64_u32 v[1:2], null, s15, s20, v[0:1]
	s_delay_alu instid0(VALU_DEP_1) | instskip(NEXT) | instid1(VALU_DEP_1)
	v_lshlrev_b32_e32 v0, 2, v1
	v_cmpx_gt_u32_e64 s16, v0
	s_cbranch_execz .LBB67_59
; %bb.1:
	s_clause 0x3
	s_load_b32 s17, s[0:1], 0xe4
	s_load_b32 s4, s[0:1], 0x1d0
	;; [unrolled: 1-line block ×3, first 2 shown]
	s_load_b64 s[8:9], s[0:1], 0x0
	s_load_b32 s2, s[2:3], 0x0
	s_clause 0x1
	s_load_b64 s[10:11], s[0:1], 0xd8
	s_load_b64 s[12:13], s[0:1], 0x1c8
	v_add_nc_u32_e32 v8, 3, v0
	v_sub_nc_u32_e32 v25, s16, v0
	s_mov_b32 s22, 0
	s_mov_b32 s25, 0
                                        ; implicit-def: $sgpr24
                                        ; implicit-def: $sgpr27
                                        ; implicit-def: $sgpr26
                                        ; implicit-def: $sgpr28
                                        ; implicit-def: $sgpr30
                                        ; implicit-def: $sgpr29
                                        ; implicit-def: $sgpr31
	v_add_nc_u32_e32 v7, 2, v0
	s_waitcnt lgkmcnt(0)
	v_cvt_f32_u32_e32 v2, s17
	s_bitcmp1_b32 s4, 0
	s_clause 0x1
	s_load_b64 s[14:15], s[0:1], 0x144
	s_load_b128 s[4:7], s[0:1], 0x1b8
	s_cselect_b32 s18, -1, 0
	s_sub_i32 s19, 0, s17
	v_rcp_iflag_f32_e32 v2, v2
	v_mul_lo_u32 v24, v0, s23
	v_mul_lo_u32 v28, s23, v8
	s_mul_i32 s2, s2, s20
	v_mov_b32_e32 v4, 0
	s_lshl_b32 s21, s2, 2
                                        ; implicit-def: $sgpr20
	v_mul_lo_u32 v27, s23, v7
	s_waitcnt_depctr 0xfff
	v_dual_mul_f32 v2, 0x4f7ffffe, v2 :: v_dual_add_nc_u32 v29, s23, v24
	s_mul_i32 s23, s21, s23
	s_delay_alu instid0(VALU_DEP_1) | instskip(SKIP_1) | instid1(VALU_DEP_2)
	v_cvt_u32_f32_e32 v5, v2
	v_mad_u64_u32 v[2:3], null, 0xcd9e8d57, v1, 0
	v_mul_lo_u32 v6, s19, v5
	s_delay_alu instid0(VALU_DEP_2) | instskip(NEXT) | instid1(VALU_DEP_2)
	v_mov_b32_e32 v26, v3
	v_mul_hi_u32 v6, v5, v6
	s_delay_alu instid0(VALU_DEP_1)
	v_add_nc_u32_e32 v30, v5, v6
	s_branch .LBB67_3
.LBB67_2:                               ;   in Loop: Header=BB67_3 Depth=1
	s_or_b32 exec_lo, exec_lo, s1
	s_delay_alu instid0(SALU_CYCLE_1) | instskip(NEXT) | instid1(SALU_CYCLE_1)
	s_and_b32 s0, exec_lo, s0
	s_or_b32 s22, s0, s22
	s_and_not1_b32 s0, s20, exec_lo
	s_and_b32 s1, s31, exec_lo
	s_and_not1_b32 s2, s26, exec_lo
	s_and_b32 s3, s29, exec_lo
	s_or_b32 s20, s0, s1
	s_or_b32 s26, s2, s3
	s_and_not1_b32 s0, s27, exec_lo
	s_and_b32 s1, s30, exec_lo
	s_and_not1_b32 s2, s24, exec_lo
	s_and_b32 s3, s28, exec_lo
	s_or_b32 s27, s0, s1
	s_or_b32 s24, s2, s3
	s_and_not1_b32 exec_lo, exec_lo, s22
	s_cbranch_execz .LBB67_47
.LBB67_3:                               ; =>This Inner Loop Header: Depth=1
	v_mov_b32_e32 v5, 0
	v_mov_b32_e32 v6, 0
	v_cmp_lt_i32_e64 s0, 0, v25
	s_delay_alu instid0(VALU_DEP_2) | instskip(NEXT) | instid1(VALU_DEP_2)
	v_dual_mov_b32 v10, v6 :: v_dual_mov_b32 v9, v5
	s_and_saveexec_b32 s1, s0
	s_cbranch_execz .LBB67_5
; %bb.4:                                ;   in Loop: Header=BB67_3 Depth=1
	v_mul_hi_u32 v3, v30, v0
	s_delay_alu instid0(VALU_DEP_1) | instskip(SKIP_2) | instid1(VALU_DEP_3)
	v_not_b32_e32 v10, v3
	v_mad_u64_u32 v[7:8], null, s19, v3, v[0:1]
	v_add_nc_u32_e32 v11, 1, v3
	v_mad_u64_u32 v[8:9], null, s17, v10, v[0:1]
	s_delay_alu instid0(VALU_DEP_3) | instskip(NEXT) | instid1(VALU_DEP_3)
	v_cmp_le_u32_e32 vcc_lo, s17, v7
	v_cndmask_b32_e32 v3, v3, v11, vcc_lo
	s_delay_alu instid0(VALU_DEP_1) | instskip(NEXT) | instid1(VALU_DEP_1)
	v_dual_cndmask_b32 v7, v7, v8 :: v_dual_add_nc_u32 v8, 1, v3
	v_cmp_le_u32_e32 vcc_lo, s17, v7
	s_delay_alu instid0(VALU_DEP_2) | instskip(NEXT) | instid1(VALU_DEP_1)
	v_cndmask_b32_e32 v11, v3, v8, vcc_lo
	v_mad_u64_u32 v[7:8], null, s19, v11, v[0:1]
	s_waitcnt lgkmcnt(0)
	s_delay_alu instid0(VALU_DEP_1) | instskip(NEXT) | instid1(VALU_DEP_1)
	v_mul_lo_u32 v3, v7, s15
	v_mad_u64_u32 v[9:10], null, v11, s14, v[3:4]
	v_mov_b32_e32 v10, v4
.LBB67_5:                               ;   in Loop: Header=BB67_3 Depth=1
	s_or_b32 exec_lo, exec_lo, s1
	v_cmp_lt_i32_e64 s1, 1, v25
	s_delay_alu instid0(VALU_DEP_1)
	s_and_saveexec_b32 s2, s1
	s_cbranch_execz .LBB67_7
; %bb.6:                                ;   in Loop: Header=BB67_3 Depth=1
	v_add_nc_u32_e32 v3, 1, v0
	s_delay_alu instid0(VALU_DEP_1) | instskip(NEXT) | instid1(VALU_DEP_1)
	v_mul_hi_u32 v5, v3, v30
	v_mul_lo_u32 v6, v5, s17
	s_delay_alu instid0(VALU_DEP_1) | instskip(NEXT) | instid1(VALU_DEP_1)
	v_sub_nc_u32_e32 v6, v3, v6
	v_subrev_nc_u32_e32 v8, s17, v6
	v_cmp_le_u32_e32 vcc_lo, s17, v6
	s_delay_alu instid0(VALU_DEP_2) | instskip(NEXT) | instid1(VALU_DEP_1)
	v_dual_cndmask_b32 v6, v6, v8 :: v_dual_add_nc_u32 v7, 1, v5
	v_cndmask_b32_e32 v5, v5, v7, vcc_lo
	s_delay_alu instid0(VALU_DEP_2) | instskip(NEXT) | instid1(VALU_DEP_2)
	v_cmp_le_u32_e32 vcc_lo, s17, v6
	v_add_nc_u32_e32 v7, 1, v5
	s_delay_alu instid0(VALU_DEP_1) | instskip(NEXT) | instid1(VALU_DEP_1)
	v_cndmask_b32_e32 v7, v5, v7, vcc_lo
	v_mul_lo_u32 v5, v7, s17
	s_delay_alu instid0(VALU_DEP_1) | instskip(SKIP_1) | instid1(VALU_DEP_1)
	v_sub_nc_u32_e32 v3, v3, v5
	s_waitcnt lgkmcnt(0)
	v_mul_lo_u32 v3, v3, s15
	s_delay_alu instid0(VALU_DEP_1)
	v_mad_u64_u32 v[5:6], null, v7, s14, v[3:4]
	v_mov_b32_e32 v6, v4
.LBB67_7:                               ;   in Loop: Header=BB67_3 Depth=1
	s_or_b32 exec_lo, exec_lo, s2
	v_mov_b32_e32 v7, 0
	v_mov_b32_e32 v8, 0
	v_cmp_lt_i32_e64 s2, 2, v25
	s_delay_alu instid0(VALU_DEP_2) | instskip(NEXT) | instid1(VALU_DEP_2)
	v_dual_mov_b32 v12, v8 :: v_dual_mov_b32 v11, v7
	s_and_saveexec_b32 s3, s2
	s_cbranch_execz .LBB67_9
; %bb.8:                                ;   in Loop: Header=BB67_3 Depth=1
	v_add_nc_u32_e32 v3, 2, v0
	s_delay_alu instid0(VALU_DEP_1) | instskip(NEXT) | instid1(VALU_DEP_1)
	v_mul_hi_u32 v11, v3, v30
	v_mul_lo_u32 v12, v11, s17
	v_add_nc_u32_e32 v13, 1, v11
	s_delay_alu instid0(VALU_DEP_2) | instskip(NEXT) | instid1(VALU_DEP_1)
	v_sub_nc_u32_e32 v12, v3, v12
	v_subrev_nc_u32_e32 v14, s17, v12
	v_cmp_le_u32_e32 vcc_lo, s17, v12
	s_delay_alu instid0(VALU_DEP_2) | instskip(NEXT) | instid1(VALU_DEP_1)
	v_dual_cndmask_b32 v11, v11, v13 :: v_dual_cndmask_b32 v12, v12, v14
	v_add_nc_u32_e32 v13, 1, v11
	s_delay_alu instid0(VALU_DEP_2) | instskip(NEXT) | instid1(VALU_DEP_2)
	v_cmp_le_u32_e32 vcc_lo, s17, v12
	v_cndmask_b32_e32 v13, v11, v13, vcc_lo
	s_delay_alu instid0(VALU_DEP_1) | instskip(NEXT) | instid1(VALU_DEP_1)
	v_mul_lo_u32 v11, v13, s17
	v_sub_nc_u32_e32 v3, v3, v11
	s_waitcnt lgkmcnt(0)
	s_delay_alu instid0(VALU_DEP_1) | instskip(NEXT) | instid1(VALU_DEP_1)
	v_mul_lo_u32 v3, v3, s15
	v_mad_u64_u32 v[11:12], null, v13, s14, v[3:4]
	v_mov_b32_e32 v12, v4
.LBB67_9:                               ;   in Loop: Header=BB67_3 Depth=1
	s_or_b32 exec_lo, exec_lo, s3
	v_dual_mov_b32 v14, v8 :: v_dual_mov_b32 v13, v7
	s_mov_b32 s3, exec_lo
	v_cmpx_lt_i32_e32 3, v25
	s_cbranch_execz .LBB67_11
; %bb.10:                               ;   in Loop: Header=BB67_3 Depth=1
	v_add_nc_u32_e32 v3, 3, v0
	s_delay_alu instid0(VALU_DEP_1) | instskip(NEXT) | instid1(VALU_DEP_1)
	v_mul_hi_u32 v7, v3, v30
	v_mul_lo_u32 v8, v7, s17
	v_add_nc_u32_e32 v13, 1, v7
	s_delay_alu instid0(VALU_DEP_2) | instskip(NEXT) | instid1(VALU_DEP_1)
	v_sub_nc_u32_e32 v8, v3, v8
	v_subrev_nc_u32_e32 v14, s17, v8
	v_cmp_le_u32_e32 vcc_lo, s17, v8
	s_delay_alu instid0(VALU_DEP_2) | instskip(NEXT) | instid1(VALU_DEP_1)
	v_dual_cndmask_b32 v7, v7, v13 :: v_dual_cndmask_b32 v8, v8, v14
	v_add_nc_u32_e32 v13, 1, v7
	s_delay_alu instid0(VALU_DEP_2) | instskip(NEXT) | instid1(VALU_DEP_2)
	v_cmp_le_u32_e32 vcc_lo, s17, v8
	v_cndmask_b32_e32 v8, v7, v13, vcc_lo
	s_delay_alu instid0(VALU_DEP_1) | instskip(NEXT) | instid1(VALU_DEP_1)
	v_mul_lo_u32 v7, v8, s17
	v_sub_nc_u32_e32 v3, v3, v7
	s_waitcnt lgkmcnt(0)
	s_delay_alu instid0(VALU_DEP_1) | instskip(SKIP_1) | instid1(VALU_DEP_2)
	v_mul_lo_u32 v7, v3, s15
	v_add_nc_u32_e32 v3, s25, v28
	v_mad_u64_u32 v[13:14], null, v8, s14, v[7:8]
	v_mov_b32_e32 v8, v4
	s_delay_alu instid0(VALU_DEP_3)
	v_dual_mov_b32 v14, v4 :: v_dual_mov_b32 v7, v3
.LBB67_11:                              ;   in Loop: Header=BB67_3 Depth=1
	s_or_b32 exec_lo, exec_lo, s3
	v_lshlrev_b64 v[9:10], 2, v[9:10]
	v_lshlrev_b64 v[5:6], 2, v[5:6]
	;; [unrolled: 1-line block ×4, first 2 shown]
	s_delay_alu instid0(VALU_DEP_4)
	v_add_co_u32 v9, vcc_lo, s10, v9
	v_add_co_ci_u32_e32 v10, vcc_lo, s11, v10, vcc_lo
	v_add_co_u32 v5, vcc_lo, s10, v5
	v_add_co_ci_u32_e32 v6, vcc_lo, s11, v6, vcc_lo
	;; [unrolled: 2-line block ×4, first 2 shown]
	s_clause 0x3
	global_load_b32 v31, v[9:10], off
	global_load_b32 v32, v[5:6], off
	;; [unrolled: 1-line block ×4, first 2 shown]
	s_waitcnt lgkmcnt(0)
	v_dual_mov_b32 v12, s7 :: v_dual_mov_b32 v11, s6
	v_dual_mov_b32 v14, s5 :: v_dual_mov_b32 v13, s4
	s_and_not1_b32 vcc_lo, exec_lo, s18
	s_cbranch_vccnz .LBB67_13
; %bb.12:                               ;   in Loop: Header=BB67_3 Depth=1
	v_dual_mov_b32 v5, s6 :: v_dual_mov_b32 v6, s7
	v_dual_mov_b32 v10, s5 :: v_dual_mov_b32 v9, s4
	flat_load_b64 v[5:6], v[5:6]
	flat_load_b64 v[13:14], v[9:10]
	s_waitcnt vmcnt(1) lgkmcnt(1)
	v_add_co_u32 v11, vcc_lo, v5, s12
	v_add_co_ci_u32_e32 v12, vcc_lo, s13, v6, vcc_lo
.LBB67_13:                              ;   in Loop: Header=BB67_3 Depth=1
	s_delay_alu instid0(VALU_DEP_1)
	v_alignbit_b32 v15, v12, v11, 2
	v_lshrrev_b32_e32 v9, 2, v12
	s_waitcnt vmcnt(0) lgkmcnt(0)
	v_add_nc_u32_e32 v34, 0x9e3779b9, v13
	v_add_nc_u32_e32 v36, 0x3c6ef372, v13
	;; [unrolled: 1-line block ×3, first 2 shown]
	v_add_co_u32 v10, vcc_lo, v15, 1
	s_delay_alu instid0(VALU_DEP_1) | instskip(SKIP_4) | instid1(VALU_DEP_4)
	v_cndmask_b32_e64 v5, 0, 1, vcc_lo
	v_add_co_ci_u32_e32 v12, vcc_lo, 0, v9, vcc_lo
	v_xor3_b32 v17, v26, v13, v9
	v_add_nc_u32_e32 v38, 0x32370b8f, v14
	v_add_nc_u32_e32 v39, 0xed9eba14, v14
	v_cmp_eq_u32_e32 vcc_lo, 0, v12
	v_add_nc_u32_e32 v40, 0x1fd5c5a3, v14
	s_mov_b32 s3, exec_lo
	v_dual_cndmask_b32 v16, 0, v5 :: v_dual_add_nc_u32 v35, 0xbb67ae85, v14
	v_mad_u64_u32 v[5:6], null, 0xd2511f53, v10, 0
	v_mad_u64_u32 v[9:10], null, 0xd2511f53, v15, 0
	s_delay_alu instid0(VALU_DEP_3) | instskip(NEXT) | instid1(VALU_DEP_3)
	v_add_nc_u32_e32 v19, v16, v1
	v_xor_b32_e32 v6, v6, v14
	s_delay_alu instid0(VALU_DEP_2) | instskip(SKIP_1) | instid1(VALU_DEP_1)
	v_cmp_eq_u32_e32 vcc_lo, 0, v19
	v_cndmask_b32_e32 v16, 0, v16, vcc_lo
	v_xor_b32_e32 v6, v16, v6
	v_mad_u64_u32 v[15:16], null, 0xd2511f53, v17, 0
	v_mad_u64_u32 v[17:18], null, 0xcd9e8d57, v19, 0
	s_delay_alu instid0(VALU_DEP_3) | instskip(SKIP_1) | instid1(VALU_DEP_4)
	v_mad_u64_u32 v[19:20], null, 0xcd9e8d57, v6, 0
	v_xor_b32_e32 v6, v10, v14
	v_xor3_b32 v21, v35, v16, v9
	s_delay_alu instid0(VALU_DEP_2) | instskip(SKIP_2) | instid1(VALU_DEP_4)
	v_mad_u64_u32 v[9:10], null, 0xcd9e8d57, v6, 0
	v_xor3_b32 v6, v18, v13, v12
	v_xor3_b32 v12, v34, v20, v17
	v_mad_u64_u32 v[16:17], null, 0xcd9e8d57, v21, 0
	s_delay_alu instid0(VALU_DEP_3) | instskip(NEXT) | instid1(VALU_DEP_3)
	v_mad_u64_u32 v[20:21], null, 0xd2511f53, v6, 0
	v_mad_u64_u32 v[22:23], null, 0xd2511f53, v12, 0
	v_xor3_b32 v6, v2, v10, v34
	s_delay_alu instid0(VALU_DEP_4) | instskip(SKIP_2) | instid1(VALU_DEP_4)
	v_xor3_b32 v17, v36, v17, v9
	v_add_nc_u32_e32 v12, 0xdaa66d2b, v13
	v_xor3_b32 v21, v35, v21, v5
	v_mad_u64_u32 v[9:10], null, 0xd2511f53, v6, 0
	v_xor3_b32 v23, v37, v23, v20
	v_mad_u64_u32 v[5:6], null, 0xd2511f53, v17, 0
	s_delay_alu instid0(VALU_DEP_4) | instskip(NEXT) | instid1(VALU_DEP_3)
	v_mad_u64_u32 v[17:18], null, 0xcd9e8d57, v21, 0
	v_mad_u64_u32 v[20:21], null, 0xcd9e8d57, v23, 0
	v_xor3_b32 v15, v37, v10, v15
	v_add_nc_u32_e32 v23, 0x78dde6e4, v13
	v_xor3_b32 v6, v38, v6, v9
	s_delay_alu instid0(VALU_DEP_3) | instskip(SKIP_2) | instid1(VALU_DEP_4)
	v_mad_u64_u32 v[9:10], null, 0xcd9e8d57, v15, 0
	v_xor3_b32 v15, v36, v18, v19
	v_xor3_b32 v19, v12, v21, v17
	v_mad_u64_u32 v[17:18], null, 0xcd9e8d57, v6, 0
	s_delay_alu instid0(VALU_DEP_3) | instskip(NEXT) | instid1(VALU_DEP_3)
	v_mad_u64_u32 v[34:35], null, 0xd2511f53, v15, 0
	v_mad_u64_u32 v[36:37], null, 0xd2511f53, v19, 0
	v_xor3_b32 v6, v12, v10, v16
	s_delay_alu instid0(VALU_DEP_4) | instskip(SKIP_2) | instid1(VALU_DEP_4)
	v_xor3_b32 v15, v23, v18, v9
	v_add_nc_u32_e32 v12, 0x1715609d, v13
	v_add_nc_u32_e32 v19, 0xa9066899, v14
	v_mad_u64_u32 v[9:10], null, 0xd2511f53, v6, 0
	v_xor3_b32 v6, v38, v35, v22
	v_xor3_b32 v18, v39, v37, v34
	v_mad_u64_u32 v[21:22], null, 0xd2511f53, v15, 0
	v_add_nc_u32_e32 v35, 0xb54cda56, v13
	s_delay_alu instid0(VALU_DEP_4) | instskip(NEXT) | instid1(VALU_DEP_4)
	v_mad_u64_u32 v[15:16], null, 0xcd9e8d57, v6, 0
	v_mad_u64_u32 v[37:38], null, 0xcd9e8d57, v18, 0
	v_xor3_b32 v10, v39, v10, v5
	v_xor3_b32 v18, v19, v22, v9
	v_add_nc_u32_e32 v34, 0x646e171e, v14
	v_xor3_b32 v20, v23, v16, v20
	s_delay_alu instid0(VALU_DEP_4) | instskip(SKIP_2) | instid1(VALU_DEP_4)
	v_mad_u64_u32 v[5:6], null, 0xcd9e8d57, v10, 0
	v_xor3_b32 v22, v12, v38, v15
	v_mad_u64_u32 v[9:10], null, 0xcd9e8d57, v18, 0
	v_mad_u64_u32 v[15:16], null, 0xd2511f53, v20, 0
	s_delay_alu instid0(VALU_DEP_3) | instskip(SKIP_3) | instid1(VALU_DEP_3)
	v_mad_u64_u32 v[38:39], null, 0xd2511f53, v22, 0
	v_xor3_b32 v12, v12, v6, v17
	v_add_nc_u32_e32 v20, 0x5384540f, v13
	v_xor3_b32 v10, v35, v10, v5
	v_mad_u64_u32 v[5:6], null, 0xd2511f53, v12, 0
	v_xor3_b32 v12, v19, v16, v36
	v_xor3_b32 v17, v34, v39, v15
	s_delay_alu instid0(VALU_DEP_4) | instskip(NEXT) | instid1(VALU_DEP_3)
	v_mad_u64_u32 v[15:16], null, 0xd2511f53, v10, 0
	v_mad_u64_u32 v[22:23], null, 0xcd9e8d57, v12, 0
	s_delay_alu instid0(VALU_DEP_3) | instskip(SKIP_1) | instid1(VALU_DEP_4)
	v_mad_u64_u32 v[18:19], null, 0xcd9e8d57, v17, 0
	v_xor3_b32 v10, v34, v6, v21
	v_xor3_b32 v12, v40, v16, v5
	v_add_co_u32 v34, null, 0xf1bbcdc8, v13
	s_delay_alu instid0(VALU_DEP_3) | instskip(SKIP_4) | instid1(VALU_DEP_4)
	v_mad_u64_u32 v[5:6], null, 0xcd9e8d57, v10, 0
	v_xor3_b32 v10, v35, v23, v37
	v_xor3_b32 v19, v20, v19, v22
	v_mad_u64_u32 v[16:17], null, 0xcd9e8d57, v12, 0
	v_add_nc_u32_e32 v35, 0xdb3d7428, v14
	v_mad_u64_u32 v[36:37], null, 0xd2511f53, v10, 0
	s_delay_alu instid0(VALU_DEP_4) | instskip(SKIP_4) | instid1(VALU_DEP_4)
	v_mad_u64_u32 v[21:22], null, 0xd2511f53, v19, 0
	v_xor3_b32 v6, v20, v6, v9
	v_xor3_b32 v9, v34, v17, v5
	v_add_nc_u32_e32 v17, 0x8ff34781, v13
	v_xor3_b32 v10, v40, v37, v38
	v_mad_u64_u32 v[19:20], null, 0xd2511f53, v6, 0
	v_xor3_b32 v12, v35, v22, v36
	v_mad_u64_u32 v[5:6], null, 0xd2511f53, v9, 0
	s_delay_alu instid0(VALU_DEP_4) | instskip(NEXT) | instid1(VALU_DEP_3)
	v_mad_u64_u32 v[22:23], null, 0xcd9e8d57, v10, 0
	v_mad_u64_u32 v[9:10], null, 0xcd9e8d57, v12, 0
	v_add_nc_u32_e32 v36, 0x96a522ad, v14
	v_and_b32_e32 v14, 3, v11
                                        ; implicit-def: $vgpr12
	s_delay_alu instid0(VALU_DEP_2) | instskip(NEXT) | instid1(VALU_DEP_4)
	v_xor3_b32 v13, v6, v19, v36
	v_xor3_b32 v6, v10, v22, v17
	s_delay_alu instid0(VALU_DEP_3)
	v_cmpx_lt_i32_e32 1, v14
	s_xor_b32 s3, exec_lo, s3
	s_cbranch_execz .LBB67_19
; %bb.14:                               ;   in Loop: Header=BB67_3 Depth=1
	s_mov_b32 s33, exec_lo
                                        ; implicit-def: $vgpr12
	v_cmpx_lt_i32_e32 2, v14
	s_xor_b32 s33, exec_lo, s33
; %bb.15:                               ;   in Loop: Header=BB67_3 Depth=1
	v_xor3_b32 v10, v34, v23, v18
                                        ; implicit-def: $vgpr13
	s_delay_alu instid0(VALU_DEP_1) | instskip(NEXT) | instid1(VALU_DEP_1)
	v_mul_hi_u32 v10, 0xd2511f53, v10
	v_xor3_b32 v12, v10, v21, v36
; %bb.16:                               ;   in Loop: Header=BB67_3 Depth=1
	s_and_not1_saveexec_b32 s33, s33
; %bb.17:                               ;   in Loop: Header=BB67_3 Depth=1
	v_dual_mov_b32 v12, v9 :: v_dual_mov_b32 v9, v6
	v_mov_b32_e32 v6, v5
	v_mov_b32_e32 v5, v13
; %bb.18:                               ;   in Loop: Header=BB67_3 Depth=1
	s_or_b32 exec_lo, exec_lo, s33
                                        ; implicit-def: $vgpr15_vgpr16
                                        ; implicit-def: $vgpr14
                                        ; implicit-def: $vgpr13
                                        ; implicit-def: $vgpr35
                                        ; implicit-def: $vgpr19_vgpr20
                                        ; implicit-def: $vgpr16_vgpr17
                                        ; implicit-def: $vgpr17
.LBB67_19:                              ;   in Loop: Header=BB67_3 Depth=1
	s_and_not1_saveexec_b32 s3, s3
	s_cbranch_execz .LBB67_23
; %bb.20:                               ;   in Loop: Header=BB67_3 Depth=1
	v_xor3_b32 v9, v35, v20, v15
	v_cmp_eq_u32_e32 vcc_lo, 1, v14
	s_delay_alu instid0(VALU_DEP_2) | instskip(SKIP_2) | instid1(VALU_DEP_3)
	v_mad_u64_u32 v[10:11], null, 0xcd9e8d57, v9, 0
	v_mov_b32_e32 v12, v5
	v_mov_b32_e32 v9, v13
	v_xor3_b32 v14, v11, v16, v17
	s_delay_alu instid0(VALU_DEP_4)
	v_mov_b32_e32 v11, v10
	s_and_saveexec_b32 s33, vcc_lo
; %bb.21:                               ;   in Loop: Header=BB67_3 Depth=1
	v_dual_mov_b32 v12, v6 :: v_dual_mov_b32 v9, v5
	v_dual_mov_b32 v11, v13 :: v_dual_mov_b32 v14, v10
; %bb.22:                               ;   in Loop: Header=BB67_3 Depth=1
	s_or_b32 exec_lo, exec_lo, s33
	s_delay_alu instid0(VALU_DEP_1)
	v_dual_mov_b32 v5, v14 :: v_dual_mov_b32 v6, v11
.LBB67_23:                              ;   in Loop: Header=BB67_3 Depth=1
	s_or_b32 exec_lo, exec_lo, s3
	v_min_i32_e32 v10, 4, v25
	s_mov_b32 s33, 0
	s_mov_b32 s39, 0
	s_mov_b32 s36, exec_lo
                                        ; implicit-def: $sgpr3
                                        ; implicit-def: $sgpr34
                                        ; implicit-def: $sgpr35
	s_delay_alu instid0(VALU_DEP_1)
	v_cmpx_lt_i32_e32 2, v10
	s_xor_b32 s36, exec_lo, s36
	s_cbranch_execz .LBB67_33
; %bb.24:                               ;   in Loop: Header=BB67_3 Depth=1
	s_mov_b32 s3, -1
	s_mov_b32 s35, exec_lo
                                        ; implicit-def: $sgpr34
                                        ; implicit-def: $sgpr37
	v_cmpx_lt_i32_e32 3, v10
	s_cbranch_execz .LBB67_28
; %bb.25:                               ;   in Loop: Header=BB67_3 Depth=1
	v_cmp_le_f32_e32 vcc_lo, 0, v3
	v_cmp_ge_f32_e64 s3, 1.0, v3
	s_mov_b32 s34, 0
	s_delay_alu instid0(VALU_DEP_1)
	s_and_b32 s38, vcc_lo, s3
	s_mov_b32 s3, 0
	s_and_saveexec_b32 s37, s38
	s_cbranch_execz .LBB67_27
; %bb.26:                               ;   in Loop: Header=BB67_3 Depth=1
	v_cvt_f32_u32_e32 v11, v12
	v_lshlrev_b64 v[7:8], 3, v[7:8]
	s_mov_b32 s3, exec_lo
	s_delay_alu instid0(VALU_DEP_2) | instskip(NEXT) | instid1(VALU_DEP_2)
	v_fmaak_f32 v11, 0x2f800000, v11, 0x2f800000
	v_add_co_u32 v7, vcc_lo, s8, v7
	s_delay_alu instid0(VALU_DEP_3) | instskip(NEXT) | instid1(VALU_DEP_3)
	v_add_co_ci_u32_e32 v8, vcc_lo, s9, v8, vcc_lo
	v_cmp_le_f32_e32 vcc_lo, v11, v3
	v_mov_b32_e32 v11, v4
	v_cndmask_b32_e64 v12, 0, 0x3ff00000, vcc_lo
	global_store_b64 v[7:8], v[11:12], off
.LBB67_27:                              ;   in Loop: Header=BB67_3 Depth=1
	s_or_b32 exec_lo, exec_lo, s37
	s_mov_b32 s37, -1
	s_or_not1_b32 s3, s3, exec_lo
.LBB67_28:                              ;   in Loop: Header=BB67_3 Depth=1
	s_or_b32 exec_lo, exec_lo, s35
	s_mov_b32 s38, 0
	s_mov_b32 s39, s34
	s_and_saveexec_b32 s35, s3
	s_cbranch_execz .LBB67_32
; %bb.29:                               ;   in Loop: Header=BB67_3 Depth=1
	v_cmp_le_f32_e32 vcc_lo, 0, v33
	v_cmp_ge_f32_e64 s3, 1.0, v33
	s_delay_alu instid0(VALU_DEP_1) | instskip(SKIP_2) | instid1(SALU_CYCLE_1)
	s_and_b32 s38, vcc_lo, s3
	s_mov_b32 s3, 0
	s_and_saveexec_b32 s39, s38
	s_xor_b32 s38, exec_lo, s39
	s_cbranch_execz .LBB67_31
; %bb.30:                               ;   in Loop: Header=BB67_3 Depth=1
	v_add_nc_u32_e32 v3, s25, v27
	v_cvt_f32_u32_e32 v7, v9
	s_mov_b32 s3, exec_lo
	s_delay_alu instid0(VALU_DEP_2) | instskip(NEXT) | instid1(VALU_DEP_2)
	v_cndmask_b32_e64 v3, 0, v3, s2
	v_fmaak_f32 v9, 0x2f800000, v7, 0x2f800000
	s_delay_alu instid0(VALU_DEP_2) | instskip(NEXT) | instid1(VALU_DEP_2)
	v_lshlrev_b64 v[7:8], 3, v[3:4]
	v_cmp_le_f32_e32 vcc_lo, v9, v33
	v_cndmask_b32_e64 v9, 0, 0x3ff00000, vcc_lo
	s_delay_alu instid0(VALU_DEP_3) | instskip(NEXT) | instid1(VALU_DEP_4)
	v_add_co_u32 v11, vcc_lo, s8, v7
	v_add_co_ci_u32_e32 v12, vcc_lo, s9, v8, vcc_lo
	v_mov_b32_e32 v8, v4
	global_store_b64 v[11:12], v[8:9], off
.LBB67_31:                              ;   in Loop: Header=BB67_3 Depth=1
	s_or_b32 exec_lo, exec_lo, s38
	s_delay_alu instid0(SALU_CYCLE_1)
	s_and_not1_b32 s39, s34, exec_lo
	s_or_b32 s34, s34, exec_lo
	s_and_not1_b32 s37, s37, exec_lo
	s_and_b32 s38, s3, exec_lo
.LBB67_32:                              ;   in Loop: Header=BB67_3 Depth=1
	s_or_b32 exec_lo, exec_lo, s35
	s_delay_alu instid0(SALU_CYCLE_1)
	s_and_b32 s35, s39, exec_lo
	s_and_b32 s34, s34, exec_lo
	;; [unrolled: 1-line block ×4, first 2 shown]
.LBB67_33:                              ;   in Loop: Header=BB67_3 Depth=1
	s_and_not1_saveexec_b32 s2, s36
; %bb.34:                               ;   in Loop: Header=BB67_3 Depth=1
	v_cmp_lt_i32_e32 vcc_lo, 1, v10
	s_and_not1_b32 s36, s39, exec_lo
	s_mov_b32 s33, exec_lo
	s_and_not1_b32 s35, s35, exec_lo
	s_and_not1_b32 s34, s34, exec_lo
	s_and_b32 s37, vcc_lo, exec_lo
	s_and_not1_b32 s3, s3, exec_lo
	s_or_b32 s39, s36, s37
; %bb.35:                               ;   in Loop: Header=BB67_3 Depth=1
	s_or_b32 exec_lo, exec_lo, s2
	s_mov_b32 s36, 0
	s_mov_b32 s37, 0
	;; [unrolled: 1-line block ×3, first 2 shown]
	s_and_saveexec_b32 s38, s39
	s_cbranch_execnz .LBB67_38
; %bb.36:                               ;   in Loop: Header=BB67_3 Depth=1
	s_or_b32 exec_lo, exec_lo, s38
	s_and_saveexec_b32 s1, s33
	s_cbranch_execnz .LBB67_41
.LBB67_37:                              ;   in Loop: Header=BB67_3 Depth=1
	s_or_b32 exec_lo, exec_lo, s1
	s_and_saveexec_b32 s33, s37
	s_cbranch_execnz .LBB67_42
	s_branch .LBB67_45
.LBB67_38:                              ;   in Loop: Header=BB67_3 Depth=1
	v_cmp_le_f32_e32 vcc_lo, 0, v32
	v_cmp_ge_f32_e64 s2, 1.0, v32
	s_delay_alu instid0(VALU_DEP_1) | instskip(NEXT) | instid1(SALU_CYCLE_1)
	s_and_b32 s2, vcc_lo, s2
	s_and_saveexec_b32 s39, s2
	s_delay_alu instid0(SALU_CYCLE_1)
	s_xor_b32 s2, exec_lo, s39
	s_cbranch_execz .LBB67_40
; %bb.39:                               ;   in Loop: Header=BB67_3 Depth=1
	v_cvt_f32_u32_e32 v6, v6
	v_add_nc_u32_e32 v3, s25, v29
	s_mov_b32 s37, exec_lo
	s_delay_alu instid0(VALU_DEP_2) | instskip(NEXT) | instid1(VALU_DEP_2)
	v_fmaak_f32 v8, 0x2f800000, v6, 0x2f800000
	v_cndmask_b32_e64 v3, 0, v3, s1
	s_delay_alu instid0(VALU_DEP_2) | instskip(NEXT) | instid1(VALU_DEP_2)
	v_cmp_le_f32_e32 vcc_lo, v8, v32
	v_lshlrev_b64 v[6:7], 3, v[3:4]
	v_cndmask_b32_e64 v8, 0, 0x3ff00000, vcc_lo
	s_delay_alu instid0(VALU_DEP_2) | instskip(NEXT) | instid1(VALU_DEP_3)
	v_add_co_u32 v11, vcc_lo, s8, v6
	v_add_co_ci_u32_e32 v12, vcc_lo, s9, v7, vcc_lo
	v_mov_b32_e32 v7, v4
	global_store_b64 v[11:12], v[7:8], off
.LBB67_40:                              ;   in Loop: Header=BB67_3 Depth=1
	s_or_b32 exec_lo, exec_lo, s2
	s_delay_alu instid0(SALU_CYCLE_1)
	s_and_not1_b32 s2, s35, exec_lo
	s_or_b32 s35, s35, exec_lo
	s_and_not1_b32 s34, s34, exec_lo
	s_and_not1_b32 s3, s3, exec_lo
	s_and_b32 s37, s37, exec_lo
	s_and_not1_b32 s33, s33, exec_lo
	s_or_b32 exec_lo, exec_lo, s38
	s_and_saveexec_b32 s1, s33
	s_cbranch_execz .LBB67_37
.LBB67_41:                              ;   in Loop: Header=BB67_3 Depth=1
	v_cmp_eq_u32_e32 vcc_lo, 1, v10
	s_and_not1_b32 s33, s37, exec_lo
	s_mov_b32 s36, exec_lo
	s_and_not1_b32 s2, s2, exec_lo
	s_and_not1_b32 s35, s35, exec_lo
	s_and_b32 s37, vcc_lo, exec_lo
	s_and_not1_b32 s34, s34, exec_lo
	s_and_not1_b32 s3, s3, exec_lo
	s_or_b32 s37, s33, s37
	s_or_b32 exec_lo, exec_lo, s1
	s_and_saveexec_b32 s33, s37
	s_cbranch_execz .LBB67_45
.LBB67_42:                              ;   in Loop: Header=BB67_3 Depth=1
	v_cmp_le_f32_e32 vcc_lo, 0, v31
	v_cmp_ge_f32_e64 s1, 1.0, v31
	s_delay_alu instid0(VALU_DEP_1)
	s_and_b32 s38, vcc_lo, s1
	s_mov_b32 s1, 0
	s_and_saveexec_b32 s37, s38
	s_cbranch_execz .LBB67_44
; %bb.43:                               ;   in Loop: Header=BB67_3 Depth=1
	v_add_nc_u32_e32 v3, s25, v24
	v_cvt_f32_u32_e32 v5, v5
	s_mov_b32 s1, exec_lo
	s_delay_alu instid0(VALU_DEP_2) | instskip(NEXT) | instid1(VALU_DEP_2)
	v_cndmask_b32_e64 v3, 0, v3, s0
	v_fmaak_f32 v7, 0x2f800000, v5, 0x2f800000
	s_delay_alu instid0(VALU_DEP_2) | instskip(NEXT) | instid1(VALU_DEP_2)
	v_lshlrev_b64 v[5:6], 3, v[3:4]
	v_cmp_le_f32_e32 vcc_lo, v7, v31
	v_cndmask_b32_e64 v7, 0, 0x3ff00000, vcc_lo
	s_delay_alu instid0(VALU_DEP_3) | instskip(NEXT) | instid1(VALU_DEP_4)
	v_add_co_u32 v8, vcc_lo, s8, v5
	v_add_co_ci_u32_e32 v9, vcc_lo, s9, v6, vcc_lo
	v_mov_b32_e32 v6, v4
	global_store_b64 v[8:9], v[6:7], off
.LBB67_44:                              ;   in Loop: Header=BB67_3 Depth=1
	s_or_b32 exec_lo, exec_lo, s37
	s_delay_alu instid0(SALU_CYCLE_1)
	s_and_not1_b32 s0, s36, exec_lo
	s_and_b32 s1, s1, exec_lo
	s_or_b32 s2, s2, exec_lo
	s_and_not1_b32 s35, s35, exec_lo
	s_and_not1_b32 s34, s34, exec_lo
	;; [unrolled: 1-line block ×3, first 2 shown]
	s_or_b32 s36, s0, s1
.LBB67_45:                              ;   in Loop: Header=BB67_3 Depth=1
	s_or_b32 exec_lo, exec_lo, s33
	s_delay_alu instid0(SALU_CYCLE_1)
	s_and_not1_b32 s1, s31, exec_lo
	s_and_b32 s2, s2, exec_lo
	s_and_not1_b32 s29, s29, exec_lo
	s_and_b32 s33, s35, exec_lo
	s_or_b32 s31, s1, s2
	s_and_not1_b32 s1, s30, exec_lo
	s_and_b32 s2, s34, exec_lo
	s_and_not1_b32 s28, s28, exec_lo
	s_and_b32 s3, s3, exec_lo
	s_mov_b32 s0, -1
	s_or_b32 s29, s29, s33
	s_or_b32 s30, s1, s2
	;; [unrolled: 1-line block ×3, first 2 shown]
	s_and_saveexec_b32 s1, s36
	s_cbranch_execz .LBB67_2
; %bb.46:                               ;   in Loop: Header=BB67_3 Depth=1
	v_add_nc_u32_e32 v0, s21, v0
	v_subrev_nc_u32_e32 v25, s21, v25
	s_add_i32 s25, s25, s23
	s_and_not1_b32 s31, s31, exec_lo
	s_and_not1_b32 s29, s29, exec_lo
	v_cmp_le_u32_e32 vcc_lo, s16, v0
	s_and_not1_b32 s30, s30, exec_lo
	s_and_not1_b32 s28, s28, exec_lo
	s_or_not1_b32 s0, vcc_lo, exec_lo
	s_branch .LBB67_2
.LBB67_47:
	s_or_b32 exec_lo, exec_lo, s22
	s_xor_b32 s3, s26, -1
	s_xor_b32 s4, s27, -1
	;; [unrolled: 1-line block ×3, first 2 shown]
	s_mov_b32 s1, 0
	s_and_saveexec_b32 s2, s0
	s_delay_alu instid0(SALU_CYCLE_1)
	s_xor_b32 s0, exec_lo, s2
	s_cbranch_execz .LBB67_56
; %bb.48:
	s_mov_b32 s2, 0
	s_and_saveexec_b32 s1, s4
	s_delay_alu instid0(SALU_CYCLE_1)
	s_xor_b32 s1, exec_lo, s1
	s_cbranch_execz .LBB67_54
; %bb.49:
	s_and_saveexec_b32 s4, s3
	s_delay_alu instid0(SALU_CYCLE_1)
	s_xor_b32 s3, exec_lo, s4
	s_cbranch_execz .LBB67_52
; %bb.50:
	s_and_saveexec_b32 s4, s20
	s_delay_alu instid0(SALU_CYCLE_1)
	s_xor_b32 s4, exec_lo, s4
	s_cbranch_execnz .LBB67_70
.LBB67_51:
	s_or_b32 exec_lo, exec_lo, s4
	s_delay_alu instid0(SALU_CYCLE_1)
	s_and_b32 s2, s2, exec_lo
.LBB67_52:
	s_and_not1_saveexec_b32 s3, s3
	s_cbranch_execnz .LBB67_66
.LBB67_53:
	s_or_b32 exec_lo, exec_lo, s3
	s_delay_alu instid0(SALU_CYCLE_1)
	s_and_b32 s2, s2, exec_lo
.LBB67_54:
	s_and_not1_saveexec_b32 s1, s1
	s_cbranch_execnz .LBB67_62
.LBB67_55:
	s_or_b32 exec_lo, exec_lo, s1
	s_delay_alu instid0(SALU_CYCLE_1)
	s_and_b32 s1, s2, exec_lo
.LBB67_56:
	s_and_not1_saveexec_b32 s0, s0
	s_cbranch_execnz .LBB67_60
; %bb.57:
	s_or_b32 exec_lo, exec_lo, s0
	s_delay_alu instid0(SALU_CYCLE_1)
	s_and_b32 exec_lo, exec_lo, s1
.LBB67_58:
	; divergent unreachable
.LBB67_59:
	s_nop 0
	s_sendmsg sendmsg(MSG_DEALLOC_VGPRS)
	s_endpgm
.LBB67_60:
	s_cbranch_execnz .LBB67_64
; %bb.61:
	s_or_b32 s1, s1, exec_lo
	s_or_b32 exec_lo, exec_lo, s0
	s_delay_alu instid0(SALU_CYCLE_1)
	s_and_b32 exec_lo, exec_lo, s1
	s_cbranch_execnz .LBB67_58
	s_branch .LBB67_59
.LBB67_62:
	s_cbranch_execnz .LBB67_68
; %bb.63:
	s_or_b32 s2, s2, exec_lo
	s_branch .LBB67_55
.LBB67_64:
	s_trap 2
	s_sendmsg_rtn_b32 s0, sendmsg(MSG_RTN_GET_DOORBELL)
	s_mov_b32 ttmp2, m0
	s_waitcnt lgkmcnt(0)
	s_and_b32 s0, s0, 0x3ff
	s_delay_alu instid0(SALU_CYCLE_1) | instskip(NEXT) | instid1(SALU_CYCLE_1)
	s_bitset1_b32 s0, 10
	s_mov_b32 m0, s0
	s_sendmsg sendmsg(MSG_INTERRUPT)
	s_mov_b32 m0, ttmp2
.LBB67_65:                              ; =>This Inner Loop Header: Depth=1
	s_sethalt 5
	s_branch .LBB67_65
.LBB67_66:
	s_cbranch_execnz .LBB67_72
; %bb.67:
	s_or_b32 s2, s2, exec_lo
	s_branch .LBB67_53
.LBB67_68:
	s_trap 2
	s_sendmsg_rtn_b32 s0, sendmsg(MSG_RTN_GET_DOORBELL)
	s_mov_b32 ttmp2, m0
	s_waitcnt lgkmcnt(0)
	s_and_b32 s0, s0, 0x3ff
	s_delay_alu instid0(SALU_CYCLE_1) | instskip(NEXT) | instid1(SALU_CYCLE_1)
	s_bitset1_b32 s0, 10
	s_mov_b32 m0, s0
	s_sendmsg sendmsg(MSG_INTERRUPT)
	s_mov_b32 m0, ttmp2
.LBB67_69:                              ; =>This Inner Loop Header: Depth=1
	s_sethalt 5
	s_branch .LBB67_69
.LBB67_70:
	s_cbranch_execnz .LBB67_74
; %bb.71:
	s_mov_b32 s2, exec_lo
	s_branch .LBB67_51
.LBB67_72:
	s_trap 2
	s_sendmsg_rtn_b32 s0, sendmsg(MSG_RTN_GET_DOORBELL)
	s_mov_b32 ttmp2, m0
	s_waitcnt lgkmcnt(0)
	s_and_b32 s0, s0, 0x3ff
	s_delay_alu instid0(SALU_CYCLE_1) | instskip(NEXT) | instid1(SALU_CYCLE_1)
	s_bitset1_b32 s0, 10
	s_mov_b32 m0, s0
	s_sendmsg sendmsg(MSG_INTERRUPT)
	s_mov_b32 m0, ttmp2
.LBB67_73:                              ; =>This Inner Loop Header: Depth=1
	s_sethalt 5
	s_branch .LBB67_73
.LBB67_74:
	s_trap 2
	s_sendmsg_rtn_b32 s0, sendmsg(MSG_RTN_GET_DOORBELL)
	s_mov_b32 ttmp2, m0
	s_waitcnt lgkmcnt(0)
	s_and_b32 s0, s0, 0x3ff
	s_delay_alu instid0(SALU_CYCLE_1) | instskip(NEXT) | instid1(SALU_CYCLE_1)
	s_bitset1_b32 s0, 10
	s_mov_b32 m0, s0
	s_sendmsg sendmsg(MSG_INTERRUPT)
	s_mov_b32 m0, ttmp2
.LBB67_75:                              ; =>This Inner Loop Header: Depth=1
	s_sethalt 5
	s_branch .LBB67_75
	.section	.rodata,"a",@progbits
	.p2align	6, 0x0
	.amdhsa_kernel _ZN2at4cuda12_GLOBAL__N_121kernelPointwiseApply2IZNS_6native9templates4cuda28bernoulli_tensor_cuda_kernelIdfEEvRKNS_10TensorBaseES9_NS_15PhiloxCudaStateEEUliRdSB_SB_SB_RKfSD_SD_SD_E_dSC_jLi1ELi2ELi4ELi512ELi2EEEvNS0_6detail10TensorInfoIT0_T2_EENSG_IT1_SI_EESI_T_
		.amdhsa_group_segment_fixed_size 0
		.amdhsa_private_segment_fixed_size 0
		.amdhsa_kernarg_size 728
		.amdhsa_user_sgpr_count 15
		.amdhsa_user_sgpr_dispatch_ptr 0
		.amdhsa_user_sgpr_queue_ptr 0
		.amdhsa_user_sgpr_kernarg_segment_ptr 1
		.amdhsa_user_sgpr_dispatch_id 0
		.amdhsa_user_sgpr_private_segment_size 0
		.amdhsa_wavefront_size32 1
		.amdhsa_uses_dynamic_stack 0
		.amdhsa_enable_private_segment 0
		.amdhsa_system_sgpr_workgroup_id_x 1
		.amdhsa_system_sgpr_workgroup_id_y 0
		.amdhsa_system_sgpr_workgroup_id_z 0
		.amdhsa_system_sgpr_workgroup_info 0
		.amdhsa_system_vgpr_workitem_id 0
		.amdhsa_next_free_vgpr 41
		.amdhsa_next_free_sgpr 40
		.amdhsa_reserve_vcc 1
		.amdhsa_float_round_mode_32 0
		.amdhsa_float_round_mode_16_64 0
		.amdhsa_float_denorm_mode_32 3
		.amdhsa_float_denorm_mode_16_64 3
		.amdhsa_dx10_clamp 1
		.amdhsa_ieee_mode 1
		.amdhsa_fp16_overflow 0
		.amdhsa_workgroup_processor_mode 1
		.amdhsa_memory_ordered 1
		.amdhsa_forward_progress 0
		.amdhsa_shared_vgpr_count 0
		.amdhsa_exception_fp_ieee_invalid_op 0
		.amdhsa_exception_fp_denorm_src 0
		.amdhsa_exception_fp_ieee_div_zero 0
		.amdhsa_exception_fp_ieee_overflow 0
		.amdhsa_exception_fp_ieee_underflow 0
		.amdhsa_exception_fp_ieee_inexact 0
		.amdhsa_exception_int_div_zero 0
	.end_amdhsa_kernel
	.section	.text._ZN2at4cuda12_GLOBAL__N_121kernelPointwiseApply2IZNS_6native9templates4cuda28bernoulli_tensor_cuda_kernelIdfEEvRKNS_10TensorBaseES9_NS_15PhiloxCudaStateEEUliRdSB_SB_SB_RKfSD_SD_SD_E_dSC_jLi1ELi2ELi4ELi512ELi2EEEvNS0_6detail10TensorInfoIT0_T2_EENSG_IT1_SI_EESI_T_,"axG",@progbits,_ZN2at4cuda12_GLOBAL__N_121kernelPointwiseApply2IZNS_6native9templates4cuda28bernoulli_tensor_cuda_kernelIdfEEvRKNS_10TensorBaseES9_NS_15PhiloxCudaStateEEUliRdSB_SB_SB_RKfSD_SD_SD_E_dSC_jLi1ELi2ELi4ELi512ELi2EEEvNS0_6detail10TensorInfoIT0_T2_EENSG_IT1_SI_EESI_T_,comdat
.Lfunc_end67:
	.size	_ZN2at4cuda12_GLOBAL__N_121kernelPointwiseApply2IZNS_6native9templates4cuda28bernoulli_tensor_cuda_kernelIdfEEvRKNS_10TensorBaseES9_NS_15PhiloxCudaStateEEUliRdSB_SB_SB_RKfSD_SD_SD_E_dSC_jLi1ELi2ELi4ELi512ELi2EEEvNS0_6detail10TensorInfoIT0_T2_EENSG_IT1_SI_EESI_T_, .Lfunc_end67-_ZN2at4cuda12_GLOBAL__N_121kernelPointwiseApply2IZNS_6native9templates4cuda28bernoulli_tensor_cuda_kernelIdfEEvRKNS_10TensorBaseES9_NS_15PhiloxCudaStateEEUliRdSB_SB_SB_RKfSD_SD_SD_E_dSC_jLi1ELi2ELi4ELi512ELi2EEEvNS0_6detail10TensorInfoIT0_T2_EENSG_IT1_SI_EESI_T_
                                        ; -- End function
	.section	.AMDGPU.csdata,"",@progbits
; Kernel info:
; codeLenInByte = 3768
; NumSgprs: 42
; NumVgprs: 41
; ScratchSize: 0
; MemoryBound: 0
; FloatMode: 240
; IeeeMode: 1
; LDSByteSize: 0 bytes/workgroup (compile time only)
; SGPRBlocks: 5
; VGPRBlocks: 5
; NumSGPRsForWavesPerEU: 42
; NumVGPRsForWavesPerEU: 41
; Occupancy: 16
; WaveLimiterHint : 1
; COMPUTE_PGM_RSRC2:SCRATCH_EN: 0
; COMPUTE_PGM_RSRC2:USER_SGPR: 15
; COMPUTE_PGM_RSRC2:TRAP_HANDLER: 0
; COMPUTE_PGM_RSRC2:TGID_X_EN: 1
; COMPUTE_PGM_RSRC2:TGID_Y_EN: 0
; COMPUTE_PGM_RSRC2:TGID_Z_EN: 0
; COMPUTE_PGM_RSRC2:TIDIG_COMP_CNT: 0
	.section	.text._ZN2at4cuda12_GLOBAL__N_121kernelPointwiseApply2IZNS_6native9templates4cuda28bernoulli_tensor_cuda_kernelIdfEEvRKNS_10TensorBaseES9_NS_15PhiloxCudaStateEEUliRdSB_SB_SB_RKfSD_SD_SD_E_dSC_jLi1ELin1ELi4ELi512ELi2EEEvNS0_6detail10TensorInfoIT0_T2_EENSG_IT1_SI_EESI_T_,"axG",@progbits,_ZN2at4cuda12_GLOBAL__N_121kernelPointwiseApply2IZNS_6native9templates4cuda28bernoulli_tensor_cuda_kernelIdfEEvRKNS_10TensorBaseES9_NS_15PhiloxCudaStateEEUliRdSB_SB_SB_RKfSD_SD_SD_E_dSC_jLi1ELin1ELi4ELi512ELi2EEEvNS0_6detail10TensorInfoIT0_T2_EENSG_IT1_SI_EESI_T_,comdat
	.globl	_ZN2at4cuda12_GLOBAL__N_121kernelPointwiseApply2IZNS_6native9templates4cuda28bernoulli_tensor_cuda_kernelIdfEEvRKNS_10TensorBaseES9_NS_15PhiloxCudaStateEEUliRdSB_SB_SB_RKfSD_SD_SD_E_dSC_jLi1ELin1ELi4ELi512ELi2EEEvNS0_6detail10TensorInfoIT0_T2_EENSG_IT1_SI_EESI_T_ ; -- Begin function _ZN2at4cuda12_GLOBAL__N_121kernelPointwiseApply2IZNS_6native9templates4cuda28bernoulli_tensor_cuda_kernelIdfEEvRKNS_10TensorBaseES9_NS_15PhiloxCudaStateEEUliRdSB_SB_SB_RKfSD_SD_SD_E_dSC_jLi1ELin1ELi4ELi512ELi2EEEvNS0_6detail10TensorInfoIT0_T2_EENSG_IT1_SI_EESI_T_
	.p2align	8
	.type	_ZN2at4cuda12_GLOBAL__N_121kernelPointwiseApply2IZNS_6native9templates4cuda28bernoulli_tensor_cuda_kernelIdfEEvRKNS_10TensorBaseES9_NS_15PhiloxCudaStateEEUliRdSB_SB_SB_RKfSD_SD_SD_E_dSC_jLi1ELin1ELi4ELi512ELi2EEEvNS0_6detail10TensorInfoIT0_T2_EENSG_IT1_SI_EESI_T_,@function
_ZN2at4cuda12_GLOBAL__N_121kernelPointwiseApply2IZNS_6native9templates4cuda28bernoulli_tensor_cuda_kernelIdfEEvRKNS_10TensorBaseES9_NS_15PhiloxCudaStateEEUliRdSB_SB_SB_RKfSD_SD_SD_E_dSC_jLi1ELin1ELi4ELi512ELi2EEEvNS0_6detail10TensorInfoIT0_T2_EENSG_IT1_SI_EESI_T_: ; @_ZN2at4cuda12_GLOBAL__N_121kernelPointwiseApply2IZNS_6native9templates4cuda28bernoulli_tensor_cuda_kernelIdfEEvRKNS_10TensorBaseES9_NS_15PhiloxCudaStateEEUliRdSB_SB_SB_RKfSD_SD_SD_E_dSC_jLi1ELin1ELi4ELi512ELi2EEEvNS0_6detail10TensorInfoIT0_T2_EENSG_IT1_SI_EESI_T_
; %bb.0:
	s_clause 0x1
	s_load_b32 s4, s[0:1], 0x1e4
	s_load_b32 s20, s[0:1], 0x1b0
	s_add_u32 s2, s0, 0x1d8
	s_addc_u32 s3, s1, 0
	s_waitcnt lgkmcnt(0)
	s_and_b32 s14, s4, 0xffff
	s_mov_b32 s4, exec_lo
	v_mad_u64_u32 v[1:2], null, s15, s14, v[0:1]
	s_delay_alu instid0(VALU_DEP_1) | instskip(NEXT) | instid1(VALU_DEP_1)
	v_lshlrev_b32_e32 v24, 2, v1
	v_cmpx_gt_u32_e64 s20, v24
	s_cbranch_execz .LBB68_73
; %bb.1:
	s_load_b32 s16, s[0:1], 0x1a8
	s_load_b32 s2, s[2:3], 0x0
	s_clause 0x6
	s_load_b32 s3, s[0:1], 0x1d0
	s_load_b128 s[4:7], s[0:1], 0x1b8
	s_load_b64 s[8:9], s[0:1], 0x1c8
	s_load_b64 s[10:11], s[0:1], 0x0
	s_load_b32 s21, s[0:1], 0x6c
	s_load_b32 s22, s[0:1], 0x144
	s_load_b64 s[12:13], s[0:1], 0xd8
	s_add_u32 s17, s0, 0xd8
	s_addc_u32 s18, s1, 0
	v_mad_u64_u32 v[2:3], null, 0xcd9e8d57, v1, 0
	s_mov_b32 s15, 0
	v_mov_b32_e32 v4, 0
                                        ; implicit-def: $sgpr27
                                        ; implicit-def: $sgpr29
                                        ; implicit-def: $sgpr28
                                        ; implicit-def: $sgpr30
                                        ; implicit-def: $sgpr33
                                        ; implicit-def: $sgpr31
                                        ; implicit-def: $sgpr34
	s_delay_alu instid0(VALU_DEP_2)
	v_mov_b32_e32 v25, v3
	s_waitcnt lgkmcnt(0)
	s_cmp_gt_i32 s16, 1
	s_mul_i32 s2, s2, s14
	s_cselect_b32 s23, -1, 0
	s_bitcmp1_b32 s3, 0
	s_cselect_b32 s24, -1, 0
	s_add_i32 s14, s16, -1
	s_lshl_b32 s25, s2, 2
	s_lshl_b64 s[0:1], s[14:15], 2
	s_add_i32 s26, s16, 1
	s_add_u32 s0, s0, s17
	s_addc_u32 s1, s1, s18
	s_add_u32 s16, s0, 8
	s_addc_u32 s17, s1, 0
                                        ; implicit-def: $sgpr14
	s_branch .LBB68_3
.LBB68_2:                               ;   in Loop: Header=BB68_3 Depth=1
	s_or_b32 exec_lo, exec_lo, s1
	s_delay_alu instid0(SALU_CYCLE_1) | instskip(NEXT) | instid1(SALU_CYCLE_1)
	s_and_b32 s0, exec_lo, s0
	s_or_b32 s15, s0, s15
	s_and_not1_b32 s0, s14, exec_lo
	s_and_b32 s1, s34, exec_lo
	s_and_not1_b32 s2, s28, exec_lo
	s_and_b32 s3, s31, exec_lo
	s_or_b32 s14, s0, s1
	s_or_b32 s28, s2, s3
	s_and_not1_b32 s0, s29, exec_lo
	s_and_b32 s1, s33, exec_lo
	s_and_not1_b32 s2, s27, exec_lo
	s_and_b32 s3, s30, exec_lo
	s_or_b32 s29, s0, s1
	s_or_b32 s27, s2, s3
	s_and_not1_b32 exec_lo, exec_lo, s15
	s_cbranch_execz .LBB68_61
.LBB68_3:                               ; =>This Loop Header: Depth=1
                                        ;     Child Loop BB68_6 Depth 2
                                        ;     Child Loop BB68_11 Depth 2
	;; [unrolled: 1-line block ×4, first 2 shown]
	v_sub_nc_u32_e32 v27, s20, v24
	v_mov_b32_e32 v3, 0
	s_delay_alu instid0(VALU_DEP_2) | instskip(NEXT) | instid1(VALU_DEP_1)
	v_cmp_lt_i32_e64 s0, 0, v27
	s_and_saveexec_b32 s1, s0
	s_cbranch_execz .LBB68_8
; %bb.4:                                ;   in Loop: Header=BB68_3 Depth=1
	v_dual_mov_b32 v0, 0 :: v_dual_mov_b32 v3, v24
	s_and_not1_b32 vcc_lo, exec_lo, s23
	s_cbranch_vccnz .LBB68_7
; %bb.5:                                ;   in Loop: Header=BB68_3 Depth=1
	v_dual_mov_b32 v0, 0 :: v_dual_mov_b32 v3, v24
	s_mov_b64 s[2:3], s[16:17]
	s_mov_b32 s18, s26
	s_set_inst_prefetch_distance 0x1
	.p2align	6
.LBB68_6:                               ;   Parent Loop BB68_3 Depth=1
                                        ; =>  This Inner Loop Header: Depth=2
	s_clause 0x1
	s_load_b32 s19, s[2:3], 0x0
	s_load_b32 s35, s[2:3], 0x64
	v_mov_b32_e32 v7, v3
	s_add_i32 s18, s18, -1
	s_waitcnt lgkmcnt(0)
	v_cvt_f32_u32_e32 v5, s19
	s_sub_i32 s36, 0, s19
	s_add_u32 s2, s2, -4
	s_addc_u32 s3, s3, -1
	s_cmp_gt_u32 s18, 2
	v_rcp_iflag_f32_e32 v5, v5
	s_waitcnt_depctr 0xfff
	v_mul_f32_e32 v5, 0x4f7ffffe, v5
	s_delay_alu instid0(VALU_DEP_1) | instskip(NEXT) | instid1(VALU_DEP_1)
	v_cvt_u32_f32_e32 v5, v5
	v_mul_lo_u32 v6, s36, v5
	s_delay_alu instid0(VALU_DEP_1) | instskip(NEXT) | instid1(VALU_DEP_1)
	v_mul_hi_u32 v6, v5, v6
	v_add_nc_u32_e32 v3, v5, v6
	s_delay_alu instid0(VALU_DEP_1) | instskip(NEXT) | instid1(VALU_DEP_1)
	v_mul_hi_u32 v3, v7, v3
	v_add_nc_u32_e32 v6, 1, v3
	v_mul_lo_u32 v5, v3, s19
	s_delay_alu instid0(VALU_DEP_1) | instskip(NEXT) | instid1(VALU_DEP_1)
	v_sub_nc_u32_e32 v5, v7, v5
	v_subrev_nc_u32_e32 v8, s19, v5
	v_cmp_le_u32_e32 vcc_lo, s19, v5
	v_cndmask_b32_e32 v3, v3, v6, vcc_lo
	s_delay_alu instid0(VALU_DEP_1) | instskip(NEXT) | instid1(VALU_DEP_1)
	v_dual_cndmask_b32 v5, v5, v8 :: v_dual_add_nc_u32 v6, 1, v3
	v_cmp_le_u32_e32 vcc_lo, s19, v5
	s_delay_alu instid0(VALU_DEP_2) | instskip(NEXT) | instid1(VALU_DEP_1)
	v_cndmask_b32_e32 v3, v3, v6, vcc_lo
	v_mul_lo_u32 v5, v3, s19
	s_delay_alu instid0(VALU_DEP_1) | instskip(NEXT) | instid1(VALU_DEP_1)
	v_sub_nc_u32_e32 v7, v7, v5
	v_mad_u64_u32 v[5:6], null, s35, v7, v[0:1]
	s_delay_alu instid0(VALU_DEP_1)
	v_mov_b32_e32 v0, v5
	s_cbranch_scc1 .LBB68_6
.LBB68_7:                               ;   in Loop: Header=BB68_3 Depth=1
	s_set_inst_prefetch_distance 0x2
	s_delay_alu instid0(VALU_DEP_1) | instskip(NEXT) | instid1(VALU_DEP_1)
	v_mad_u64_u32 v[5:6], null, s22, v3, v[0:1]
	v_mov_b32_e32 v3, v5
.LBB68_8:                               ;   in Loop: Header=BB68_3 Depth=1
	s_or_b32 exec_lo, exec_lo, s1
	v_mov_b32_e32 v5, 0
	v_mov_b32_e32 v6, 0
	v_cmp_lt_i32_e64 s1, 1, v27
	s_delay_alu instid0(VALU_DEP_1)
	s_and_saveexec_b32 s18, s1
	s_cbranch_execz .LBB68_13
; %bb.9:                                ;   in Loop: Header=BB68_3 Depth=1
	v_or_b32_e32 v7, 1, v24
	v_mov_b32_e32 v0, 0
	s_and_not1_b32 vcc_lo, exec_lo, s23
	s_cbranch_vccnz .LBB68_12
; %bb.10:                               ;   in Loop: Header=BB68_3 Depth=1
	v_mov_b32_e32 v0, 0
	s_mov_b64 s[2:3], s[16:17]
	s_mov_b32 s19, s26
	s_set_inst_prefetch_distance 0x1
	.p2align	6
.LBB68_11:                              ;   Parent Loop BB68_3 Depth=1
                                        ; =>  This Inner Loop Header: Depth=2
	s_clause 0x1
	s_load_b32 s35, s[2:3], 0x0
	s_load_b32 s36, s[2:3], 0x64
	s_add_i32 s19, s19, -1
	v_mov_b32_e32 v8, v7
	s_waitcnt lgkmcnt(0)
	v_cvt_f32_u32_e32 v5, s35
	s_sub_i32 s37, 0, s35
	s_add_u32 s2, s2, -4
	s_addc_u32 s3, s3, -1
	s_cmp_gt_u32 s19, 2
	v_rcp_iflag_f32_e32 v5, v5
	s_waitcnt_depctr 0xfff
	v_mul_f32_e32 v5, 0x4f7ffffe, v5
	s_delay_alu instid0(VALU_DEP_1) | instskip(NEXT) | instid1(VALU_DEP_1)
	v_cvt_u32_f32_e32 v5, v5
	v_mul_lo_u32 v6, s37, v5
	s_delay_alu instid0(VALU_DEP_1) | instskip(NEXT) | instid1(VALU_DEP_1)
	v_mul_hi_u32 v6, v5, v6
	v_add_nc_u32_e32 v5, v5, v6
	s_delay_alu instid0(VALU_DEP_1) | instskip(NEXT) | instid1(VALU_DEP_1)
	v_mul_hi_u32 v5, v8, v5
	v_mul_lo_u32 v6, v5, s35
	v_add_nc_u32_e32 v7, 1, v5
	s_delay_alu instid0(VALU_DEP_2) | instskip(NEXT) | instid1(VALU_DEP_1)
	v_sub_nc_u32_e32 v6, v8, v6
	v_subrev_nc_u32_e32 v9, s35, v6
	v_cmp_le_u32_e32 vcc_lo, s35, v6
	s_delay_alu instid0(VALU_DEP_2) | instskip(NEXT) | instid1(VALU_DEP_1)
	v_dual_cndmask_b32 v5, v5, v7 :: v_dual_cndmask_b32 v6, v6, v9
	v_add_nc_u32_e32 v7, 1, v5
	s_delay_alu instid0(VALU_DEP_2) | instskip(NEXT) | instid1(VALU_DEP_2)
	v_cmp_le_u32_e32 vcc_lo, s35, v6
	v_cndmask_b32_e32 v7, v5, v7, vcc_lo
	s_delay_alu instid0(VALU_DEP_1) | instskip(NEXT) | instid1(VALU_DEP_1)
	v_mul_lo_u32 v5, v7, s35
	v_sub_nc_u32_e32 v8, v8, v5
	s_delay_alu instid0(VALU_DEP_1) | instskip(NEXT) | instid1(VALU_DEP_1)
	v_mad_u64_u32 v[5:6], null, s36, v8, v[0:1]
	v_mov_b32_e32 v0, v5
	s_cbranch_scc1 .LBB68_11
.LBB68_12:                              ;   in Loop: Header=BB68_3 Depth=1
	s_set_inst_prefetch_distance 0x2
	s_delay_alu instid0(VALU_DEP_1)
	v_mad_u64_u32 v[5:6], null, s22, v7, v[0:1]
	v_mov_b32_e32 v6, v4
.LBB68_13:                              ;   in Loop: Header=BB68_3 Depth=1
	s_or_b32 exec_lo, exec_lo, s18
	v_mov_b32_e32 v9, 0
	v_mov_b32_e32 v10, 0
	v_cmp_lt_i32_e64 s2, 2, v27
	s_delay_alu instid0(VALU_DEP_1)
	s_and_saveexec_b32 s3, s2
	s_cbranch_execz .LBB68_18
; %bb.14:                               ;   in Loop: Header=BB68_3 Depth=1
	v_or_b32_e32 v7, 2, v24
	v_mov_b32_e32 v0, 0
	s_and_not1_b32 vcc_lo, exec_lo, s23
	s_cbranch_vccnz .LBB68_17
; %bb.15:                               ;   in Loop: Header=BB68_3 Depth=1
	v_mov_b32_e32 v0, 0
	s_mov_b64 s[18:19], s[16:17]
	s_mov_b32 s35, s26
	s_set_inst_prefetch_distance 0x1
	.p2align	6
.LBB68_16:                              ;   Parent Loop BB68_3 Depth=1
                                        ; =>  This Inner Loop Header: Depth=2
	s_clause 0x1
	s_load_b32 s36, s[18:19], 0x0
	s_load_b32 s37, s[18:19], 0x64
	s_add_i32 s35, s35, -1
	s_waitcnt lgkmcnt(0)
	v_cvt_f32_u32_e32 v8, s36
	s_sub_i32 s38, 0, s36
	s_add_u32 s18, s18, -4
	s_addc_u32 s19, s19, -1
	s_cmp_gt_u32 s35, 2
	v_rcp_iflag_f32_e32 v8, v8
	s_waitcnt_depctr 0xfff
	v_mul_f32_e32 v8, 0x4f7ffffe, v8
	s_delay_alu instid0(VALU_DEP_1) | instskip(NEXT) | instid1(VALU_DEP_1)
	v_cvt_u32_f32_e32 v8, v8
	v_mul_lo_u32 v9, s38, v8
	s_delay_alu instid0(VALU_DEP_1) | instskip(NEXT) | instid1(VALU_DEP_1)
	v_mul_hi_u32 v9, v8, v9
	v_dual_mov_b32 v10, v7 :: v_dual_add_nc_u32 v7, v8, v9
	s_delay_alu instid0(VALU_DEP_1) | instskip(NEXT) | instid1(VALU_DEP_1)
	v_mul_hi_u32 v7, v10, v7
	v_mul_lo_u32 v8, v7, s36
	v_add_nc_u32_e32 v9, 1, v7
	s_delay_alu instid0(VALU_DEP_2) | instskip(NEXT) | instid1(VALU_DEP_1)
	v_sub_nc_u32_e32 v8, v10, v8
	v_subrev_nc_u32_e32 v11, s36, v8
	v_cmp_le_u32_e32 vcc_lo, s36, v8
	s_delay_alu instid0(VALU_DEP_2) | instskip(NEXT) | instid1(VALU_DEP_1)
	v_dual_cndmask_b32 v7, v7, v9 :: v_dual_cndmask_b32 v8, v8, v11
	v_add_nc_u32_e32 v9, 1, v7
	s_delay_alu instid0(VALU_DEP_2) | instskip(NEXT) | instid1(VALU_DEP_2)
	v_cmp_le_u32_e32 vcc_lo, s36, v8
	v_cndmask_b32_e32 v7, v7, v9, vcc_lo
	s_delay_alu instid0(VALU_DEP_1) | instskip(NEXT) | instid1(VALU_DEP_1)
	v_mul_lo_u32 v8, v7, s36
	v_sub_nc_u32_e32 v10, v10, v8
	s_delay_alu instid0(VALU_DEP_1) | instskip(NEXT) | instid1(VALU_DEP_1)
	v_mad_u64_u32 v[8:9], null, s37, v10, v[0:1]
	v_mov_b32_e32 v0, v8
	s_cbranch_scc1 .LBB68_16
.LBB68_17:                              ;   in Loop: Header=BB68_3 Depth=1
	s_set_inst_prefetch_distance 0x2
	s_delay_alu instid0(VALU_DEP_1)
	v_mad_u64_u32 v[9:10], null, s22, v7, v[0:1]
	v_mov_b32_e32 v10, v4
.LBB68_18:                              ;   in Loop: Header=BB68_3 Depth=1
	s_or_b32 exec_lo, exec_lo, s3
	v_mul_lo_u32 v26, v24, s21
	v_mov_b32_e32 v11, 0
	s_mov_b32 s3, exec_lo
	s_delay_alu instid0(VALU_DEP_2) | instskip(NEXT) | instid1(VALU_DEP_1)
	v_add_nc_u32_e32 v28, s21, v26
	v_dual_mov_b32 v12, 0 :: v_dual_add_nc_u32 v29, s21, v28
	s_delay_alu instid0(VALU_DEP_1)
	v_dual_mov_b32 v7, v11 :: v_dual_mov_b32 v8, v12
	v_cmpx_lt_i32_e32 3, v27
	s_cbranch_execz .LBB68_23
; %bb.19:                               ;   in Loop: Header=BB68_3 Depth=1
	v_or_b32_e32 v7, 3, v24
	v_mov_b32_e32 v0, 0
	s_and_not1_b32 vcc_lo, exec_lo, s23
	s_cbranch_vccnz .LBB68_22
; %bb.20:                               ;   in Loop: Header=BB68_3 Depth=1
	v_mov_b32_e32 v0, 0
	s_mov_b64 s[18:19], s[16:17]
	s_mov_b32 s35, s26
	s_set_inst_prefetch_distance 0x1
	.p2align	6
.LBB68_21:                              ;   Parent Loop BB68_3 Depth=1
                                        ; =>  This Inner Loop Header: Depth=2
	s_clause 0x1
	s_load_b32 s36, s[18:19], 0x0
	s_load_b32 s37, s[18:19], 0x64
	s_add_i32 s35, s35, -1
	s_waitcnt lgkmcnt(0)
	v_cvt_f32_u32_e32 v8, s36
	s_sub_i32 s38, 0, s36
	s_add_u32 s18, s18, -4
	s_addc_u32 s19, s19, -1
	s_cmp_gt_u32 s35, 2
	v_rcp_iflag_f32_e32 v8, v8
	s_waitcnt_depctr 0xfff
	v_mul_f32_e32 v8, 0x4f7ffffe, v8
	s_delay_alu instid0(VALU_DEP_1) | instskip(NEXT) | instid1(VALU_DEP_1)
	v_cvt_u32_f32_e32 v8, v8
	v_mul_lo_u32 v11, s38, v8
	s_delay_alu instid0(VALU_DEP_1) | instskip(NEXT) | instid1(VALU_DEP_1)
	v_mul_hi_u32 v11, v8, v11
	v_dual_mov_b32 v12, v7 :: v_dual_add_nc_u32 v7, v8, v11
	s_delay_alu instid0(VALU_DEP_1) | instskip(NEXT) | instid1(VALU_DEP_1)
	v_mul_hi_u32 v7, v12, v7
	v_mul_lo_u32 v8, v7, s36
	v_add_nc_u32_e32 v11, 1, v7
	s_delay_alu instid0(VALU_DEP_2) | instskip(NEXT) | instid1(VALU_DEP_1)
	v_sub_nc_u32_e32 v8, v12, v8
	v_subrev_nc_u32_e32 v13, s36, v8
	v_cmp_le_u32_e32 vcc_lo, s36, v8
	s_delay_alu instid0(VALU_DEP_2) | instskip(NEXT) | instid1(VALU_DEP_1)
	v_dual_cndmask_b32 v7, v7, v11 :: v_dual_cndmask_b32 v8, v8, v13
	v_add_nc_u32_e32 v11, 1, v7
	s_delay_alu instid0(VALU_DEP_2) | instskip(NEXT) | instid1(VALU_DEP_2)
	v_cmp_le_u32_e32 vcc_lo, s36, v8
	v_cndmask_b32_e32 v7, v7, v11, vcc_lo
	s_delay_alu instid0(VALU_DEP_1) | instskip(NEXT) | instid1(VALU_DEP_1)
	v_mul_lo_u32 v8, v7, s36
	v_sub_nc_u32_e32 v8, v12, v8
	s_delay_alu instid0(VALU_DEP_1) | instskip(NEXT) | instid1(VALU_DEP_1)
	v_mad_u64_u32 v[11:12], null, s37, v8, v[0:1]
	v_mov_b32_e32 v0, v11
	s_cbranch_scc1 .LBB68_21
.LBB68_22:                              ;   in Loop: Header=BB68_3 Depth=1
	s_set_inst_prefetch_distance 0x2
	s_delay_alu instid0(VALU_DEP_1)
	v_mad_u64_u32 v[11:12], null, s22, v7, v[0:1]
	v_dual_mov_b32 v8, v4 :: v_dual_add_nc_u32 v7, s21, v29
	v_mov_b32_e32 v12, v4
.LBB68_23:                              ;   in Loop: Header=BB68_3 Depth=1
	s_or_b32 exec_lo, exec_lo, s3
	v_lshlrev_b64 v[13:14], 2, v[3:4]
	v_lshlrev_b64 v[5:6], 2, v[5:6]
	v_lshlrev_b64 v[9:10], 2, v[9:10]
	v_lshlrev_b64 v[11:12], 2, v[11:12]
	s_delay_alu instid0(VALU_DEP_4)
	v_add_co_u32 v13, vcc_lo, s12, v13
	v_add_co_ci_u32_e32 v14, vcc_lo, s13, v14, vcc_lo
	v_add_co_u32 v5, vcc_lo, s12, v5
	v_add_co_ci_u32_e32 v6, vcc_lo, s13, v6, vcc_lo
	;; [unrolled: 2-line block ×4, first 2 shown]
	s_clause 0x3
	global_load_b32 v0, v[13:14], off
	global_load_b32 v30, v[5:6], off
	;; [unrolled: 1-line block ×4, first 2 shown]
	v_dual_mov_b32 v12, s7 :: v_dual_mov_b32 v11, s6
	v_dual_mov_b32 v14, s5 :: v_dual_mov_b32 v13, s4
	s_and_not1_b32 vcc_lo, exec_lo, s24
	s_cbranch_vccnz .LBB68_25
; %bb.24:                               ;   in Loop: Header=BB68_3 Depth=1
	v_dual_mov_b32 v5, s6 :: v_dual_mov_b32 v6, s7
	v_dual_mov_b32 v10, s5 :: v_dual_mov_b32 v9, s4
	flat_load_b64 v[5:6], v[5:6]
	flat_load_b64 v[13:14], v[9:10]
	s_waitcnt vmcnt(1) lgkmcnt(1)
	v_add_co_u32 v11, vcc_lo, v5, s8
	v_add_co_ci_u32_e32 v12, vcc_lo, s9, v6, vcc_lo
.LBB68_25:                              ;   in Loop: Header=BB68_3 Depth=1
	s_delay_alu instid0(VALU_DEP_1)
	v_alignbit_b32 v15, v12, v11, 2
	v_lshrrev_b32_e32 v9, 2, v12
	s_waitcnt vmcnt(0) lgkmcnt(0)
	v_add_nc_u32_e32 v32, 0x9e3779b9, v13
	v_add_nc_u32_e32 v34, 0x3c6ef372, v13
	;; [unrolled: 1-line block ×3, first 2 shown]
	v_add_co_u32 v10, vcc_lo, v15, 1
	s_delay_alu instid0(VALU_DEP_1) | instskip(SKIP_4) | instid1(VALU_DEP_4)
	v_cndmask_b32_e64 v5, 0, 1, vcc_lo
	v_add_co_ci_u32_e32 v12, vcc_lo, 0, v9, vcc_lo
	v_xor3_b32 v17, v25, v13, v9
	v_add_nc_u32_e32 v36, 0x32370b8f, v14
	v_add_nc_u32_e32 v37, 0xed9eba14, v14
	v_cmp_eq_u32_e32 vcc_lo, 0, v12
	v_add_nc_u32_e32 v38, 0x1fd5c5a3, v14
	s_mov_b32 s3, exec_lo
	v_dual_cndmask_b32 v16, 0, v5 :: v_dual_add_nc_u32 v33, 0xbb67ae85, v14
	v_mad_u64_u32 v[5:6], null, 0xd2511f53, v10, 0
	v_mad_u64_u32 v[9:10], null, 0xd2511f53, v15, 0
	s_delay_alu instid0(VALU_DEP_3) | instskip(NEXT) | instid1(VALU_DEP_3)
	v_add_nc_u32_e32 v19, v16, v1
	v_xor_b32_e32 v6, v6, v14
	s_delay_alu instid0(VALU_DEP_2) | instskip(SKIP_1) | instid1(VALU_DEP_1)
	v_cmp_eq_u32_e32 vcc_lo, 0, v19
	v_cndmask_b32_e32 v16, 0, v16, vcc_lo
	v_xor_b32_e32 v6, v16, v6
	v_mad_u64_u32 v[15:16], null, 0xd2511f53, v17, 0
	v_mad_u64_u32 v[17:18], null, 0xcd9e8d57, v19, 0
	s_delay_alu instid0(VALU_DEP_3) | instskip(SKIP_1) | instid1(VALU_DEP_4)
	v_mad_u64_u32 v[19:20], null, 0xcd9e8d57, v6, 0
	v_xor_b32_e32 v6, v10, v14
	v_xor3_b32 v21, v33, v16, v9
	s_delay_alu instid0(VALU_DEP_2) | instskip(SKIP_2) | instid1(VALU_DEP_4)
	v_mad_u64_u32 v[9:10], null, 0xcd9e8d57, v6, 0
	v_xor3_b32 v6, v18, v13, v12
	v_xor3_b32 v12, v32, v20, v17
	v_mad_u64_u32 v[16:17], null, 0xcd9e8d57, v21, 0
	s_delay_alu instid0(VALU_DEP_3) | instskip(NEXT) | instid1(VALU_DEP_3)
	v_mad_u64_u32 v[20:21], null, 0xd2511f53, v6, 0
	v_mad_u64_u32 v[22:23], null, 0xd2511f53, v12, 0
	v_xor3_b32 v6, v2, v10, v32
	s_delay_alu instid0(VALU_DEP_4) | instskip(SKIP_2) | instid1(VALU_DEP_4)
	v_xor3_b32 v17, v34, v17, v9
	v_add_nc_u32_e32 v12, 0xdaa66d2b, v13
	v_xor3_b32 v21, v33, v21, v5
	v_mad_u64_u32 v[9:10], null, 0xd2511f53, v6, 0
	v_xor3_b32 v23, v35, v23, v20
	v_mad_u64_u32 v[5:6], null, 0xd2511f53, v17, 0
	s_delay_alu instid0(VALU_DEP_4) | instskip(NEXT) | instid1(VALU_DEP_3)
	v_mad_u64_u32 v[17:18], null, 0xcd9e8d57, v21, 0
	v_mad_u64_u32 v[20:21], null, 0xcd9e8d57, v23, 0
	v_xor3_b32 v15, v35, v10, v15
	v_add_nc_u32_e32 v23, 0x78dde6e4, v13
	v_xor3_b32 v6, v36, v6, v9
	s_delay_alu instid0(VALU_DEP_3) | instskip(SKIP_2) | instid1(VALU_DEP_4)
	v_mad_u64_u32 v[9:10], null, 0xcd9e8d57, v15, 0
	v_xor3_b32 v15, v34, v18, v19
	v_xor3_b32 v19, v12, v21, v17
	v_mad_u64_u32 v[17:18], null, 0xcd9e8d57, v6, 0
	s_delay_alu instid0(VALU_DEP_3) | instskip(NEXT) | instid1(VALU_DEP_3)
	v_mad_u64_u32 v[32:33], null, 0xd2511f53, v15, 0
	v_mad_u64_u32 v[34:35], null, 0xd2511f53, v19, 0
	v_xor3_b32 v6, v12, v10, v16
	s_delay_alu instid0(VALU_DEP_4) | instskip(SKIP_2) | instid1(VALU_DEP_4)
	v_xor3_b32 v15, v23, v18, v9
	v_add_nc_u32_e32 v12, 0x1715609d, v13
	v_add_nc_u32_e32 v19, 0xa9066899, v14
	v_mad_u64_u32 v[9:10], null, 0xd2511f53, v6, 0
	v_xor3_b32 v6, v36, v33, v22
	v_xor3_b32 v18, v37, v35, v32
	v_mad_u64_u32 v[21:22], null, 0xd2511f53, v15, 0
	v_add_nc_u32_e32 v33, 0xb54cda56, v13
	s_delay_alu instid0(VALU_DEP_4) | instskip(NEXT) | instid1(VALU_DEP_4)
	v_mad_u64_u32 v[15:16], null, 0xcd9e8d57, v6, 0
	v_mad_u64_u32 v[35:36], null, 0xcd9e8d57, v18, 0
	v_xor3_b32 v10, v37, v10, v5
	v_xor3_b32 v18, v19, v22, v9
	v_add_nc_u32_e32 v32, 0x646e171e, v14
	v_xor3_b32 v20, v23, v16, v20
	s_delay_alu instid0(VALU_DEP_4) | instskip(SKIP_2) | instid1(VALU_DEP_4)
	v_mad_u64_u32 v[5:6], null, 0xcd9e8d57, v10, 0
	v_xor3_b32 v22, v12, v36, v15
	v_mad_u64_u32 v[9:10], null, 0xcd9e8d57, v18, 0
	v_mad_u64_u32 v[15:16], null, 0xd2511f53, v20, 0
	s_delay_alu instid0(VALU_DEP_3) | instskip(SKIP_3) | instid1(VALU_DEP_3)
	v_mad_u64_u32 v[36:37], null, 0xd2511f53, v22, 0
	v_xor3_b32 v12, v12, v6, v17
	v_add_nc_u32_e32 v20, 0x5384540f, v13
	v_xor3_b32 v10, v33, v10, v5
	v_mad_u64_u32 v[5:6], null, 0xd2511f53, v12, 0
	v_xor3_b32 v12, v19, v16, v34
	v_xor3_b32 v17, v32, v37, v15
	s_delay_alu instid0(VALU_DEP_4) | instskip(NEXT) | instid1(VALU_DEP_3)
	v_mad_u64_u32 v[15:16], null, 0xd2511f53, v10, 0
	v_mad_u64_u32 v[22:23], null, 0xcd9e8d57, v12, 0
	s_delay_alu instid0(VALU_DEP_3) | instskip(SKIP_1) | instid1(VALU_DEP_4)
	v_mad_u64_u32 v[18:19], null, 0xcd9e8d57, v17, 0
	v_xor3_b32 v10, v32, v6, v21
	v_xor3_b32 v12, v38, v16, v5
	v_add_co_u32 v32, null, 0xf1bbcdc8, v13
	s_delay_alu instid0(VALU_DEP_3) | instskip(SKIP_4) | instid1(VALU_DEP_4)
	v_mad_u64_u32 v[5:6], null, 0xcd9e8d57, v10, 0
	v_xor3_b32 v10, v33, v23, v35
	v_xor3_b32 v19, v20, v19, v22
	v_mad_u64_u32 v[16:17], null, 0xcd9e8d57, v12, 0
	v_add_nc_u32_e32 v33, 0xdb3d7428, v14
	v_mad_u64_u32 v[34:35], null, 0xd2511f53, v10, 0
	s_delay_alu instid0(VALU_DEP_4) | instskip(SKIP_4) | instid1(VALU_DEP_4)
	v_mad_u64_u32 v[21:22], null, 0xd2511f53, v19, 0
	v_xor3_b32 v6, v20, v6, v9
	v_xor3_b32 v9, v32, v17, v5
	v_add_nc_u32_e32 v17, 0x8ff34781, v13
	v_xor3_b32 v10, v38, v35, v36
	v_mad_u64_u32 v[19:20], null, 0xd2511f53, v6, 0
	v_xor3_b32 v12, v33, v22, v34
	v_mad_u64_u32 v[5:6], null, 0xd2511f53, v9, 0
	s_delay_alu instid0(VALU_DEP_4) | instskip(NEXT) | instid1(VALU_DEP_3)
	v_mad_u64_u32 v[22:23], null, 0xcd9e8d57, v10, 0
	v_mad_u64_u32 v[9:10], null, 0xcd9e8d57, v12, 0
	v_add_nc_u32_e32 v34, 0x96a522ad, v14
	v_and_b32_e32 v14, 3, v11
                                        ; implicit-def: $vgpr12
	s_delay_alu instid0(VALU_DEP_2) | instskip(NEXT) | instid1(VALU_DEP_4)
	v_xor3_b32 v13, v6, v19, v34
	v_xor3_b32 v6, v10, v22, v17
	s_delay_alu instid0(VALU_DEP_3)
	v_cmpx_lt_i32_e32 1, v14
	s_xor_b32 s3, exec_lo, s3
	s_cbranch_execz .LBB68_31
; %bb.26:                               ;   in Loop: Header=BB68_3 Depth=1
	s_mov_b32 s18, exec_lo
                                        ; implicit-def: $vgpr12
	v_cmpx_lt_i32_e32 2, v14
	s_xor_b32 s18, exec_lo, s18
; %bb.27:                               ;   in Loop: Header=BB68_3 Depth=1
	v_xor3_b32 v10, v32, v23, v18
                                        ; implicit-def: $vgpr13
	s_delay_alu instid0(VALU_DEP_1) | instskip(NEXT) | instid1(VALU_DEP_1)
	v_mul_hi_u32 v10, 0xd2511f53, v10
	v_xor3_b32 v12, v10, v21, v34
; %bb.28:                               ;   in Loop: Header=BB68_3 Depth=1
	s_and_not1_saveexec_b32 s18, s18
; %bb.29:                               ;   in Loop: Header=BB68_3 Depth=1
	v_dual_mov_b32 v12, v9 :: v_dual_mov_b32 v9, v6
	v_mov_b32_e32 v6, v5
	v_mov_b32_e32 v5, v13
; %bb.30:                               ;   in Loop: Header=BB68_3 Depth=1
	s_or_b32 exec_lo, exec_lo, s18
                                        ; implicit-def: $vgpr15_vgpr16
                                        ; implicit-def: $vgpr14
                                        ; implicit-def: $vgpr13
                                        ; implicit-def: $vgpr33
                                        ; implicit-def: $vgpr19_vgpr20
                                        ; implicit-def: $vgpr16_vgpr17
                                        ; implicit-def: $vgpr17
.LBB68_31:                              ;   in Loop: Header=BB68_3 Depth=1
	s_and_not1_saveexec_b32 s3, s3
	s_cbranch_execz .LBB68_35
; %bb.32:                               ;   in Loop: Header=BB68_3 Depth=1
	v_xor3_b32 v9, v33, v20, v15
	v_cmp_eq_u32_e32 vcc_lo, 1, v14
	s_delay_alu instid0(VALU_DEP_2) | instskip(SKIP_2) | instid1(VALU_DEP_3)
	v_mad_u64_u32 v[10:11], null, 0xcd9e8d57, v9, 0
	v_mov_b32_e32 v12, v5
	v_mov_b32_e32 v9, v13
	v_xor3_b32 v14, v11, v16, v17
	s_delay_alu instid0(VALU_DEP_4)
	v_mov_b32_e32 v11, v10
	s_and_saveexec_b32 s18, vcc_lo
; %bb.33:                               ;   in Loop: Header=BB68_3 Depth=1
	v_dual_mov_b32 v12, v6 :: v_dual_mov_b32 v9, v5
	v_dual_mov_b32 v11, v13 :: v_dual_mov_b32 v14, v10
; %bb.34:                               ;   in Loop: Header=BB68_3 Depth=1
	s_or_b32 exec_lo, exec_lo, s18
	s_delay_alu instid0(VALU_DEP_1)
	v_dual_mov_b32 v5, v14 :: v_dual_mov_b32 v6, v11
.LBB68_35:                              ;   in Loop: Header=BB68_3 Depth=1
	s_or_b32 exec_lo, exec_lo, s3
	v_min_i32_e32 v10, 4, v27
	s_mov_b32 s18, 0
	s_mov_b32 s38, 0
	;; [unrolled: 1-line block ×3, first 2 shown]
	s_mov_b32 s37, exec_lo
                                        ; implicit-def: $sgpr19
                                        ; implicit-def: $sgpr35
                                        ; implicit-def: $sgpr36
	v_cmpx_lt_i32_e32 2, v10
	s_xor_b32 s37, exec_lo, s37
	s_cbranch_execz .LBB68_47
; %bb.36:                               ;   in Loop: Header=BB68_3 Depth=1
	s_mov_b32 s3, -1
	s_mov_b32 s40, 0
	s_mov_b32 s35, exec_lo
                                        ; implicit-def: $sgpr19
                                        ; implicit-def: $sgpr39
	v_cmpx_lt_i32_e32 3, v10
	s_cbranch_execz .LBB68_42
; %bb.37:                               ;   in Loop: Header=BB68_3 Depth=1
	s_mov_b32 s3, 0
	s_mov_b32 s40, -1
	s_mov_b32 s36, exec_lo
                                        ; implicit-def: $sgpr19
                                        ; implicit-def: $sgpr39
	v_cmpx_eq_u32_e32 4, v10
	s_cbranch_execz .LBB68_41
; %bb.38:                               ;   in Loop: Header=BB68_3 Depth=1
	v_cmp_le_f32_e32 vcc_lo, 0, v3
	v_cmp_ge_f32_e64 s3, 1.0, v3
	s_mov_b32 s19, 0
	s_delay_alu instid0(VALU_DEP_1)
	s_and_b32 s40, vcc_lo, s3
	s_mov_b32 s3, 0
	s_and_saveexec_b32 s39, s40
	s_cbranch_execz .LBB68_40
; %bb.39:                               ;   in Loop: Header=BB68_3 Depth=1
	v_cvt_f32_u32_e32 v11, v12
	v_lshlrev_b64 v[7:8], 3, v[7:8]
	s_mov_b32 s3, exec_lo
	s_delay_alu instid0(VALU_DEP_2) | instskip(NEXT) | instid1(VALU_DEP_2)
	v_fmaak_f32 v11, 0x2f800000, v11, 0x2f800000
	v_add_co_u32 v7, vcc_lo, s10, v7
	s_delay_alu instid0(VALU_DEP_3) | instskip(NEXT) | instid1(VALU_DEP_3)
	v_add_co_ci_u32_e32 v8, vcc_lo, s11, v8, vcc_lo
	v_cmp_le_f32_e32 vcc_lo, v11, v3
	v_mov_b32_e32 v11, v4
	v_cndmask_b32_e64 v12, 0, 0x3ff00000, vcc_lo
	global_store_b64 v[7:8], v[11:12], off
.LBB68_40:                              ;   in Loop: Header=BB68_3 Depth=1
	s_or_b32 exec_lo, exec_lo, s39
	s_mov_b32 s39, -1
	s_xor_b32 s40, exec_lo, -1
	s_and_b32 s3, s3, exec_lo
.LBB68_41:                              ;   in Loop: Header=BB68_3 Depth=1
	s_or_b32 exec_lo, exec_lo, s36
	s_delay_alu instid0(SALU_CYCLE_1)
	s_and_b32 s40, s40, exec_lo
	s_or_not1_b32 s3, s3, exec_lo
.LBB68_42:                              ;   in Loop: Header=BB68_3 Depth=1
	s_or_b32 exec_lo, exec_lo, s35
	s_mov_b32 s36, s19
	s_and_saveexec_b32 s35, s3
	s_cbranch_execz .LBB68_46
; %bb.43:                               ;   in Loop: Header=BB68_3 Depth=1
	v_cmp_le_f32_e32 vcc_lo, 0, v31
	v_cmp_ge_f32_e64 s3, 1.0, v31
	s_delay_alu instid0(VALU_DEP_1) | instskip(SKIP_2) | instid1(SALU_CYCLE_1)
	s_and_b32 s36, vcc_lo, s3
	s_mov_b32 s3, 0
	s_and_saveexec_b32 s38, s36
	s_xor_b32 s36, exec_lo, s38
	s_cbranch_execz .LBB68_45
; %bb.44:                               ;   in Loop: Header=BB68_3 Depth=1
	v_cvt_f32_u32_e32 v7, v9
	v_cndmask_b32_e64 v3, 0, v29, s2
	s_mov_b32 s3, exec_lo
	s_delay_alu instid0(VALU_DEP_2) | instskip(NEXT) | instid1(VALU_DEP_2)
	v_fmaak_f32 v9, 0x2f800000, v7, 0x2f800000
	v_lshlrev_b64 v[7:8], 3, v[3:4]
	s_delay_alu instid0(VALU_DEP_2) | instskip(SKIP_1) | instid1(VALU_DEP_3)
	v_cmp_le_f32_e32 vcc_lo, v9, v31
	v_cndmask_b32_e64 v9, 0, 0x3ff00000, vcc_lo
	v_add_co_u32 v11, vcc_lo, s10, v7
	s_delay_alu instid0(VALU_DEP_4)
	v_add_co_ci_u32_e32 v12, vcc_lo, s11, v8, vcc_lo
	v_mov_b32_e32 v8, v4
	global_store_b64 v[11:12], v[8:9], off
.LBB68_45:                              ;   in Loop: Header=BB68_3 Depth=1
	s_or_b32 exec_lo, exec_lo, s36
	s_delay_alu instid0(SALU_CYCLE_1)
	s_and_not1_b32 s36, s19, exec_lo
	s_or_b32 s19, s19, exec_lo
	s_and_not1_b32 s39, s39, exec_lo
	s_and_b32 s38, s3, exec_lo
.LBB68_46:                              ;   in Loop: Header=BB68_3 Depth=1
	s_or_b32 exec_lo, exec_lo, s35
	s_delay_alu instid0(SALU_CYCLE_1)
	s_and_b32 s36, s36, exec_lo
	s_and_b32 s35, s19, exec_lo
	;; [unrolled: 1-line block ×5, first 2 shown]
.LBB68_47:                              ;   in Loop: Header=BB68_3 Depth=1
	s_and_not1_saveexec_b32 s2, s37
; %bb.48:                               ;   in Loop: Header=BB68_3 Depth=1
	v_cmp_lt_i32_e32 vcc_lo, 1, v10
	s_and_not1_b32 s37, s38, exec_lo
	s_mov_b32 s18, exec_lo
	s_and_not1_b32 s36, s36, exec_lo
	s_and_not1_b32 s35, s35, exec_lo
	s_and_b32 s38, vcc_lo, exec_lo
	s_and_not1_b32 s19, s19, exec_lo
	s_or_b32 s38, s37, s38
; %bb.49:                               ;   in Loop: Header=BB68_3 Depth=1
	s_or_b32 exec_lo, exec_lo, s2
	s_mov_b32 s37, 0
	s_mov_b32 s2, s36
	s_and_saveexec_b32 s39, s38
	s_cbranch_execnz .LBB68_52
; %bb.50:                               ;   in Loop: Header=BB68_3 Depth=1
	s_or_b32 exec_lo, exec_lo, s39
	s_and_saveexec_b32 s1, s18
	s_cbranch_execnz .LBB68_55
.LBB68_51:                              ;   in Loop: Header=BB68_3 Depth=1
	s_or_b32 exec_lo, exec_lo, s1
	s_and_saveexec_b32 s18, s37
	s_cbranch_execnz .LBB68_56
	s_branch .LBB68_59
.LBB68_52:                              ;   in Loop: Header=BB68_3 Depth=1
	v_cmp_le_f32_e32 vcc_lo, 0, v30
	v_cmp_ge_f32_e64 s2, 1.0, v30
	s_delay_alu instid0(VALU_DEP_1) | instskip(NEXT) | instid1(SALU_CYCLE_1)
	s_and_b32 s2, vcc_lo, s2
	s_and_saveexec_b32 s38, s2
	s_delay_alu instid0(SALU_CYCLE_1)
	s_xor_b32 s2, exec_lo, s38
	s_cbranch_execz .LBB68_54
; %bb.53:                               ;   in Loop: Header=BB68_3 Depth=1
	v_cvt_f32_u32_e32 v6, v6
	v_cndmask_b32_e64 v3, 0, v28, s1
	s_mov_b32 s37, exec_lo
	s_delay_alu instid0(VALU_DEP_2) | instskip(NEXT) | instid1(VALU_DEP_2)
	v_fmaak_f32 v8, 0x2f800000, v6, 0x2f800000
	v_lshlrev_b64 v[6:7], 3, v[3:4]
	s_delay_alu instid0(VALU_DEP_2) | instskip(SKIP_1) | instid1(VALU_DEP_3)
	v_cmp_le_f32_e32 vcc_lo, v8, v30
	v_cndmask_b32_e64 v8, 0, 0x3ff00000, vcc_lo
	v_add_co_u32 v11, vcc_lo, s10, v6
	s_delay_alu instid0(VALU_DEP_4)
	v_add_co_ci_u32_e32 v12, vcc_lo, s11, v7, vcc_lo
	v_mov_b32_e32 v7, v4
	global_store_b64 v[11:12], v[7:8], off
.LBB68_54:                              ;   in Loop: Header=BB68_3 Depth=1
	s_or_b32 exec_lo, exec_lo, s2
	s_delay_alu instid0(SALU_CYCLE_1)
	s_and_not1_b32 s2, s36, exec_lo
	s_or_b32 s36, s36, exec_lo
	s_and_not1_b32 s35, s35, exec_lo
	s_and_not1_b32 s19, s19, exec_lo
	s_and_b32 s37, s37, exec_lo
	s_and_not1_b32 s18, s18, exec_lo
	s_or_b32 exec_lo, exec_lo, s39
	s_and_saveexec_b32 s1, s18
	s_cbranch_execz .LBB68_51
.LBB68_55:                              ;   in Loop: Header=BB68_3 Depth=1
	v_cmp_eq_u32_e32 vcc_lo, 1, v10
	s_and_not1_b32 s18, s37, exec_lo
	s_and_not1_b32 s2, s2, exec_lo
	;; [unrolled: 1-line block ×4, first 2 shown]
	s_and_b32 s37, vcc_lo, exec_lo
	s_and_not1_b32 s19, s19, exec_lo
	s_or_b32 s3, s3, exec_lo
	s_or_b32 s37, s18, s37
	s_or_b32 exec_lo, exec_lo, s1
	s_and_saveexec_b32 s18, s37
	s_cbranch_execz .LBB68_59
.LBB68_56:                              ;   in Loop: Header=BB68_3 Depth=1
	v_cmp_le_f32_e32 vcc_lo, 0, v0
	v_cmp_ge_f32_e64 s1, 1.0, v0
	s_delay_alu instid0(VALU_DEP_1)
	s_and_b32 s38, vcc_lo, s1
	s_mov_b32 s1, 0
	s_and_saveexec_b32 s37, s38
	s_cbranch_execz .LBB68_58
; %bb.57:                               ;   in Loop: Header=BB68_3 Depth=1
	v_cvt_f32_u32_e32 v5, v5
	v_cndmask_b32_e64 v3, 0, v26, s0
	s_mov_b32 s1, exec_lo
	s_delay_alu instid0(VALU_DEP_2) | instskip(NEXT) | instid1(VALU_DEP_2)
	v_fmaak_f32 v7, 0x2f800000, v5, 0x2f800000
	v_lshlrev_b64 v[5:6], 3, v[3:4]
	s_delay_alu instid0(VALU_DEP_2) | instskip(SKIP_1) | instid1(VALU_DEP_3)
	v_cmp_le_f32_e32 vcc_lo, v7, v0
	v_cndmask_b32_e64 v7, 0, 0x3ff00000, vcc_lo
	v_add_co_u32 v8, vcc_lo, s10, v5
	s_delay_alu instid0(VALU_DEP_4)
	v_add_co_ci_u32_e32 v9, vcc_lo, s11, v6, vcc_lo
	v_mov_b32_e32 v6, v4
	global_store_b64 v[8:9], v[6:7], off
.LBB68_58:                              ;   in Loop: Header=BB68_3 Depth=1
	s_or_b32 exec_lo, exec_lo, s37
	s_delay_alu instid0(SALU_CYCLE_1)
	s_and_not1_b32 s0, s3, exec_lo
	s_and_b32 s1, s1, exec_lo
	s_or_b32 s2, s2, exec_lo
	s_and_not1_b32 s36, s36, exec_lo
	s_and_not1_b32 s35, s35, exec_lo
	;; [unrolled: 1-line block ×3, first 2 shown]
	s_or_b32 s3, s0, s1
.LBB68_59:                              ;   in Loop: Header=BB68_3 Depth=1
	s_or_b32 exec_lo, exec_lo, s18
	s_delay_alu instid0(SALU_CYCLE_1)
	s_and_not1_b32 s1, s34, exec_lo
	s_and_b32 s2, s2, exec_lo
	s_and_not1_b32 s18, s31, exec_lo
	s_and_b32 s31, s36, exec_lo
	s_or_b32 s34, s1, s2
	s_or_b32 s31, s18, s31
	s_and_not1_b32 s1, s33, exec_lo
	s_and_b32 s2, s35, exec_lo
	s_and_not1_b32 s18, s30, exec_lo
	s_and_b32 s19, s19, exec_lo
	s_mov_b32 s0, -1
	s_or_b32 s33, s1, s2
	s_or_b32 s30, s18, s19
	s_and_saveexec_b32 s1, s3
	s_cbranch_execz .LBB68_2
; %bb.60:                               ;   in Loop: Header=BB68_3 Depth=1
	v_add_nc_u32_e32 v24, s25, v24
	s_and_not1_b32 s34, s34, exec_lo
	s_and_not1_b32 s31, s31, exec_lo
	;; [unrolled: 1-line block ×4, first 2 shown]
	v_cmp_le_u32_e32 vcc_lo, s20, v24
	s_or_not1_b32 s0, vcc_lo, exec_lo
	s_branch .LBB68_2
.LBB68_61:
	s_or_b32 exec_lo, exec_lo, s15
	s_xor_b32 s3, s28, -1
	s_xor_b32 s4, s29, -1
	;; [unrolled: 1-line block ×3, first 2 shown]
	s_mov_b32 s1, 0
	s_and_saveexec_b32 s2, s0
	s_delay_alu instid0(SALU_CYCLE_1)
	s_xor_b32 s0, exec_lo, s2
	s_cbranch_execz .LBB68_70
; %bb.62:
	s_mov_b32 s2, 0
	s_and_saveexec_b32 s1, s4
	s_delay_alu instid0(SALU_CYCLE_1)
	s_xor_b32 s1, exec_lo, s1
	s_cbranch_execz .LBB68_68
; %bb.63:
	s_and_saveexec_b32 s4, s3
	s_delay_alu instid0(SALU_CYCLE_1)
	s_xor_b32 s3, exec_lo, s4
	s_cbranch_execz .LBB68_66
; %bb.64:
	s_and_saveexec_b32 s4, s14
	s_delay_alu instid0(SALU_CYCLE_1)
	s_xor_b32 s4, exec_lo, s4
	s_cbranch_execnz .LBB68_84
.LBB68_65:
	s_or_b32 exec_lo, exec_lo, s4
	s_delay_alu instid0(SALU_CYCLE_1)
	s_and_b32 s2, s2, exec_lo
.LBB68_66:
	s_and_not1_saveexec_b32 s3, s3
	s_cbranch_execnz .LBB68_80
.LBB68_67:
	s_or_b32 exec_lo, exec_lo, s3
	s_delay_alu instid0(SALU_CYCLE_1)
	s_and_b32 s2, s2, exec_lo
.LBB68_68:
	s_and_not1_saveexec_b32 s1, s1
	s_cbranch_execnz .LBB68_76
.LBB68_69:
	s_or_b32 exec_lo, exec_lo, s1
	s_delay_alu instid0(SALU_CYCLE_1)
	s_and_b32 s1, s2, exec_lo
.LBB68_70:
	s_and_not1_saveexec_b32 s0, s0
	s_cbranch_execnz .LBB68_74
; %bb.71:
	s_or_b32 exec_lo, exec_lo, s0
	s_delay_alu instid0(SALU_CYCLE_1)
	s_and_b32 exec_lo, exec_lo, s1
.LBB68_72:
	; divergent unreachable
.LBB68_73:
	s_nop 0
	s_sendmsg sendmsg(MSG_DEALLOC_VGPRS)
	s_endpgm
.LBB68_74:
	s_cbranch_execnz .LBB68_78
; %bb.75:
	s_or_b32 s1, s1, exec_lo
	s_or_b32 exec_lo, exec_lo, s0
	s_delay_alu instid0(SALU_CYCLE_1)
	s_and_b32 exec_lo, exec_lo, s1
	s_cbranch_execnz .LBB68_72
	s_branch .LBB68_73
.LBB68_76:
	s_cbranch_execnz .LBB68_82
; %bb.77:
	s_or_b32 s2, s2, exec_lo
	s_branch .LBB68_69
.LBB68_78:
	s_trap 2
	s_sendmsg_rtn_b32 s0, sendmsg(MSG_RTN_GET_DOORBELL)
	s_mov_b32 ttmp2, m0
	s_waitcnt lgkmcnt(0)
	s_and_b32 s0, s0, 0x3ff
	s_delay_alu instid0(SALU_CYCLE_1) | instskip(NEXT) | instid1(SALU_CYCLE_1)
	s_bitset1_b32 s0, 10
	s_mov_b32 m0, s0
	s_sendmsg sendmsg(MSG_INTERRUPT)
	s_mov_b32 m0, ttmp2
.LBB68_79:                              ; =>This Inner Loop Header: Depth=1
	s_sethalt 5
	s_branch .LBB68_79
.LBB68_80:
	s_cbranch_execnz .LBB68_86
; %bb.81:
	s_or_b32 s2, s2, exec_lo
	s_branch .LBB68_67
.LBB68_82:
	s_trap 2
	s_sendmsg_rtn_b32 s0, sendmsg(MSG_RTN_GET_DOORBELL)
	s_mov_b32 ttmp2, m0
	s_waitcnt lgkmcnt(0)
	s_and_b32 s0, s0, 0x3ff
	s_delay_alu instid0(SALU_CYCLE_1) | instskip(NEXT) | instid1(SALU_CYCLE_1)
	s_bitset1_b32 s0, 10
	s_mov_b32 m0, s0
	s_sendmsg sendmsg(MSG_INTERRUPT)
	s_mov_b32 m0, ttmp2
.LBB68_83:                              ; =>This Inner Loop Header: Depth=1
	s_sethalt 5
	s_branch .LBB68_83
.LBB68_84:
	s_cbranch_execnz .LBB68_88
; %bb.85:
	s_mov_b32 s2, exec_lo
	s_branch .LBB68_65
.LBB68_86:
	s_trap 2
	s_sendmsg_rtn_b32 s0, sendmsg(MSG_RTN_GET_DOORBELL)
	s_mov_b32 ttmp2, m0
	s_waitcnt lgkmcnt(0)
	s_and_b32 s0, s0, 0x3ff
	s_delay_alu instid0(SALU_CYCLE_1) | instskip(NEXT) | instid1(SALU_CYCLE_1)
	s_bitset1_b32 s0, 10
	s_mov_b32 m0, s0
	s_sendmsg sendmsg(MSG_INTERRUPT)
	s_mov_b32 m0, ttmp2
.LBB68_87:                              ; =>This Inner Loop Header: Depth=1
	s_sethalt 5
	s_branch .LBB68_87
.LBB68_88:
	s_trap 2
	s_sendmsg_rtn_b32 s0, sendmsg(MSG_RTN_GET_DOORBELL)
	s_mov_b32 ttmp2, m0
	s_waitcnt lgkmcnt(0)
	s_and_b32 s0, s0, 0x3ff
	s_delay_alu instid0(SALU_CYCLE_1) | instskip(NEXT) | instid1(SALU_CYCLE_1)
	s_bitset1_b32 s0, 10
	s_mov_b32 m0, s0
	s_sendmsg sendmsg(MSG_INTERRUPT)
	s_mov_b32 m0, ttmp2
.LBB68_89:                              ; =>This Inner Loop Header: Depth=1
	s_sethalt 5
	s_branch .LBB68_89
	.section	.rodata,"a",@progbits
	.p2align	6, 0x0
	.amdhsa_kernel _ZN2at4cuda12_GLOBAL__N_121kernelPointwiseApply2IZNS_6native9templates4cuda28bernoulli_tensor_cuda_kernelIdfEEvRKNS_10TensorBaseES9_NS_15PhiloxCudaStateEEUliRdSB_SB_SB_RKfSD_SD_SD_E_dSC_jLi1ELin1ELi4ELi512ELi2EEEvNS0_6detail10TensorInfoIT0_T2_EENSG_IT1_SI_EESI_T_
		.amdhsa_group_segment_fixed_size 0
		.amdhsa_private_segment_fixed_size 0
		.amdhsa_kernarg_size 728
		.amdhsa_user_sgpr_count 15
		.amdhsa_user_sgpr_dispatch_ptr 0
		.amdhsa_user_sgpr_queue_ptr 0
		.amdhsa_user_sgpr_kernarg_segment_ptr 1
		.amdhsa_user_sgpr_dispatch_id 0
		.amdhsa_user_sgpr_private_segment_size 0
		.amdhsa_wavefront_size32 1
		.amdhsa_uses_dynamic_stack 0
		.amdhsa_enable_private_segment 0
		.amdhsa_system_sgpr_workgroup_id_x 1
		.amdhsa_system_sgpr_workgroup_id_y 0
		.amdhsa_system_sgpr_workgroup_id_z 0
		.amdhsa_system_sgpr_workgroup_info 0
		.amdhsa_system_vgpr_workitem_id 0
		.amdhsa_next_free_vgpr 39
		.amdhsa_next_free_sgpr 41
		.amdhsa_reserve_vcc 1
		.amdhsa_float_round_mode_32 0
		.amdhsa_float_round_mode_16_64 0
		.amdhsa_float_denorm_mode_32 3
		.amdhsa_float_denorm_mode_16_64 3
		.amdhsa_dx10_clamp 1
		.amdhsa_ieee_mode 1
		.amdhsa_fp16_overflow 0
		.amdhsa_workgroup_processor_mode 1
		.amdhsa_memory_ordered 1
		.amdhsa_forward_progress 0
		.amdhsa_shared_vgpr_count 0
		.amdhsa_exception_fp_ieee_invalid_op 0
		.amdhsa_exception_fp_denorm_src 0
		.amdhsa_exception_fp_ieee_div_zero 0
		.amdhsa_exception_fp_ieee_overflow 0
		.amdhsa_exception_fp_ieee_underflow 0
		.amdhsa_exception_fp_ieee_inexact 0
		.amdhsa_exception_int_div_zero 0
	.end_amdhsa_kernel
	.section	.text._ZN2at4cuda12_GLOBAL__N_121kernelPointwiseApply2IZNS_6native9templates4cuda28bernoulli_tensor_cuda_kernelIdfEEvRKNS_10TensorBaseES9_NS_15PhiloxCudaStateEEUliRdSB_SB_SB_RKfSD_SD_SD_E_dSC_jLi1ELin1ELi4ELi512ELi2EEEvNS0_6detail10TensorInfoIT0_T2_EENSG_IT1_SI_EESI_T_,"axG",@progbits,_ZN2at4cuda12_GLOBAL__N_121kernelPointwiseApply2IZNS_6native9templates4cuda28bernoulli_tensor_cuda_kernelIdfEEvRKNS_10TensorBaseES9_NS_15PhiloxCudaStateEEUliRdSB_SB_SB_RKfSD_SD_SD_E_dSC_jLi1ELin1ELi4ELi512ELi2EEEvNS0_6detail10TensorInfoIT0_T2_EENSG_IT1_SI_EESI_T_,comdat
.Lfunc_end68:
	.size	_ZN2at4cuda12_GLOBAL__N_121kernelPointwiseApply2IZNS_6native9templates4cuda28bernoulli_tensor_cuda_kernelIdfEEvRKNS_10TensorBaseES9_NS_15PhiloxCudaStateEEUliRdSB_SB_SB_RKfSD_SD_SD_E_dSC_jLi1ELin1ELi4ELi512ELi2EEEvNS0_6detail10TensorInfoIT0_T2_EENSG_IT1_SI_EESI_T_, .Lfunc_end68-_ZN2at4cuda12_GLOBAL__N_121kernelPointwiseApply2IZNS_6native9templates4cuda28bernoulli_tensor_cuda_kernelIdfEEvRKNS_10TensorBaseES9_NS_15PhiloxCudaStateEEUliRdSB_SB_SB_RKfSD_SD_SD_E_dSC_jLi1ELin1ELi4ELi512ELi2EEEvNS0_6detail10TensorInfoIT0_T2_EENSG_IT1_SI_EESI_T_
                                        ; -- End function
	.section	.AMDGPU.csdata,"",@progbits
; Kernel info:
; codeLenInByte = 4304
; NumSgprs: 43
; NumVgprs: 39
; ScratchSize: 0
; MemoryBound: 0
; FloatMode: 240
; IeeeMode: 1
; LDSByteSize: 0 bytes/workgroup (compile time only)
; SGPRBlocks: 5
; VGPRBlocks: 4
; NumSGPRsForWavesPerEU: 43
; NumVGPRsForWavesPerEU: 39
; Occupancy: 16
; WaveLimiterHint : 1
; COMPUTE_PGM_RSRC2:SCRATCH_EN: 0
; COMPUTE_PGM_RSRC2:USER_SGPR: 15
; COMPUTE_PGM_RSRC2:TRAP_HANDLER: 0
; COMPUTE_PGM_RSRC2:TGID_X_EN: 1
; COMPUTE_PGM_RSRC2:TGID_Y_EN: 0
; COMPUTE_PGM_RSRC2:TGID_Z_EN: 0
; COMPUTE_PGM_RSRC2:TIDIG_COMP_CNT: 0
	.section	.text._ZN2at4cuda12_GLOBAL__N_121kernelPointwiseApply2IZNS_6native9templates4cuda28bernoulli_tensor_cuda_kernelIdfEEvRKNS_10TensorBaseES9_NS_15PhiloxCudaStateEEUliRdSB_SB_SB_RKfSD_SD_SD_E_dSC_jLi2ELi1ELi4ELi512ELi2EEEvNS0_6detail10TensorInfoIT0_T2_EENSG_IT1_SI_EESI_T_,"axG",@progbits,_ZN2at4cuda12_GLOBAL__N_121kernelPointwiseApply2IZNS_6native9templates4cuda28bernoulli_tensor_cuda_kernelIdfEEvRKNS_10TensorBaseES9_NS_15PhiloxCudaStateEEUliRdSB_SB_SB_RKfSD_SD_SD_E_dSC_jLi2ELi1ELi4ELi512ELi2EEEvNS0_6detail10TensorInfoIT0_T2_EENSG_IT1_SI_EESI_T_,comdat
	.globl	_ZN2at4cuda12_GLOBAL__N_121kernelPointwiseApply2IZNS_6native9templates4cuda28bernoulli_tensor_cuda_kernelIdfEEvRKNS_10TensorBaseES9_NS_15PhiloxCudaStateEEUliRdSB_SB_SB_RKfSD_SD_SD_E_dSC_jLi2ELi1ELi4ELi512ELi2EEEvNS0_6detail10TensorInfoIT0_T2_EENSG_IT1_SI_EESI_T_ ; -- Begin function _ZN2at4cuda12_GLOBAL__N_121kernelPointwiseApply2IZNS_6native9templates4cuda28bernoulli_tensor_cuda_kernelIdfEEvRKNS_10TensorBaseES9_NS_15PhiloxCudaStateEEUliRdSB_SB_SB_RKfSD_SD_SD_E_dSC_jLi2ELi1ELi4ELi512ELi2EEEvNS0_6detail10TensorInfoIT0_T2_EENSG_IT1_SI_EESI_T_
	.p2align	8
	.type	_ZN2at4cuda12_GLOBAL__N_121kernelPointwiseApply2IZNS_6native9templates4cuda28bernoulli_tensor_cuda_kernelIdfEEvRKNS_10TensorBaseES9_NS_15PhiloxCudaStateEEUliRdSB_SB_SB_RKfSD_SD_SD_E_dSC_jLi2ELi1ELi4ELi512ELi2EEEvNS0_6detail10TensorInfoIT0_T2_EENSG_IT1_SI_EESI_T_,@function
_ZN2at4cuda12_GLOBAL__N_121kernelPointwiseApply2IZNS_6native9templates4cuda28bernoulli_tensor_cuda_kernelIdfEEvRKNS_10TensorBaseES9_NS_15PhiloxCudaStateEEUliRdSB_SB_SB_RKfSD_SD_SD_E_dSC_jLi2ELi1ELi4ELi512ELi2EEEvNS0_6detail10TensorInfoIT0_T2_EENSG_IT1_SI_EESI_T_: ; @_ZN2at4cuda12_GLOBAL__N_121kernelPointwiseApply2IZNS_6native9templates4cuda28bernoulli_tensor_cuda_kernelIdfEEvRKNS_10TensorBaseES9_NS_15PhiloxCudaStateEEUliRdSB_SB_SB_RKfSD_SD_SD_E_dSC_jLi2ELi1ELi4ELi512ELi2EEEvNS0_6detail10TensorInfoIT0_T2_EENSG_IT1_SI_EESI_T_
; %bb.0:
	s_clause 0x1
	s_load_b32 s4, s[0:1], 0x1e4
	s_load_b32 s16, s[0:1], 0x1b0
	s_add_u32 s2, s0, 0x1d8
	s_addc_u32 s3, s1, 0
	s_waitcnt lgkmcnt(0)
	s_and_b32 s20, s4, 0xffff
	s_mov_b32 s4, exec_lo
	v_mad_u64_u32 v[1:2], null, s15, s20, v[0:1]
	s_delay_alu instid0(VALU_DEP_1) | instskip(NEXT) | instid1(VALU_DEP_1)
	v_lshlrev_b32_e32 v0, 2, v1
	v_cmpx_gt_u32_e64 s16, v0
	s_cbranch_execz .LBB69_59
; %bb.1:
	s_clause 0x4
	s_load_b32 s17, s[0:1], 0xc
	s_load_b64 s[8:9], s[0:1], 0x6c
	s_load_b64 s[10:11], s[0:1], 0xd8
	s_load_b32 s4, s[0:1], 0x1d0
	s_load_b32 s23, s[0:1], 0x144
	;; [unrolled: 1-line block ×3, first 2 shown]
	s_clause 0x1
	s_load_b64 s[12:13], s[0:1], 0x0
	s_load_b64 s[14:15], s[0:1], 0x1c8
	v_add_nc_u32_e32 v8, 3, v0
	v_sub_nc_u32_e32 v31, s16, v0
	s_mov_b32 s22, 0
	s_mov_b32 s25, 0
                                        ; implicit-def: $sgpr24
                                        ; implicit-def: $sgpr27
                                        ; implicit-def: $sgpr26
                                        ; implicit-def: $sgpr28
                                        ; implicit-def: $sgpr30
                                        ; implicit-def: $sgpr29
                                        ; implicit-def: $sgpr31
	v_add_nc_u32_e32 v7, 2, v0
	s_waitcnt lgkmcnt(0)
	v_cvt_f32_u32_e32 v2, s17
	s_bitcmp1_b32 s4, 0
	s_load_b128 s[4:7], s[0:1], 0x1b8
	s_delay_alu instid0(VALU_DEP_1)
	v_rcp_iflag_f32_e32 v2, v2
	s_cselect_b32 s18, -1, 0
	s_sub_i32 s19, 0, s17
	v_mul_lo_u32 v30, v0, s23
	v_mul_lo_u32 v34, s23, v8
	s_mul_i32 s2, s2, s20
	v_mov_b32_e32 v4, 0
	s_lshl_b32 s21, s2, 2
                                        ; implicit-def: $sgpr20
	v_mul_lo_u32 v33, s23, v7
	s_waitcnt_depctr 0xfff
	v_mul_f32_e32 v2, 0x4f7ffffe, v2
	v_add_nc_u32_e32 v35, s23, v30
	s_mul_i32 s23, s21, s23
	s_delay_alu instid0(VALU_DEP_2) | instskip(SKIP_1) | instid1(VALU_DEP_2)
	v_cvt_u32_f32_e32 v5, v2
	v_mad_u64_u32 v[2:3], null, 0xcd9e8d57, v1, 0
	v_mul_lo_u32 v6, s19, v5
	s_delay_alu instid0(VALU_DEP_2) | instskip(NEXT) | instid1(VALU_DEP_2)
	v_mov_b32_e32 v32, v3
	v_mul_hi_u32 v6, v5, v6
	s_delay_alu instid0(VALU_DEP_1)
	v_add_nc_u32_e32 v36, v5, v6
	s_branch .LBB69_3
.LBB69_2:                               ;   in Loop: Header=BB69_3 Depth=1
	s_or_b32 exec_lo, exec_lo, s1
	s_delay_alu instid0(SALU_CYCLE_1) | instskip(NEXT) | instid1(SALU_CYCLE_1)
	s_and_b32 s0, exec_lo, s0
	s_or_b32 s22, s0, s22
	s_and_not1_b32 s0, s20, exec_lo
	s_and_b32 s1, s31, exec_lo
	s_and_not1_b32 s2, s26, exec_lo
	s_and_b32 s3, s29, exec_lo
	s_or_b32 s20, s0, s1
	s_or_b32 s26, s2, s3
	s_and_not1_b32 s0, s27, exec_lo
	s_and_b32 s1, s30, exec_lo
	s_and_not1_b32 s2, s24, exec_lo
	s_and_b32 s3, s28, exec_lo
	s_or_b32 s27, s0, s1
	s_or_b32 s24, s2, s3
	s_and_not1_b32 exec_lo, exec_lo, s22
	s_cbranch_execz .LBB69_47
.LBB69_3:                               ; =>This Inner Loop Header: Depth=1
	v_mov_b32_e32 v7, 0
	v_mov_b32_e32 v8, 0
	v_cmp_lt_i32_e32 vcc_lo, 0, v31
	s_delay_alu instid0(VALU_DEP_2)
	v_dual_mov_b32 v5, v7 :: v_dual_mov_b32 v6, v8
	s_and_saveexec_b32 s1, vcc_lo
	s_cbranch_execz .LBB69_5
; %bb.4:                                ;   in Loop: Header=BB69_3 Depth=1
	v_mul_hi_u32 v3, v36, v0
	s_delay_alu instid0(VALU_DEP_1) | instskip(SKIP_2) | instid1(VALU_DEP_3)
	v_not_b32_e32 v11, v3
	v_mad_u64_u32 v[5:6], null, s19, v3, v[0:1]
	v_add_nc_u32_e32 v6, 1, v3
	v_mad_u64_u32 v[9:10], null, s17, v11, v[0:1]
	s_delay_alu instid0(VALU_DEP_3) | instskip(NEXT) | instid1(VALU_DEP_1)
	v_cmp_le_u32_e64 s0, s17, v5
	v_cndmask_b32_e64 v3, v3, v6, s0
	s_delay_alu instid0(VALU_DEP_3) | instskip(NEXT) | instid1(VALU_DEP_2)
	v_cndmask_b32_e64 v5, v5, v9, s0
	v_add_nc_u32_e32 v6, 1, v3
	s_delay_alu instid0(VALU_DEP_2) | instskip(NEXT) | instid1(VALU_DEP_1)
	v_cmp_le_u32_e64 s0, s17, v5
	v_cndmask_b32_e64 v9, v3, v6, s0
	s_delay_alu instid0(VALU_DEP_1) | instskip(NEXT) | instid1(VALU_DEP_1)
	v_mad_u64_u32 v[5:6], null, s19, v9, v[0:1]
	v_mul_lo_u32 v3, v5, s9
	s_delay_alu instid0(VALU_DEP_1)
	v_mad_u64_u32 v[5:6], null, v9, s8, v[3:4]
	v_mov_b32_e32 v6, v4
.LBB69_5:                               ;   in Loop: Header=BB69_3 Depth=1
	s_or_b32 exec_lo, exec_lo, s1
	v_cmp_lt_i32_e64 s0, 1, v31
	s_delay_alu instid0(VALU_DEP_1)
	s_and_saveexec_b32 s2, s0
	s_cbranch_execz .LBB69_7
; %bb.6:                                ;   in Loop: Header=BB69_3 Depth=1
	v_add_nc_u32_e32 v3, 1, v0
	s_delay_alu instid0(VALU_DEP_1) | instskip(NEXT) | instid1(VALU_DEP_1)
	v_mul_hi_u32 v7, v3, v36
	v_mul_lo_u32 v8, v7, s17
	v_add_nc_u32_e32 v9, 1, v7
	s_delay_alu instid0(VALU_DEP_2) | instskip(NEXT) | instid1(VALU_DEP_1)
	v_sub_nc_u32_e32 v8, v3, v8
	v_subrev_nc_u32_e32 v10, s17, v8
	v_cmp_le_u32_e64 s1, s17, v8
	s_delay_alu instid0(VALU_DEP_1) | instskip(NEXT) | instid1(VALU_DEP_3)
	v_cndmask_b32_e64 v7, v7, v9, s1
	v_cndmask_b32_e64 v8, v8, v10, s1
	s_delay_alu instid0(VALU_DEP_2) | instskip(NEXT) | instid1(VALU_DEP_2)
	v_add_nc_u32_e32 v9, 1, v7
	v_cmp_le_u32_e64 s1, s17, v8
	s_delay_alu instid0(VALU_DEP_1) | instskip(NEXT) | instid1(VALU_DEP_1)
	v_cndmask_b32_e64 v9, v7, v9, s1
	v_mul_lo_u32 v7, v9, s17
	s_delay_alu instid0(VALU_DEP_1) | instskip(NEXT) | instid1(VALU_DEP_1)
	v_sub_nc_u32_e32 v3, v3, v7
	v_mul_lo_u32 v3, v3, s9
	s_delay_alu instid0(VALU_DEP_1)
	v_mad_u64_u32 v[7:8], null, v9, s8, v[3:4]
	v_mov_b32_e32 v8, v4
.LBB69_7:                               ;   in Loop: Header=BB69_3 Depth=1
	s_or_b32 exec_lo, exec_lo, s2
	v_mov_b32_e32 v11, 0
	v_mov_b32_e32 v12, 0
	v_cmp_lt_i32_e64 s1, 2, v31
	s_delay_alu instid0(VALU_DEP_2) | instskip(NEXT) | instid1(VALU_DEP_2)
	v_dual_mov_b32 v9, v11 :: v_dual_mov_b32 v10, v12
	s_and_saveexec_b32 s3, s1
	s_cbranch_execz .LBB69_9
; %bb.8:                                ;   in Loop: Header=BB69_3 Depth=1
	v_add_nc_u32_e32 v3, 2, v0
	s_delay_alu instid0(VALU_DEP_1) | instskip(NEXT) | instid1(VALU_DEP_1)
	v_mul_hi_u32 v9, v3, v36
	v_mul_lo_u32 v10, v9, s17
	v_add_nc_u32_e32 v13, 1, v9
	s_delay_alu instid0(VALU_DEP_2) | instskip(NEXT) | instid1(VALU_DEP_1)
	v_sub_nc_u32_e32 v10, v3, v10
	v_subrev_nc_u32_e32 v14, s17, v10
	v_cmp_le_u32_e64 s2, s17, v10
	s_delay_alu instid0(VALU_DEP_1) | instskip(NEXT) | instid1(VALU_DEP_3)
	v_cndmask_b32_e64 v9, v9, v13, s2
	v_cndmask_b32_e64 v10, v10, v14, s2
	s_delay_alu instid0(VALU_DEP_2) | instskip(NEXT) | instid1(VALU_DEP_2)
	v_add_nc_u32_e32 v13, 1, v9
	v_cmp_le_u32_e64 s2, s17, v10
	s_delay_alu instid0(VALU_DEP_1) | instskip(NEXT) | instid1(VALU_DEP_1)
	v_cndmask_b32_e64 v13, v9, v13, s2
	v_mul_lo_u32 v9, v13, s17
	s_delay_alu instid0(VALU_DEP_1) | instskip(NEXT) | instid1(VALU_DEP_1)
	v_sub_nc_u32_e32 v3, v3, v9
	v_mul_lo_u32 v3, v3, s9
	s_delay_alu instid0(VALU_DEP_1)
	v_mad_u64_u32 v[9:10], null, v13, s8, v[3:4]
	v_mov_b32_e32 v10, v4
.LBB69_9:                               ;   in Loop: Header=BB69_3 Depth=1
	s_or_b32 exec_lo, exec_lo, s3
	v_cmp_lt_i32_e64 s2, 3, v31
	s_delay_alu instid0(VALU_DEP_1)
	s_and_saveexec_b32 s33, s2
	s_cbranch_execz .LBB69_11
; %bb.10:                               ;   in Loop: Header=BB69_3 Depth=1
	v_add_nc_u32_e32 v3, 3, v0
	s_delay_alu instid0(VALU_DEP_1) | instskip(NEXT) | instid1(VALU_DEP_1)
	v_mul_hi_u32 v11, v3, v36
	v_mul_lo_u32 v12, v11, s17
	v_add_nc_u32_e32 v13, 1, v11
	s_delay_alu instid0(VALU_DEP_2) | instskip(NEXT) | instid1(VALU_DEP_1)
	v_sub_nc_u32_e32 v12, v3, v12
	v_subrev_nc_u32_e32 v14, s17, v12
	v_cmp_le_u32_e64 s3, s17, v12
	s_delay_alu instid0(VALU_DEP_1) | instskip(NEXT) | instid1(VALU_DEP_3)
	v_cndmask_b32_e64 v11, v11, v13, s3
	v_cndmask_b32_e64 v12, v12, v14, s3
	s_delay_alu instid0(VALU_DEP_2) | instskip(NEXT) | instid1(VALU_DEP_2)
	v_add_nc_u32_e32 v13, 1, v11
	v_cmp_le_u32_e64 s3, s17, v12
	s_delay_alu instid0(VALU_DEP_1) | instskip(NEXT) | instid1(VALU_DEP_1)
	v_cndmask_b32_e64 v13, v11, v13, s3
	v_mul_lo_u32 v11, v13, s17
	s_delay_alu instid0(VALU_DEP_1) | instskip(NEXT) | instid1(VALU_DEP_1)
	v_sub_nc_u32_e32 v3, v3, v11
	v_mul_lo_u32 v3, v3, s9
	s_delay_alu instid0(VALU_DEP_1)
	v_mad_u64_u32 v[11:12], null, v13, s8, v[3:4]
	v_mov_b32_e32 v12, v4
.LBB69_11:                              ;   in Loop: Header=BB69_3 Depth=1
	s_or_b32 exec_lo, exec_lo, s33
	v_add_nc_u32_e32 v3, s25, v30
	v_add_nc_u32_e32 v15, s25, v35
	;; [unrolled: 1-line block ×4, first 2 shown]
	s_delay_alu instid0(VALU_DEP_4) | instskip(NEXT) | instid1(VALU_DEP_1)
	v_cndmask_b32_e32 v3, 0, v3, vcc_lo
	v_lshlrev_b64 v[13:14], 2, v[3:4]
	v_cndmask_b32_e64 v3, 0, v15, s0
	s_delay_alu instid0(VALU_DEP_1) | instskip(SKIP_1) | instid1(VALU_DEP_4)
	v_lshlrev_b64 v[15:16], 2, v[3:4]
	v_cndmask_b32_e64 v3, 0, v17, s1
	v_add_co_u32 v13, vcc_lo, s10, v13
	v_add_co_ci_u32_e32 v14, vcc_lo, s11, v14, vcc_lo
	s_delay_alu instid0(VALU_DEP_3) | instskip(SKIP_3) | instid1(VALU_DEP_3)
	v_lshlrev_b64 v[17:18], 2, v[3:4]
	v_cndmask_b32_e64 v3, 0, v19, s2
	v_add_co_u32 v15, vcc_lo, s10, v15
	v_add_co_ci_u32_e32 v16, vcc_lo, s11, v16, vcc_lo
	v_lshlrev_b64 v[19:20], 2, v[3:4]
	v_add_co_u32 v17, vcc_lo, s10, v17
	v_add_co_ci_u32_e32 v18, vcc_lo, s11, v18, vcc_lo
	s_delay_alu instid0(VALU_DEP_3) | instskip(NEXT) | instid1(VALU_DEP_4)
	v_add_co_u32 v19, vcc_lo, s10, v19
	v_add_co_ci_u32_e32 v20, vcc_lo, s11, v20, vcc_lo
	s_clause 0x3
	global_load_b32 v3, v[13:14], off
	global_load_b32 v37, v[15:16], off
	;; [unrolled: 1-line block ×4, first 2 shown]
	s_waitcnt lgkmcnt(0)
	v_mov_b32_e32 v20, s5
	v_dual_mov_b32 v18, s7 :: v_dual_mov_b32 v17, s6
	v_mov_b32_e32 v19, s4
	s_and_not1_b32 vcc_lo, exec_lo, s18
	s_cbranch_vccnz .LBB69_13
; %bb.12:                               ;   in Loop: Header=BB69_3 Depth=1
	v_dual_mov_b32 v14, s7 :: v_dual_mov_b32 v13, s6
	v_dual_mov_b32 v16, s5 :: v_dual_mov_b32 v15, s4
	flat_load_b64 v[13:14], v[13:14]
	flat_load_b64 v[19:20], v[15:16]
	s_waitcnt vmcnt(1) lgkmcnt(1)
	v_add_co_u32 v17, vcc_lo, v13, s14
	v_add_co_ci_u32_e32 v18, vcc_lo, s15, v14, vcc_lo
.LBB69_13:                              ;   in Loop: Header=BB69_3 Depth=1
	s_delay_alu instid0(VALU_DEP_1)
	v_alignbit_b32 v16, v18, v17, 2
	v_lshrrev_b32_e32 v15, 2, v18
	s_waitcnt vmcnt(0) lgkmcnt(0)
	v_add_nc_u32_e32 v41, 0xbb67ae85, v20
	v_add_nc_u32_e32 v42, 0x76cf5d0a, v20
	;; [unrolled: 1-line block ×3, first 2 shown]
	v_add_co_u32 v18, vcc_lo, v16, 1
	s_delay_alu instid0(VALU_DEP_1) | instskip(SKIP_4) | instid1(VALU_DEP_4)
	v_cndmask_b32_e64 v13, 0, 1, vcc_lo
	v_add_co_ci_u32_e32 v27, vcc_lo, 0, v15, vcc_lo
	v_xor3_b32 v23, v32, v19, v15
	v_add_nc_u32_e32 v44, 0x32370b8f, v20
	v_add_nc_u32_e32 v45, 0xed9eba14, v20
	v_cmp_eq_u32_e32 vcc_lo, 0, v27
	v_add_nc_u32_e32 v46, 0x1715609d, v19
	v_add_nc_u32_e32 v47, 0xa9066899, v20
	s_mov_b32 s0, exec_lo
	v_dual_cndmask_b32 v21, 0, v13 :: v_dual_add_nc_u32 v40, 0x9e3779b9, v19
	v_mad_u64_u32 v[13:14], null, 0xd2511f53, v18, 0
	s_delay_alu instid0(VALU_DEP_2) | instskip(NEXT) | instid1(VALU_DEP_2)
	v_add_nc_u32_e32 v18, v21, v1
	v_xor_b32_e32 v22, v14, v20
	s_delay_alu instid0(VALU_DEP_2) | instskip(SKIP_2) | instid1(VALU_DEP_1)
	v_cmp_eq_u32_e32 vcc_lo, 0, v18
	v_mad_u64_u32 v[14:15], null, 0xd2511f53, v16, 0
	v_cndmask_b32_e32 v21, 0, v21, vcc_lo
	v_xor_b32_e32 v16, v21, v22
	v_mad_u64_u32 v[21:22], null, 0xd2511f53, v23, 0
	v_mad_u64_u32 v[23:24], null, 0xcd9e8d57, v18, 0
	v_add_nc_u32_e32 v18, 0x3c6ef372, v19
	s_delay_alu instid0(VALU_DEP_4) | instskip(SKIP_2) | instid1(VALU_DEP_2)
	v_mad_u64_u32 v[25:26], null, 0xcd9e8d57, v16, 0
	v_xor_b32_e32 v16, v15, v20
	v_xor3_b32 v28, v41, v22, v14
	v_mad_u64_u32 v[14:15], null, 0xcd9e8d57, v16, 0
	v_xor3_b32 v16, v24, v19, v27
	v_xor3_b32 v24, v40, v26, v23
	s_delay_alu instid0(VALU_DEP_4) | instskip(NEXT) | instid1(VALU_DEP_3)
	v_mad_u64_u32 v[22:23], null, 0xcd9e8d57, v28, 0
	v_mad_u64_u32 v[26:27], null, 0xd2511f53, v16, 0
	s_delay_alu instid0(VALU_DEP_3) | instskip(SKIP_1) | instid1(VALU_DEP_4)
	v_mad_u64_u32 v[28:29], null, 0xd2511f53, v24, 0
	v_xor3_b32 v16, v2, v15, v40
	v_xor3_b32 v40, v18, v23, v14
	s_delay_alu instid0(VALU_DEP_4) | instskip(NEXT) | instid1(VALU_DEP_3)
	v_xor3_b32 v13, v41, v27, v13
	v_mad_u64_u32 v[14:15], null, 0xd2511f53, v16, 0
	v_xor3_b32 v16, v42, v29, v26
	s_delay_alu instid0(VALU_DEP_4) | instskip(NEXT) | instid1(VALU_DEP_4)
	v_mad_u64_u32 v[23:24], null, 0xd2511f53, v40, 0
	v_mad_u64_u32 v[26:27], null, 0xcd9e8d57, v13, 0
	s_delay_alu instid0(VALU_DEP_3) | instskip(SKIP_4) | instid1(VALU_DEP_4)
	v_mad_u64_u32 v[40:41], null, 0xcd9e8d57, v16, 0
	v_xor3_b32 v15, v42, v15, v21
	v_add_nc_u32_e32 v29, 0x78dde6e4, v19
	v_xor3_b32 v21, v44, v24, v14
	v_xor3_b32 v18, v18, v27, v25
	v_mad_u64_u32 v[13:14], null, 0xcd9e8d57, v15, 0
	v_xor3_b32 v41, v43, v41, v26
	s_delay_alu instid0(VALU_DEP_4) | instskip(NEXT) | instid1(VALU_DEP_4)
	v_mad_u64_u32 v[15:16], null, 0xcd9e8d57, v21, 0
	v_mad_u64_u32 v[24:25], null, 0xd2511f53, v18, 0
	s_delay_alu instid0(VALU_DEP_3) | instskip(SKIP_1) | instid1(VALU_DEP_4)
	v_mad_u64_u32 v[26:27], null, 0xd2511f53, v41, 0
	v_xor3_b32 v18, v43, v14, v22
	v_xor3_b32 v16, v29, v16, v13
	s_delay_alu instid0(VALU_DEP_2) | instskip(SKIP_2) | instid1(VALU_DEP_4)
	v_mad_u64_u32 v[13:14], null, 0xd2511f53, v18, 0
	v_xor3_b32 v18, v44, v25, v28
	v_xor3_b32 v24, v45, v27, v24
	v_mad_u64_u32 v[27:28], null, 0xd2511f53, v16, 0
	s_delay_alu instid0(VALU_DEP_3) | instskip(NEXT) | instid1(VALU_DEP_3)
	v_mad_u64_u32 v[21:22], null, 0xcd9e8d57, v18, 0
	v_mad_u64_u32 v[41:42], null, 0xcd9e8d57, v24, 0
	v_xor3_b32 v16, v45, v14, v23
	s_delay_alu instid0(VALU_DEP_4) | instskip(SKIP_2) | instid1(VALU_DEP_4)
	v_xor3_b32 v24, v47, v28, v13
	v_add_nc_u32_e32 v18, 0xb54cda56, v19
	v_add_nc_u32_e32 v23, 0x646e171e, v20
	v_mad_u64_u32 v[13:14], null, 0xcd9e8d57, v16, 0
	v_xor3_b32 v16, v29, v22, v40
	v_xor3_b32 v25, v46, v42, v21
	v_mad_u64_u32 v[42:43], null, 0xcd9e8d57, v24, 0
	v_add_nc_u32_e32 v29, 0x5384540f, v19
	s_delay_alu instid0(VALU_DEP_4) | instskip(NEXT) | instid1(VALU_DEP_4)
	v_mad_u64_u32 v[21:22], null, 0xd2511f53, v16, 0
	v_mad_u64_u32 v[44:45], null, 0xd2511f53, v25, 0
	v_xor3_b32 v15, v46, v14, v15
	v_xor3_b32 v16, v18, v43, v13
	v_add_nc_u32_e32 v46, 0x1fd5c5a3, v20
	v_add_co_u32 v40, null, 0xf1bbcdc8, v19
	v_xor3_b32 v24, v47, v22, v26
	v_xor3_b32 v26, v23, v45, v21
	v_mad_u64_u32 v[13:14], null, 0xd2511f53, v15, 0
	v_mad_u64_u32 v[21:22], null, 0xd2511f53, v16, 0
	s_delay_alu instid0(VALU_DEP_4) | instskip(NEXT) | instid1(VALU_DEP_4)
	v_mad_u64_u32 v[15:16], null, 0xcd9e8d57, v24, 0
	v_mad_u64_u32 v[24:25], null, 0xcd9e8d57, v26, 0
	s_delay_alu instid0(VALU_DEP_4) | instskip(NEXT) | instid1(VALU_DEP_4)
	v_xor3_b32 v23, v23, v14, v27
	v_xor3_b32 v26, v46, v22, v13
	s_delay_alu instid0(VALU_DEP_4) | instskip(NEXT) | instid1(VALU_DEP_3)
	v_xor3_b32 v18, v18, v16, v41
	v_mad_u64_u32 v[13:14], null, 0xcd9e8d57, v23, 0
	v_xor3_b32 v25, v29, v25, v15
	s_delay_alu instid0(VALU_DEP_4) | instskip(NEXT) | instid1(VALU_DEP_4)
	v_mad_u64_u32 v[22:23], null, 0xcd9e8d57, v26, 0
	v_mad_u64_u32 v[15:16], null, 0xd2511f53, v18, 0
	s_delay_alu instid0(VALU_DEP_3)
	v_mad_u64_u32 v[27:28], null, 0xd2511f53, v25, 0
	v_add_nc_u32_e32 v41, 0xdb3d7428, v20
	v_xor3_b32 v14, v29, v14, v42
	v_xor3_b32 v18, v40, v23, v13
	v_add_nc_u32_e32 v42, 0x96a522ad, v20
	v_xor3_b32 v16, v46, v16, v44
	v_and_b32_e32 v20, 3, v17
	v_xor3_b32 v23, v41, v28, v15
	v_mad_u64_u32 v[25:26], null, 0xd2511f53, v14, 0
	v_mad_u64_u32 v[13:14], null, 0xd2511f53, v18, 0
	;; [unrolled: 1-line block ×3, first 2 shown]
	s_delay_alu instid0(VALU_DEP_4) | instskip(SKIP_1) | instid1(VALU_DEP_4)
	v_mad_u64_u32 v[15:16], null, 0xcd9e8d57, v23, 0
	v_add_nc_u32_e32 v23, 0x8ff34781, v19
                                        ; implicit-def: $vgpr18
	v_xor3_b32 v19, v14, v25, v42
	s_delay_alu instid0(VALU_DEP_2)
	v_xor3_b32 v14, v16, v28, v23
	v_cmpx_lt_i32_e32 1, v20
	s_xor_b32 s0, exec_lo, s0
	s_cbranch_execz .LBB69_19
; %bb.14:                               ;   in Loop: Header=BB69_3 Depth=1
	s_mov_b32 s1, exec_lo
                                        ; implicit-def: $vgpr18
	v_cmpx_lt_i32_e32 2, v20
	s_xor_b32 s1, exec_lo, s1
; %bb.15:                               ;   in Loop: Header=BB69_3 Depth=1
	v_xor3_b32 v16, v40, v29, v24
                                        ; implicit-def: $vgpr19
	s_delay_alu instid0(VALU_DEP_1) | instskip(NEXT) | instid1(VALU_DEP_1)
	v_mul_hi_u32 v16, 0xd2511f53, v16
	v_xor3_b32 v18, v16, v27, v42
; %bb.16:                               ;   in Loop: Header=BB69_3 Depth=1
	s_and_not1_saveexec_b32 s1, s1
; %bb.17:                               ;   in Loop: Header=BB69_3 Depth=1
	v_dual_mov_b32 v18, v15 :: v_dual_mov_b32 v15, v14
	v_dual_mov_b32 v14, v13 :: v_dual_mov_b32 v13, v19
; %bb.18:                               ;   in Loop: Header=BB69_3 Depth=1
	s_or_b32 exec_lo, exec_lo, s1
                                        ; implicit-def: $vgpr21_vgpr22
                                        ; implicit-def: $vgpr20
                                        ; implicit-def: $vgpr19
                                        ; implicit-def: $vgpr41
                                        ; implicit-def: $vgpr25_vgpr26
                                        ; implicit-def: $vgpr22_vgpr23
                                        ; implicit-def: $vgpr23
.LBB69_19:                              ;   in Loop: Header=BB69_3 Depth=1
	s_and_not1_saveexec_b32 s0, s0
	s_cbranch_execz .LBB69_23
; %bb.20:                               ;   in Loop: Header=BB69_3 Depth=1
	v_xor3_b32 v15, v41, v26, v21
	v_cmp_eq_u32_e32 vcc_lo, 1, v20
	v_mov_b32_e32 v18, v13
	s_delay_alu instid0(VALU_DEP_3) | instskip(SKIP_1) | instid1(VALU_DEP_2)
	v_mad_u64_u32 v[16:17], null, 0xcd9e8d57, v15, 0
	v_mov_b32_e32 v15, v19
	v_xor3_b32 v20, v17, v22, v23
	s_delay_alu instid0(VALU_DEP_3)
	v_mov_b32_e32 v17, v16
	s_and_saveexec_b32 s1, vcc_lo
; %bb.21:                               ;   in Loop: Header=BB69_3 Depth=1
	v_dual_mov_b32 v18, v14 :: v_dual_mov_b32 v15, v13
	v_dual_mov_b32 v17, v19 :: v_dual_mov_b32 v20, v16
; %bb.22:                               ;   in Loop: Header=BB69_3 Depth=1
	s_or_b32 exec_lo, exec_lo, s1
	s_delay_alu instid0(VALU_DEP_1)
	v_dual_mov_b32 v13, v20 :: v_dual_mov_b32 v14, v17
.LBB69_23:                              ;   in Loop: Header=BB69_3 Depth=1
	s_or_b32 exec_lo, exec_lo, s0
	v_min_i32_e32 v16, 4, v31
	s_mov_b32 s1, 0
	s_mov_b32 s36, 0
                                        ; implicit-def: $sgpr2
                                        ; implicit-def: $sgpr3
                                        ; implicit-def: $sgpr33
	s_mov_b32 s0, exec_lo
	s_delay_alu instid0(VALU_DEP_1)
	v_cmpx_lt_i32_e32 2, v16
	s_xor_b32 s34, exec_lo, s0
	s_cbranch_execz .LBB69_33
; %bb.24:                               ;   in Loop: Header=BB69_3 Depth=1
	s_mov_b32 s33, -1
	s_mov_b32 s3, exec_lo
                                        ; implicit-def: $sgpr2
                                        ; implicit-def: $sgpr35
	v_cmpx_lt_i32_e32 3, v16
	s_cbranch_execz .LBB69_28
; %bb.25:                               ;   in Loop: Header=BB69_3 Depth=1
	v_cmp_le_f32_e32 vcc_lo, 0, v39
	v_cmp_ge_f32_e64 s0, 1.0, v39
	s_mov_b32 s2, 0
	s_delay_alu instid0(VALU_DEP_1)
	s_and_b32 s35, vcc_lo, s0
	s_mov_b32 s0, 0
	s_and_saveexec_b32 s33, s35
	s_cbranch_execz .LBB69_27
; %bb.26:                               ;   in Loop: Header=BB69_3 Depth=1
	v_cvt_f32_u32_e32 v17, v18
	v_lshlrev_b64 v[11:12], 3, v[11:12]
	s_mov_b32 s0, exec_lo
	s_delay_alu instid0(VALU_DEP_2) | instskip(NEXT) | instid1(VALU_DEP_2)
	v_fmaak_f32 v17, 0x2f800000, v17, 0x2f800000
	v_add_co_u32 v11, vcc_lo, s12, v11
	s_delay_alu instid0(VALU_DEP_3) | instskip(NEXT) | instid1(VALU_DEP_3)
	v_add_co_ci_u32_e32 v12, vcc_lo, s13, v12, vcc_lo
	v_cmp_le_f32_e32 vcc_lo, v17, v39
	v_mov_b32_e32 v17, v4
	v_cndmask_b32_e64 v18, 0, 0x3ff00000, vcc_lo
	global_store_b64 v[11:12], v[17:18], off
.LBB69_27:                              ;   in Loop: Header=BB69_3 Depth=1
	s_or_b32 exec_lo, exec_lo, s33
	s_mov_b32 s35, -1
	s_or_not1_b32 s33, s0, exec_lo
.LBB69_28:                              ;   in Loop: Header=BB69_3 Depth=1
	s_or_b32 exec_lo, exec_lo, s3
	s_mov_b32 s0, 0
	s_mov_b32 s36, s2
	s_and_saveexec_b32 s3, s33
	s_cbranch_execz .LBB69_32
; %bb.29:                               ;   in Loop: Header=BB69_3 Depth=1
	v_cmp_le_f32_e32 vcc_lo, 0, v38
	v_cmp_ge_f32_e64 s0, 1.0, v38
	s_delay_alu instid0(VALU_DEP_1) | instskip(SKIP_2) | instid1(SALU_CYCLE_1)
	s_and_b32 s33, vcc_lo, s0
	s_mov_b32 s0, 0
	s_and_saveexec_b32 s36, s33
	s_xor_b32 s33, exec_lo, s36
	s_cbranch_execz .LBB69_31
; %bb.30:                               ;   in Loop: Header=BB69_3 Depth=1
	v_cvt_f32_u32_e32 v11, v15
	v_lshlrev_b64 v[9:10], 3, v[9:10]
	s_mov_b32 s0, exec_lo
	s_delay_alu instid0(VALU_DEP_2) | instskip(NEXT) | instid1(VALU_DEP_2)
	v_fmaak_f32 v11, 0x2f800000, v11, 0x2f800000
	v_add_co_u32 v9, vcc_lo, s12, v9
	s_delay_alu instid0(VALU_DEP_3) | instskip(NEXT) | instid1(VALU_DEP_3)
	v_add_co_ci_u32_e32 v10, vcc_lo, s13, v10, vcc_lo
	v_cmp_le_f32_e32 vcc_lo, v11, v38
	v_mov_b32_e32 v11, v4
	v_cndmask_b32_e64 v12, 0, 0x3ff00000, vcc_lo
	global_store_b64 v[9:10], v[11:12], off
.LBB69_31:                              ;   in Loop: Header=BB69_3 Depth=1
	s_or_b32 exec_lo, exec_lo, s33
	s_delay_alu instid0(SALU_CYCLE_1)
	s_and_not1_b32 s36, s2, exec_lo
	s_or_b32 s2, s2, exec_lo
	s_and_not1_b32 s35, s35, exec_lo
	s_and_b32 s0, s0, exec_lo
.LBB69_32:                              ;   in Loop: Header=BB69_3 Depth=1
	s_or_b32 exec_lo, exec_lo, s3
	s_delay_alu instid0(SALU_CYCLE_1)
	s_and_b32 s33, s36, exec_lo
	s_and_b32 s3, s2, exec_lo
	;; [unrolled: 1-line block ×4, first 2 shown]
.LBB69_33:                              ;   in Loop: Header=BB69_3 Depth=1
	s_and_not1_saveexec_b32 s0, s34
; %bb.34:                               ;   in Loop: Header=BB69_3 Depth=1
	v_cmp_lt_i32_e32 vcc_lo, 1, v16
	s_and_not1_b32 s34, s36, exec_lo
	s_mov_b32 s1, exec_lo
	s_and_not1_b32 s33, s33, exec_lo
	s_and_not1_b32 s3, s3, exec_lo
	s_and_b32 s35, vcc_lo, exec_lo
	s_and_not1_b32 s2, s2, exec_lo
	s_or_b32 s36, s34, s35
; %bb.35:                               ;   in Loop: Header=BB69_3 Depth=1
	s_or_b32 exec_lo, exec_lo, s0
	s_mov_b32 s34, 0
	s_mov_b32 s0, 0
	;; [unrolled: 1-line block ×3, first 2 shown]
	s_and_saveexec_b32 s37, s36
	s_cbranch_execnz .LBB69_38
; %bb.36:                               ;   in Loop: Header=BB69_3 Depth=1
	s_or_b32 exec_lo, exec_lo, s37
	s_and_saveexec_b32 s36, s1
	s_cbranch_execnz .LBB69_41
.LBB69_37:                              ;   in Loop: Header=BB69_3 Depth=1
	s_or_b32 exec_lo, exec_lo, s36
	s_and_saveexec_b32 s1, s0
	s_cbranch_execnz .LBB69_42
	s_branch .LBB69_45
.LBB69_38:                              ;   in Loop: Header=BB69_3 Depth=1
	v_cmp_le_f32_e32 vcc_lo, 0, v37
	v_cmp_ge_f32_e64 s0, 1.0, v37
	s_delay_alu instid0(VALU_DEP_1) | instskip(SKIP_2) | instid1(SALU_CYCLE_1)
	s_and_b32 s35, vcc_lo, s0
	s_mov_b32 s0, 0
	s_and_saveexec_b32 s36, s35
	s_xor_b32 s35, exec_lo, s36
	s_cbranch_execz .LBB69_40
; %bb.39:                               ;   in Loop: Header=BB69_3 Depth=1
	v_cvt_f32_u32_e32 v9, v14
	v_lshlrev_b64 v[7:8], 3, v[7:8]
	s_mov_b32 s0, exec_lo
	s_delay_alu instid0(VALU_DEP_2) | instskip(NEXT) | instid1(VALU_DEP_2)
	v_fmaak_f32 v9, 0x2f800000, v9, 0x2f800000
	v_add_co_u32 v7, vcc_lo, s12, v7
	s_delay_alu instid0(VALU_DEP_3) | instskip(NEXT) | instid1(VALU_DEP_3)
	v_add_co_ci_u32_e32 v8, vcc_lo, s13, v8, vcc_lo
	v_cmp_le_f32_e32 vcc_lo, v9, v37
	v_mov_b32_e32 v9, v4
	v_cndmask_b32_e64 v10, 0, 0x3ff00000, vcc_lo
	global_store_b64 v[7:8], v[9:10], off
.LBB69_40:                              ;   in Loop: Header=BB69_3 Depth=1
	s_or_b32 exec_lo, exec_lo, s35
	s_delay_alu instid0(SALU_CYCLE_1)
	s_and_not1_b32 s35, s33, exec_lo
	s_or_b32 s33, s33, exec_lo
	s_and_not1_b32 s3, s3, exec_lo
	s_and_not1_b32 s2, s2, exec_lo
	s_and_b32 s0, s0, exec_lo
	s_and_not1_b32 s1, s1, exec_lo
	s_or_b32 exec_lo, exec_lo, s37
	s_and_saveexec_b32 s36, s1
	s_cbranch_execz .LBB69_37
.LBB69_41:                              ;   in Loop: Header=BB69_3 Depth=1
	v_cmp_eq_u32_e32 vcc_lo, 1, v16
	s_and_not1_b32 s0, s0, exec_lo
	s_mov_b32 s34, exec_lo
	s_and_not1_b32 s35, s35, exec_lo
	s_and_not1_b32 s33, s33, exec_lo
	s_and_b32 s1, vcc_lo, exec_lo
	s_and_not1_b32 s3, s3, exec_lo
	s_and_not1_b32 s2, s2, exec_lo
	s_or_b32 s0, s0, s1
	s_or_b32 exec_lo, exec_lo, s36
	s_and_saveexec_b32 s1, s0
	s_cbranch_execz .LBB69_45
.LBB69_42:                              ;   in Loop: Header=BB69_3 Depth=1
	v_cmp_le_f32_e32 vcc_lo, 0, v3
	v_cmp_ge_f32_e64 s0, 1.0, v3
	s_delay_alu instid0(VALU_DEP_1)
	s_and_b32 s37, vcc_lo, s0
	s_mov_b32 s0, 0
	s_and_saveexec_b32 s36, s37
	s_cbranch_execz .LBB69_44
; %bb.43:                               ;   in Loop: Header=BB69_3 Depth=1
	v_cvt_f32_u32_e32 v7, v13
	v_lshlrev_b64 v[5:6], 3, v[5:6]
	s_mov_b32 s0, exec_lo
	s_delay_alu instid0(VALU_DEP_2) | instskip(NEXT) | instid1(VALU_DEP_2)
	v_fmaak_f32 v7, 0x2f800000, v7, 0x2f800000
	v_add_co_u32 v5, vcc_lo, s12, v5
	s_delay_alu instid0(VALU_DEP_3) | instskip(NEXT) | instid1(VALU_DEP_3)
	v_add_co_ci_u32_e32 v6, vcc_lo, s13, v6, vcc_lo
	v_cmp_le_f32_e32 vcc_lo, v7, v3
	v_mov_b32_e32 v7, v4
	v_cndmask_b32_e64 v8, 0, 0x3ff00000, vcc_lo
	global_store_b64 v[5:6], v[7:8], off
.LBB69_44:                              ;   in Loop: Header=BB69_3 Depth=1
	s_or_b32 exec_lo, exec_lo, s36
	s_delay_alu instid0(SALU_CYCLE_1)
	s_and_not1_b32 s34, s34, exec_lo
	s_and_b32 s0, s0, exec_lo
	s_or_b32 s35, s35, exec_lo
	s_and_not1_b32 s33, s33, exec_lo
	s_and_not1_b32 s3, s3, exec_lo
	;; [unrolled: 1-line block ×3, first 2 shown]
	s_or_b32 s34, s34, s0
.LBB69_45:                              ;   in Loop: Header=BB69_3 Depth=1
	s_or_b32 exec_lo, exec_lo, s1
	s_delay_alu instid0(SALU_CYCLE_1)
	s_and_not1_b32 s1, s31, exec_lo
	s_and_b32 s31, s35, exec_lo
	s_and_not1_b32 s29, s29, exec_lo
	s_and_b32 s33, s33, exec_lo
	s_or_b32 s31, s1, s31
	s_and_not1_b32 s1, s30, exec_lo
	s_and_b32 s3, s3, exec_lo
	s_and_not1_b32 s28, s28, exec_lo
	s_and_b32 s2, s2, exec_lo
	s_mov_b32 s0, -1
	s_or_b32 s29, s29, s33
	s_or_b32 s30, s1, s3
	;; [unrolled: 1-line block ×3, first 2 shown]
	s_and_saveexec_b32 s1, s34
	s_cbranch_execz .LBB69_2
; %bb.46:                               ;   in Loop: Header=BB69_3 Depth=1
	v_add_nc_u32_e32 v0, s21, v0
	v_subrev_nc_u32_e32 v31, s21, v31
	s_add_i32 s25, s25, s23
	s_and_not1_b32 s31, s31, exec_lo
	s_and_not1_b32 s29, s29, exec_lo
	v_cmp_le_u32_e32 vcc_lo, s16, v0
	s_and_not1_b32 s30, s30, exec_lo
	s_and_not1_b32 s28, s28, exec_lo
	s_or_not1_b32 s0, vcc_lo, exec_lo
	s_branch .LBB69_2
.LBB69_47:
	s_or_b32 exec_lo, exec_lo, s22
	s_xor_b32 s3, s26, -1
	s_xor_b32 s4, s27, -1
	s_xor_b32 s0, s24, -1
	s_mov_b32 s1, 0
	s_and_saveexec_b32 s2, s0
	s_delay_alu instid0(SALU_CYCLE_1)
	s_xor_b32 s0, exec_lo, s2
	s_cbranch_execz .LBB69_56
; %bb.48:
	s_mov_b32 s2, 0
	s_and_saveexec_b32 s1, s4
	s_delay_alu instid0(SALU_CYCLE_1)
	s_xor_b32 s1, exec_lo, s1
	s_cbranch_execz .LBB69_54
; %bb.49:
	s_and_saveexec_b32 s4, s3
	s_delay_alu instid0(SALU_CYCLE_1)
	s_xor_b32 s3, exec_lo, s4
	s_cbranch_execz .LBB69_52
; %bb.50:
	s_and_saveexec_b32 s4, s20
	s_delay_alu instid0(SALU_CYCLE_1)
	s_xor_b32 s4, exec_lo, s4
	s_cbranch_execnz .LBB69_70
.LBB69_51:
	s_or_b32 exec_lo, exec_lo, s4
	s_delay_alu instid0(SALU_CYCLE_1)
	s_and_b32 s2, s2, exec_lo
.LBB69_52:
	s_and_not1_saveexec_b32 s3, s3
	s_cbranch_execnz .LBB69_66
.LBB69_53:
	s_or_b32 exec_lo, exec_lo, s3
	s_delay_alu instid0(SALU_CYCLE_1)
	s_and_b32 s2, s2, exec_lo
.LBB69_54:
	s_and_not1_saveexec_b32 s1, s1
	s_cbranch_execnz .LBB69_62
.LBB69_55:
	s_or_b32 exec_lo, exec_lo, s1
	s_delay_alu instid0(SALU_CYCLE_1)
	s_and_b32 s1, s2, exec_lo
.LBB69_56:
	s_and_not1_saveexec_b32 s0, s0
	s_cbranch_execnz .LBB69_60
; %bb.57:
	s_or_b32 exec_lo, exec_lo, s0
	s_delay_alu instid0(SALU_CYCLE_1)
	s_and_b32 exec_lo, exec_lo, s1
.LBB69_58:
	; divergent unreachable
.LBB69_59:
	s_nop 0
	s_sendmsg sendmsg(MSG_DEALLOC_VGPRS)
	s_endpgm
.LBB69_60:
	s_cbranch_execnz .LBB69_64
; %bb.61:
	s_or_b32 s1, s1, exec_lo
	s_or_b32 exec_lo, exec_lo, s0
	s_delay_alu instid0(SALU_CYCLE_1)
	s_and_b32 exec_lo, exec_lo, s1
	s_cbranch_execnz .LBB69_58
	s_branch .LBB69_59
.LBB69_62:
	s_cbranch_execnz .LBB69_68
; %bb.63:
	s_or_b32 s2, s2, exec_lo
	s_branch .LBB69_55
.LBB69_64:
	s_trap 2
	s_sendmsg_rtn_b32 s0, sendmsg(MSG_RTN_GET_DOORBELL)
	s_mov_b32 ttmp2, m0
	s_waitcnt lgkmcnt(0)
	s_and_b32 s0, s0, 0x3ff
	s_delay_alu instid0(SALU_CYCLE_1) | instskip(NEXT) | instid1(SALU_CYCLE_1)
	s_bitset1_b32 s0, 10
	s_mov_b32 m0, s0
	s_sendmsg sendmsg(MSG_INTERRUPT)
	s_mov_b32 m0, ttmp2
.LBB69_65:                              ; =>This Inner Loop Header: Depth=1
	s_sethalt 5
	s_branch .LBB69_65
.LBB69_66:
	s_cbranch_execnz .LBB69_72
; %bb.67:
	s_or_b32 s2, s2, exec_lo
	s_branch .LBB69_53
.LBB69_68:
	s_trap 2
	s_sendmsg_rtn_b32 s0, sendmsg(MSG_RTN_GET_DOORBELL)
	s_mov_b32 ttmp2, m0
	s_waitcnt lgkmcnt(0)
	s_and_b32 s0, s0, 0x3ff
	s_delay_alu instid0(SALU_CYCLE_1) | instskip(NEXT) | instid1(SALU_CYCLE_1)
	s_bitset1_b32 s0, 10
	s_mov_b32 m0, s0
	s_sendmsg sendmsg(MSG_INTERRUPT)
	s_mov_b32 m0, ttmp2
.LBB69_69:                              ; =>This Inner Loop Header: Depth=1
	s_sethalt 5
	s_branch .LBB69_69
.LBB69_70:
	s_cbranch_execnz .LBB69_74
; %bb.71:
	s_mov_b32 s2, exec_lo
	s_branch .LBB69_51
.LBB69_72:
	s_trap 2
	s_sendmsg_rtn_b32 s0, sendmsg(MSG_RTN_GET_DOORBELL)
	s_mov_b32 ttmp2, m0
	s_waitcnt lgkmcnt(0)
	s_and_b32 s0, s0, 0x3ff
	s_delay_alu instid0(SALU_CYCLE_1) | instskip(NEXT) | instid1(SALU_CYCLE_1)
	s_bitset1_b32 s0, 10
	s_mov_b32 m0, s0
	s_sendmsg sendmsg(MSG_INTERRUPT)
	s_mov_b32 m0, ttmp2
.LBB69_73:                              ; =>This Inner Loop Header: Depth=1
	s_sethalt 5
	s_branch .LBB69_73
.LBB69_74:
	s_trap 2
	s_sendmsg_rtn_b32 s0, sendmsg(MSG_RTN_GET_DOORBELL)
	s_mov_b32 ttmp2, m0
	s_waitcnt lgkmcnt(0)
	s_and_b32 s0, s0, 0x3ff
	s_delay_alu instid0(SALU_CYCLE_1) | instskip(NEXT) | instid1(SALU_CYCLE_1)
	s_bitset1_b32 s0, 10
	s_mov_b32 m0, s0
	s_sendmsg sendmsg(MSG_INTERRUPT)
	s_mov_b32 m0, ttmp2
.LBB69_75:                              ; =>This Inner Loop Header: Depth=1
	s_sethalt 5
	s_branch .LBB69_75
	.section	.rodata,"a",@progbits
	.p2align	6, 0x0
	.amdhsa_kernel _ZN2at4cuda12_GLOBAL__N_121kernelPointwiseApply2IZNS_6native9templates4cuda28bernoulli_tensor_cuda_kernelIdfEEvRKNS_10TensorBaseES9_NS_15PhiloxCudaStateEEUliRdSB_SB_SB_RKfSD_SD_SD_E_dSC_jLi2ELi1ELi4ELi512ELi2EEEvNS0_6detail10TensorInfoIT0_T2_EENSG_IT1_SI_EESI_T_
		.amdhsa_group_segment_fixed_size 0
		.amdhsa_private_segment_fixed_size 0
		.amdhsa_kernarg_size 728
		.amdhsa_user_sgpr_count 15
		.amdhsa_user_sgpr_dispatch_ptr 0
		.amdhsa_user_sgpr_queue_ptr 0
		.amdhsa_user_sgpr_kernarg_segment_ptr 1
		.amdhsa_user_sgpr_dispatch_id 0
		.amdhsa_user_sgpr_private_segment_size 0
		.amdhsa_wavefront_size32 1
		.amdhsa_uses_dynamic_stack 0
		.amdhsa_enable_private_segment 0
		.amdhsa_system_sgpr_workgroup_id_x 1
		.amdhsa_system_sgpr_workgroup_id_y 0
		.amdhsa_system_sgpr_workgroup_id_z 0
		.amdhsa_system_sgpr_workgroup_info 0
		.amdhsa_system_vgpr_workitem_id 0
		.amdhsa_next_free_vgpr 48
		.amdhsa_next_free_sgpr 38
		.amdhsa_reserve_vcc 1
		.amdhsa_float_round_mode_32 0
		.amdhsa_float_round_mode_16_64 0
		.amdhsa_float_denorm_mode_32 3
		.amdhsa_float_denorm_mode_16_64 3
		.amdhsa_dx10_clamp 1
		.amdhsa_ieee_mode 1
		.amdhsa_fp16_overflow 0
		.amdhsa_workgroup_processor_mode 1
		.amdhsa_memory_ordered 1
		.amdhsa_forward_progress 0
		.amdhsa_shared_vgpr_count 0
		.amdhsa_exception_fp_ieee_invalid_op 0
		.amdhsa_exception_fp_denorm_src 0
		.amdhsa_exception_fp_ieee_div_zero 0
		.amdhsa_exception_fp_ieee_overflow 0
		.amdhsa_exception_fp_ieee_underflow 0
		.amdhsa_exception_fp_ieee_inexact 0
		.amdhsa_exception_int_div_zero 0
	.end_amdhsa_kernel
	.section	.text._ZN2at4cuda12_GLOBAL__N_121kernelPointwiseApply2IZNS_6native9templates4cuda28bernoulli_tensor_cuda_kernelIdfEEvRKNS_10TensorBaseES9_NS_15PhiloxCudaStateEEUliRdSB_SB_SB_RKfSD_SD_SD_E_dSC_jLi2ELi1ELi4ELi512ELi2EEEvNS0_6detail10TensorInfoIT0_T2_EENSG_IT1_SI_EESI_T_,"axG",@progbits,_ZN2at4cuda12_GLOBAL__N_121kernelPointwiseApply2IZNS_6native9templates4cuda28bernoulli_tensor_cuda_kernelIdfEEvRKNS_10TensorBaseES9_NS_15PhiloxCudaStateEEUliRdSB_SB_SB_RKfSD_SD_SD_E_dSC_jLi2ELi1ELi4ELi512ELi2EEEvNS0_6detail10TensorInfoIT0_T2_EENSG_IT1_SI_EESI_T_,comdat
.Lfunc_end69:
	.size	_ZN2at4cuda12_GLOBAL__N_121kernelPointwiseApply2IZNS_6native9templates4cuda28bernoulli_tensor_cuda_kernelIdfEEvRKNS_10TensorBaseES9_NS_15PhiloxCudaStateEEUliRdSB_SB_SB_RKfSD_SD_SD_E_dSC_jLi2ELi1ELi4ELi512ELi2EEEvNS0_6detail10TensorInfoIT0_T2_EENSG_IT1_SI_EESI_T_, .Lfunc_end69-_ZN2at4cuda12_GLOBAL__N_121kernelPointwiseApply2IZNS_6native9templates4cuda28bernoulli_tensor_cuda_kernelIdfEEvRKNS_10TensorBaseES9_NS_15PhiloxCudaStateEEUliRdSB_SB_SB_RKfSD_SD_SD_E_dSC_jLi2ELi1ELi4ELi512ELi2EEEvNS0_6detail10TensorInfoIT0_T2_EENSG_IT1_SI_EESI_T_
                                        ; -- End function
	.section	.AMDGPU.csdata,"",@progbits
; Kernel info:
; codeLenInByte = 3836
; NumSgprs: 40
; NumVgprs: 48
; ScratchSize: 0
; MemoryBound: 0
; FloatMode: 240
; IeeeMode: 1
; LDSByteSize: 0 bytes/workgroup (compile time only)
; SGPRBlocks: 4
; VGPRBlocks: 5
; NumSGPRsForWavesPerEU: 40
; NumVGPRsForWavesPerEU: 48
; Occupancy: 16
; WaveLimiterHint : 1
; COMPUTE_PGM_RSRC2:SCRATCH_EN: 0
; COMPUTE_PGM_RSRC2:USER_SGPR: 15
; COMPUTE_PGM_RSRC2:TRAP_HANDLER: 0
; COMPUTE_PGM_RSRC2:TGID_X_EN: 1
; COMPUTE_PGM_RSRC2:TGID_Y_EN: 0
; COMPUTE_PGM_RSRC2:TGID_Z_EN: 0
; COMPUTE_PGM_RSRC2:TIDIG_COMP_CNT: 0
	.section	.text._ZN2at4cuda12_GLOBAL__N_121kernelPointwiseApply2IZNS_6native9templates4cuda28bernoulli_tensor_cuda_kernelIdfEEvRKNS_10TensorBaseES9_NS_15PhiloxCudaStateEEUliRdSB_SB_SB_RKfSD_SD_SD_E_dSC_jLi2ELi2ELi4ELi512ELi2EEEvNS0_6detail10TensorInfoIT0_T2_EENSG_IT1_SI_EESI_T_,"axG",@progbits,_ZN2at4cuda12_GLOBAL__N_121kernelPointwiseApply2IZNS_6native9templates4cuda28bernoulli_tensor_cuda_kernelIdfEEvRKNS_10TensorBaseES9_NS_15PhiloxCudaStateEEUliRdSB_SB_SB_RKfSD_SD_SD_E_dSC_jLi2ELi2ELi4ELi512ELi2EEEvNS0_6detail10TensorInfoIT0_T2_EENSG_IT1_SI_EESI_T_,comdat
	.globl	_ZN2at4cuda12_GLOBAL__N_121kernelPointwiseApply2IZNS_6native9templates4cuda28bernoulli_tensor_cuda_kernelIdfEEvRKNS_10TensorBaseES9_NS_15PhiloxCudaStateEEUliRdSB_SB_SB_RKfSD_SD_SD_E_dSC_jLi2ELi2ELi4ELi512ELi2EEEvNS0_6detail10TensorInfoIT0_T2_EENSG_IT1_SI_EESI_T_ ; -- Begin function _ZN2at4cuda12_GLOBAL__N_121kernelPointwiseApply2IZNS_6native9templates4cuda28bernoulli_tensor_cuda_kernelIdfEEvRKNS_10TensorBaseES9_NS_15PhiloxCudaStateEEUliRdSB_SB_SB_RKfSD_SD_SD_E_dSC_jLi2ELi2ELi4ELi512ELi2EEEvNS0_6detail10TensorInfoIT0_T2_EENSG_IT1_SI_EESI_T_
	.p2align	8
	.type	_ZN2at4cuda12_GLOBAL__N_121kernelPointwiseApply2IZNS_6native9templates4cuda28bernoulli_tensor_cuda_kernelIdfEEvRKNS_10TensorBaseES9_NS_15PhiloxCudaStateEEUliRdSB_SB_SB_RKfSD_SD_SD_E_dSC_jLi2ELi2ELi4ELi512ELi2EEEvNS0_6detail10TensorInfoIT0_T2_EENSG_IT1_SI_EESI_T_,@function
_ZN2at4cuda12_GLOBAL__N_121kernelPointwiseApply2IZNS_6native9templates4cuda28bernoulli_tensor_cuda_kernelIdfEEvRKNS_10TensorBaseES9_NS_15PhiloxCudaStateEEUliRdSB_SB_SB_RKfSD_SD_SD_E_dSC_jLi2ELi2ELi4ELi512ELi2EEEvNS0_6detail10TensorInfoIT0_T2_EENSG_IT1_SI_EESI_T_: ; @_ZN2at4cuda12_GLOBAL__N_121kernelPointwiseApply2IZNS_6native9templates4cuda28bernoulli_tensor_cuda_kernelIdfEEvRKNS_10TensorBaseES9_NS_15PhiloxCudaStateEEUliRdSB_SB_SB_RKfSD_SD_SD_E_dSC_jLi2ELi2ELi4ELi512ELi2EEEvNS0_6detail10TensorInfoIT0_T2_EENSG_IT1_SI_EESI_T_
; %bb.0:
	s_clause 0x1
	s_load_b32 s2, s[0:1], 0x1e4
	s_load_b32 s16, s[0:1], 0x1b0
	s_add_u32 s4, s0, 0x1d8
	s_addc_u32 s5, s1, 0
	s_waitcnt lgkmcnt(0)
	s_and_b32 s22, s2, 0xffff
	s_mov_b32 s2, exec_lo
	v_mad_u64_u32 v[1:2], null, s15, s22, v[0:1]
	s_delay_alu instid0(VALU_DEP_1) | instskip(NEXT) | instid1(VALU_DEP_1)
	v_lshlrev_b32_e32 v0, 2, v1
	v_cmpx_gt_u32_e64 s16, v0
	s_cbranch_execz .LBB70_67
; %bb.1:
	s_clause 0x6
	s_load_b32 s17, s[0:1], 0xc
	s_load_b32 s18, s[0:1], 0xe4
	s_load_b64 s[2:3], s[0:1], 0x6c
	s_load_b64 s[8:9], s[0:1], 0xd8
	;; [unrolled: 1-line block ×3, first 2 shown]
	s_load_b32 s6, s[0:1], 0x1d0
	s_load_b64 s[12:13], s[0:1], 0x0
	s_load_b32 s23, s[4:5], 0x0
	v_sub_nc_u32_e32 v32, s16, v0
                                        ; implicit-def: $sgpr26
                                        ; implicit-def: $sgpr25
                                        ; implicit-def: $sgpr27
                                        ; implicit-def: $sgpr29
                                        ; implicit-def: $sgpr28
                                        ; implicit-def: $sgpr30
	s_waitcnt lgkmcnt(0)
	v_cvt_f32_u32_e32 v2, s17
	v_cvt_f32_u32_e32 v3, s18
	s_delay_alu instid0(VALU_DEP_2) | instskip(NEXT) | instid1(VALU_DEP_1)
	v_rcp_iflag_f32_e32 v2, v2
	v_rcp_iflag_f32_e32 v3, v3
	s_bitcmp1_b32 s6, 0
	s_clause 0x1
	s_load_b64 s[14:15], s[0:1], 0x1c8
	s_load_b128 s[4:7], s[0:1], 0x1b8
	s_cselect_b32 s19, -1, 0
	s_sub_i32 s20, 0, s17
	s_sub_i32 s21, 0, s18
	s_mul_i32 s23, s23, s22
	s_mov_b32 s22, 0
	s_lshl_b32 s24, s23, 2
	s_waitcnt_depctr 0xfff
	v_dual_mul_f32 v2, 0x4f7ffffe, v2 :: v_dual_mul_f32 v3, 0x4f7ffffe, v3
                                        ; implicit-def: $sgpr23
                                        ; implicit-def: $sgpr1
	s_delay_alu instid0(VALU_DEP_1) | instskip(NEXT) | instid1(VALU_DEP_2)
	v_cvt_u32_f32_e32 v5, v2
	v_cvt_u32_f32_e32 v6, v3
	v_mad_u64_u32 v[2:3], null, 0xcd9e8d57, v1, 0
	s_delay_alu instid0(VALU_DEP_3) | instskip(NEXT) | instid1(VALU_DEP_3)
	v_mul_lo_u32 v4, s20, v5
	v_mul_lo_u32 v7, s21, v6
	s_delay_alu instid0(VALU_DEP_3) | instskip(NEXT) | instid1(VALU_DEP_3)
	v_mov_b32_e32 v29, v3
	v_mul_hi_u32 v8, v5, v4
	s_delay_alu instid0(VALU_DEP_3) | instskip(SKIP_1) | instid1(VALU_DEP_3)
	v_mul_hi_u32 v7, v6, v7
	v_mov_b32_e32 v4, 0
	v_add_nc_u32_e32 v30, v5, v8
	s_delay_alu instid0(VALU_DEP_3)
	v_add_nc_u32_e32 v31, v6, v7
	s_branch .LBB70_3
.LBB70_2:                               ;   in Loop: Header=BB70_3 Depth=1
	s_or_b32 exec_lo, exec_lo, s31
	s_delay_alu instid0(SALU_CYCLE_1) | instskip(NEXT) | instid1(SALU_CYCLE_1)
	s_and_b32 s0, exec_lo, s0
	s_or_b32 s22, s0, s22
	s_and_not1_b32 s0, s1, exec_lo
	s_and_b32 s1, s30, exec_lo
	s_and_not1_b32 s25, s25, exec_lo
	s_and_b32 s31, s28, exec_lo
	s_or_b32 s1, s0, s1
	s_or_b32 s25, s25, s31
	s_and_not1_b32 s0, s26, exec_lo
	s_and_b32 s26, s29, exec_lo
	s_and_not1_b32 s23, s23, exec_lo
	s_and_b32 s31, s27, exec_lo
	s_or_b32 s26, s0, s26
	s_or_b32 s23, s23, s31
	s_and_not1_b32 exec_lo, exec_lo, s22
	s_cbranch_execz .LBB70_55
.LBB70_3:                               ; =>This Inner Loop Header: Depth=1
	v_cmp_lt_i32_e32 vcc_lo, 0, v32
	v_mov_b32_e32 v5, 0
	s_and_saveexec_b32 s31, vcc_lo
	s_cbranch_execz .LBB70_5
; %bb.4:                                ;   in Loop: Header=BB70_3 Depth=1
	v_mul_hi_u32 v3, v30, v0
	s_delay_alu instid0(VALU_DEP_1) | instskip(SKIP_2) | instid1(VALU_DEP_3)
	v_not_b32_e32 v8, v3
	v_mad_u64_u32 v[5:6], null, s20, v3, v[0:1]
	v_add_nc_u32_e32 v9, 1, v3
	v_mad_u64_u32 v[6:7], null, s17, v8, v[0:1]
	s_delay_alu instid0(VALU_DEP_3) | instskip(NEXT) | instid1(VALU_DEP_1)
	v_cmp_le_u32_e64 s0, s17, v5
	v_cndmask_b32_e64 v3, v3, v9, s0
	s_delay_alu instid0(VALU_DEP_3) | instskip(NEXT) | instid1(VALU_DEP_2)
	v_cndmask_b32_e64 v5, v5, v6, s0
	v_add_nc_u32_e32 v6, 1, v3
	s_delay_alu instid0(VALU_DEP_2) | instskip(NEXT) | instid1(VALU_DEP_1)
	v_cmp_le_u32_e64 s0, s17, v5
	v_cndmask_b32_e64 v7, v3, v6, s0
	s_delay_alu instid0(VALU_DEP_1) | instskip(NEXT) | instid1(VALU_DEP_1)
	v_mad_u64_u32 v[5:6], null, s20, v7, v[0:1]
	v_mul_lo_u32 v3, v5, s3
	s_delay_alu instid0(VALU_DEP_1)
	v_mad_u64_u32 v[5:6], null, v7, s2, v[3:4]
.LBB70_5:                               ;   in Loop: Header=BB70_3 Depth=1
	s_or_b32 exec_lo, exec_lo, s31
	v_mov_b32_e32 v3, 0
	s_and_saveexec_b32 s0, vcc_lo
	s_cbranch_execz .LBB70_7
; %bb.6:                                ;   in Loop: Header=BB70_3 Depth=1
	v_mul_hi_u32 v3, v31, v0
	s_delay_alu instid0(VALU_DEP_1) | instskip(SKIP_2) | instid1(VALU_DEP_3)
	v_not_b32_e32 v9, v3
	v_mad_u64_u32 v[6:7], null, s21, v3, v[0:1]
	v_add_nc_u32_e32 v10, 1, v3
	v_mad_u64_u32 v[7:8], null, s18, v9, v[0:1]
	s_delay_alu instid0(VALU_DEP_3) | instskip(NEXT) | instid1(VALU_DEP_2)
	v_cmp_le_u32_e32 vcc_lo, s18, v6
	v_dual_cndmask_b32 v3, v3, v10 :: v_dual_cndmask_b32 v6, v6, v7
	s_delay_alu instid0(VALU_DEP_1) | instskip(NEXT) | instid1(VALU_DEP_2)
	v_add_nc_u32_e32 v7, 1, v3
	v_cmp_le_u32_e32 vcc_lo, s18, v6
	s_delay_alu instid0(VALU_DEP_2) | instskip(NEXT) | instid1(VALU_DEP_1)
	v_cndmask_b32_e32 v8, v3, v7, vcc_lo
	v_mad_u64_u32 v[6:7], null, s21, v8, v[0:1]
	s_delay_alu instid0(VALU_DEP_1) | instskip(NEXT) | instid1(VALU_DEP_1)
	v_mul_lo_u32 v3, v6, s11
	v_mad_u64_u32 v[6:7], null, v8, s10, v[3:4]
	s_delay_alu instid0(VALU_DEP_1)
	v_mov_b32_e32 v3, v6
.LBB70_7:                               ;   in Loop: Header=BB70_3 Depth=1
	s_or_b32 exec_lo, exec_lo, s0
	v_mov_b32_e32 v12, 0
	v_dual_mov_b32 v13, 0 :: v_dual_add_nc_u32 v8, 1, v0
	v_cmp_lt_i32_e32 vcc_lo, 1, v32
	s_delay_alu instid0(VALU_DEP_2)
	v_dual_mov_b32 v6, v12 :: v_dual_mov_b32 v7, v13
	s_and_saveexec_b32 s31, vcc_lo
	s_cbranch_execz .LBB70_9
; %bb.8:                                ;   in Loop: Header=BB70_3 Depth=1
	v_mul_hi_u32 v6, v8, v30
	s_delay_alu instid0(VALU_DEP_1) | instskip(SKIP_1) | instid1(VALU_DEP_2)
	v_mul_lo_u32 v7, v6, s17
	v_add_nc_u32_e32 v9, 1, v6
	v_sub_nc_u32_e32 v7, v8, v7
	s_delay_alu instid0(VALU_DEP_1) | instskip(SKIP_1) | instid1(VALU_DEP_1)
	v_subrev_nc_u32_e32 v10, s17, v7
	v_cmp_le_u32_e64 s0, s17, v7
	v_cndmask_b32_e64 v6, v6, v9, s0
	s_delay_alu instid0(VALU_DEP_3) | instskip(NEXT) | instid1(VALU_DEP_2)
	v_cndmask_b32_e64 v7, v7, v10, s0
	v_add_nc_u32_e32 v9, 1, v6
	s_delay_alu instid0(VALU_DEP_2) | instskip(NEXT) | instid1(VALU_DEP_1)
	v_cmp_le_u32_e64 s0, s17, v7
	v_cndmask_b32_e64 v10, v6, v9, s0
	s_delay_alu instid0(VALU_DEP_1) | instskip(NEXT) | instid1(VALU_DEP_1)
	v_mul_lo_u32 v6, v10, s17
	v_sub_nc_u32_e32 v6, v8, v6
	s_delay_alu instid0(VALU_DEP_1) | instskip(NEXT) | instid1(VALU_DEP_1)
	v_mul_lo_u32 v9, v6, s3
	v_mad_u64_u32 v[6:7], null, v10, s2, v[9:10]
	v_mov_b32_e32 v7, v4
.LBB70_9:                               ;   in Loop: Header=BB70_3 Depth=1
	s_or_b32 exec_lo, exec_lo, s31
	s_and_saveexec_b32 s0, vcc_lo
	s_cbranch_execz .LBB70_11
; %bb.10:                               ;   in Loop: Header=BB70_3 Depth=1
	v_mul_hi_u32 v9, v8, v31
	s_delay_alu instid0(VALU_DEP_1) | instskip(NEXT) | instid1(VALU_DEP_1)
	v_mul_lo_u32 v10, v9, s18
	v_sub_nc_u32_e32 v10, v8, v10
	s_delay_alu instid0(VALU_DEP_1) | instskip(SKIP_1) | instid1(VALU_DEP_2)
	v_subrev_nc_u32_e32 v12, s18, v10
	v_cmp_le_u32_e32 vcc_lo, s18, v10
	v_dual_cndmask_b32 v10, v10, v12 :: v_dual_add_nc_u32 v11, 1, v9
	s_delay_alu instid0(VALU_DEP_1) | instskip(NEXT) | instid1(VALU_DEP_2)
	v_cndmask_b32_e32 v9, v9, v11, vcc_lo
	v_cmp_le_u32_e32 vcc_lo, s18, v10
	s_delay_alu instid0(VALU_DEP_2) | instskip(NEXT) | instid1(VALU_DEP_1)
	v_add_nc_u32_e32 v11, 1, v9
	v_cndmask_b32_e32 v9, v9, v11, vcc_lo
	s_delay_alu instid0(VALU_DEP_1) | instskip(NEXT) | instid1(VALU_DEP_1)
	v_mul_lo_u32 v10, v9, s18
	v_sub_nc_u32_e32 v8, v8, v10
	s_delay_alu instid0(VALU_DEP_1) | instskip(NEXT) | instid1(VALU_DEP_1)
	v_mul_lo_u32 v8, v8, s11
	v_mad_u64_u32 v[12:13], null, v9, s10, v[8:9]
	v_mov_b32_e32 v13, v4
.LBB70_11:                              ;   in Loop: Header=BB70_3 Depth=1
	s_or_b32 exec_lo, exec_lo, s0
	v_mov_b32_e32 v14, 0
	v_dual_mov_b32 v15, 0 :: v_dual_add_nc_u32 v10, 2, v0
	v_cmp_lt_i32_e32 vcc_lo, 2, v32
	s_delay_alu instid0(VALU_DEP_2)
	v_dual_mov_b32 v8, v14 :: v_dual_mov_b32 v9, v15
	s_and_saveexec_b32 s31, vcc_lo
	s_cbranch_execz .LBB70_13
; %bb.12:                               ;   in Loop: Header=BB70_3 Depth=1
	v_mul_hi_u32 v8, v10, v30
	s_delay_alu instid0(VALU_DEP_1) | instskip(SKIP_1) | instid1(VALU_DEP_2)
	v_mul_lo_u32 v9, v8, s17
	v_add_nc_u32_e32 v11, 1, v8
	v_sub_nc_u32_e32 v9, v10, v9
	s_delay_alu instid0(VALU_DEP_1) | instskip(SKIP_1) | instid1(VALU_DEP_1)
	v_subrev_nc_u32_e32 v16, s17, v9
	v_cmp_le_u32_e64 s0, s17, v9
	v_cndmask_b32_e64 v8, v8, v11, s0
	s_delay_alu instid0(VALU_DEP_3) | instskip(NEXT) | instid1(VALU_DEP_2)
	v_cndmask_b32_e64 v9, v9, v16, s0
	v_add_nc_u32_e32 v11, 1, v8
	s_delay_alu instid0(VALU_DEP_2) | instskip(NEXT) | instid1(VALU_DEP_1)
	v_cmp_le_u32_e64 s0, s17, v9
	v_cndmask_b32_e64 v16, v8, v11, s0
	s_delay_alu instid0(VALU_DEP_1) | instskip(NEXT) | instid1(VALU_DEP_1)
	v_mul_lo_u32 v8, v16, s17
	v_sub_nc_u32_e32 v8, v10, v8
	s_delay_alu instid0(VALU_DEP_1) | instskip(NEXT) | instid1(VALU_DEP_1)
	v_mul_lo_u32 v11, v8, s3
	v_mad_u64_u32 v[8:9], null, v16, s2, v[11:12]
	v_mov_b32_e32 v9, v4
.LBB70_13:                              ;   in Loop: Header=BB70_3 Depth=1
	s_or_b32 exec_lo, exec_lo, s31
	s_and_saveexec_b32 s0, vcc_lo
	s_cbranch_execz .LBB70_15
; %bb.14:                               ;   in Loop: Header=BB70_3 Depth=1
	v_mul_hi_u32 v11, v10, v31
	s_delay_alu instid0(VALU_DEP_1) | instskip(NEXT) | instid1(VALU_DEP_1)
	v_mul_lo_u32 v14, v11, s18
	v_sub_nc_u32_e32 v14, v10, v14
	s_delay_alu instid0(VALU_DEP_1) | instskip(SKIP_1) | instid1(VALU_DEP_2)
	v_subrev_nc_u32_e32 v16, s18, v14
	v_cmp_le_u32_e32 vcc_lo, s18, v14
	v_dual_cndmask_b32 v14, v14, v16 :: v_dual_add_nc_u32 v15, 1, v11
	s_delay_alu instid0(VALU_DEP_1) | instskip(NEXT) | instid1(VALU_DEP_2)
	v_cndmask_b32_e32 v11, v11, v15, vcc_lo
	v_cmp_le_u32_e32 vcc_lo, s18, v14
	s_delay_alu instid0(VALU_DEP_2) | instskip(NEXT) | instid1(VALU_DEP_1)
	v_add_nc_u32_e32 v15, 1, v11
	v_cndmask_b32_e32 v11, v11, v15, vcc_lo
	s_delay_alu instid0(VALU_DEP_1) | instskip(NEXT) | instid1(VALU_DEP_1)
	v_mul_lo_u32 v14, v11, s18
	v_sub_nc_u32_e32 v10, v10, v14
	s_delay_alu instid0(VALU_DEP_1) | instskip(NEXT) | instid1(VALU_DEP_1)
	v_mul_lo_u32 v10, v10, s11
	v_mad_u64_u32 v[14:15], null, v11, s10, v[10:11]
	v_mov_b32_e32 v15, v4
.LBB70_15:                              ;   in Loop: Header=BB70_3 Depth=1
	s_or_b32 exec_lo, exec_lo, s0
	v_mov_b32_e32 v16, 0
	v_dual_mov_b32 v17, 0 :: v_dual_add_nc_u32 v18, 3, v0
	v_cmp_lt_i32_e32 vcc_lo, 3, v32
	s_delay_alu instid0(VALU_DEP_2)
	v_dual_mov_b32 v10, v16 :: v_dual_mov_b32 v11, v17
	s_and_saveexec_b32 s31, vcc_lo
	s_cbranch_execz .LBB70_17
; %bb.16:                               ;   in Loop: Header=BB70_3 Depth=1
	v_mul_hi_u32 v10, v18, v30
	s_delay_alu instid0(VALU_DEP_1) | instskip(SKIP_1) | instid1(VALU_DEP_2)
	v_mul_lo_u32 v11, v10, s17
	v_add_nc_u32_e32 v19, 1, v10
	v_sub_nc_u32_e32 v11, v18, v11
	s_delay_alu instid0(VALU_DEP_1) | instskip(SKIP_1) | instid1(VALU_DEP_1)
	v_subrev_nc_u32_e32 v20, s17, v11
	v_cmp_le_u32_e64 s0, s17, v11
	v_cndmask_b32_e64 v10, v10, v19, s0
	s_delay_alu instid0(VALU_DEP_3) | instskip(NEXT) | instid1(VALU_DEP_2)
	v_cndmask_b32_e64 v11, v11, v20, s0
	v_add_nc_u32_e32 v19, 1, v10
	s_delay_alu instid0(VALU_DEP_2) | instskip(NEXT) | instid1(VALU_DEP_1)
	v_cmp_le_u32_e64 s0, s17, v11
	v_cndmask_b32_e64 v20, v10, v19, s0
	s_delay_alu instid0(VALU_DEP_1) | instskip(NEXT) | instid1(VALU_DEP_1)
	v_mul_lo_u32 v10, v20, s17
	v_sub_nc_u32_e32 v10, v18, v10
	s_delay_alu instid0(VALU_DEP_1) | instskip(NEXT) | instid1(VALU_DEP_1)
	v_mul_lo_u32 v19, v10, s3
	v_mad_u64_u32 v[10:11], null, v20, s2, v[19:20]
	v_mov_b32_e32 v11, v4
.LBB70_17:                              ;   in Loop: Header=BB70_3 Depth=1
	s_or_b32 exec_lo, exec_lo, s31
	s_and_saveexec_b32 s0, vcc_lo
	s_cbranch_execz .LBB70_19
; %bb.18:                               ;   in Loop: Header=BB70_3 Depth=1
	v_mul_hi_u32 v16, v18, v31
	s_delay_alu instid0(VALU_DEP_1) | instskip(SKIP_1) | instid1(VALU_DEP_2)
	v_mul_lo_u32 v17, v16, s18
	v_add_nc_u32_e32 v19, 1, v16
	v_sub_nc_u32_e32 v17, v18, v17
	s_delay_alu instid0(VALU_DEP_1) | instskip(SKIP_1) | instid1(VALU_DEP_2)
	v_subrev_nc_u32_e32 v20, s18, v17
	v_cmp_le_u32_e32 vcc_lo, s18, v17
	v_dual_cndmask_b32 v16, v16, v19 :: v_dual_cndmask_b32 v17, v17, v20
	s_delay_alu instid0(VALU_DEP_1) | instskip(NEXT) | instid1(VALU_DEP_2)
	v_add_nc_u32_e32 v19, 1, v16
	v_cmp_le_u32_e32 vcc_lo, s18, v17
	s_delay_alu instid0(VALU_DEP_2) | instskip(NEXT) | instid1(VALU_DEP_1)
	v_cndmask_b32_e32 v19, v16, v19, vcc_lo
	v_mul_lo_u32 v16, v19, s18
	s_delay_alu instid0(VALU_DEP_1) | instskip(NEXT) | instid1(VALU_DEP_1)
	v_sub_nc_u32_e32 v16, v18, v16
	v_mul_lo_u32 v18, v16, s11
	s_delay_alu instid0(VALU_DEP_1)
	v_mad_u64_u32 v[16:17], null, v19, s10, v[18:19]
	v_mov_b32_e32 v17, v4
.LBB70_19:                              ;   in Loop: Header=BB70_3 Depth=1
	s_or_b32 exec_lo, exec_lo, s0
	v_lshlrev_b64 v[18:19], 2, v[3:4]
	v_lshlrev_b64 v[12:13], 2, v[12:13]
	v_lshlrev_b64 v[14:15], 2, v[14:15]
	v_lshlrev_b64 v[16:17], 2, v[16:17]
	s_delay_alu instid0(VALU_DEP_4)
	v_add_co_u32 v18, vcc_lo, s8, v18
	v_add_co_ci_u32_e32 v19, vcc_lo, s9, v19, vcc_lo
	v_add_co_u32 v12, vcc_lo, s8, v12
	v_add_co_ci_u32_e32 v13, vcc_lo, s9, v13, vcc_lo
	;; [unrolled: 2-line block ×4, first 2 shown]
	s_clause 0x3
	global_load_b32 v3, v[18:19], off
	global_load_b32 v33, v[12:13], off
	;; [unrolled: 1-line block ×4, first 2 shown]
	s_waitcnt lgkmcnt(0)
	v_dual_mov_b32 v17, s7 :: v_dual_mov_b32 v16, s6
	v_dual_mov_b32 v19, s5 :: v_dual_mov_b32 v18, s4
	s_and_not1_b32 vcc_lo, exec_lo, s19
	s_cbranch_vccnz .LBB70_21
; %bb.20:                               ;   in Loop: Header=BB70_3 Depth=1
	v_dual_mov_b32 v13, s7 :: v_dual_mov_b32 v12, s6
	v_dual_mov_b32 v15, s5 :: v_dual_mov_b32 v14, s4
	flat_load_b64 v[12:13], v[12:13]
	flat_load_b64 v[18:19], v[14:15]
	s_waitcnt vmcnt(1) lgkmcnt(1)
	v_add_co_u32 v16, vcc_lo, v12, s14
	v_add_co_ci_u32_e32 v17, vcc_lo, s15, v13, vcc_lo
.LBB70_21:                              ;   in Loop: Header=BB70_3 Depth=1
	s_delay_alu instid0(VALU_DEP_1)
	v_alignbit_b32 v15, v17, v16, 2
	v_lshrrev_b32_e32 v14, 2, v17
	s_waitcnt vmcnt(0) lgkmcnt(0)
	v_add_nc_u32_e32 v36, 0x9e3779b9, v18
	v_add_nc_u32_e32 v38, 0x76cf5d0a, v19
	;; [unrolled: 1-line block ×3, first 2 shown]
	v_add_co_u32 v17, vcc_lo, v15, 1
	s_delay_alu instid0(VALU_DEP_1) | instskip(SKIP_4) | instid1(VALU_DEP_4)
	v_cndmask_b32_e64 v12, 0, 1, vcc_lo
	v_add_co_ci_u32_e32 v26, vcc_lo, 0, v14, vcc_lo
	v_xor3_b32 v22, v29, v18, v14
	v_add_nc_u32_e32 v40, 0x32370b8f, v19
	v_add_nc_u32_e32 v41, 0xed9eba14, v19
	v_cmp_eq_u32_e32 vcc_lo, 0, v26
	v_add_nc_u32_e32 v42, 0x1715609d, v18
	v_add_nc_u32_e32 v43, 0xa9066899, v19
	s_mov_b32 s0, exec_lo
	v_dual_cndmask_b32 v20, 0, v12 :: v_dual_add_nc_u32 v37, 0xbb67ae85, v19
	v_mad_u64_u32 v[12:13], null, 0xd2511f53, v17, 0
	s_delay_alu instid0(VALU_DEP_2) | instskip(NEXT) | instid1(VALU_DEP_2)
	v_add_nc_u32_e32 v17, v20, v1
	v_xor_b32_e32 v21, v13, v19
	s_delay_alu instid0(VALU_DEP_2) | instskip(SKIP_2) | instid1(VALU_DEP_1)
	v_cmp_eq_u32_e32 vcc_lo, 0, v17
	v_mad_u64_u32 v[13:14], null, 0xd2511f53, v15, 0
	v_cndmask_b32_e32 v20, 0, v20, vcc_lo
	v_xor_b32_e32 v15, v20, v21
	v_mad_u64_u32 v[20:21], null, 0xd2511f53, v22, 0
	v_mad_u64_u32 v[22:23], null, 0xcd9e8d57, v17, 0
	s_delay_alu instid0(VALU_DEP_3) | instskip(SKIP_3) | instid1(VALU_DEP_3)
	v_mad_u64_u32 v[24:25], null, 0xcd9e8d57, v15, 0
	v_xor_b32_e32 v15, v14, v19
	v_add_nc_u32_e32 v17, 0x3c6ef372, v18
	v_xor3_b32 v27, v37, v21, v13
	v_mad_u64_u32 v[13:14], null, 0xcd9e8d57, v15, 0
	v_xor3_b32 v15, v23, v18, v26
	v_xor3_b32 v23, v36, v25, v22
	s_delay_alu instid0(VALU_DEP_4) | instskip(NEXT) | instid1(VALU_DEP_3)
	v_mad_u64_u32 v[21:22], null, 0xcd9e8d57, v27, 0
	v_mad_u64_u32 v[25:26], null, 0xd2511f53, v15, 0
	s_delay_alu instid0(VALU_DEP_3) | instskip(SKIP_1) | instid1(VALU_DEP_4)
	v_mad_u64_u32 v[27:28], null, 0xd2511f53, v23, 0
	v_xor3_b32 v15, v2, v14, v36
	v_xor3_b32 v36, v17, v22, v13
	s_delay_alu instid0(VALU_DEP_4) | instskip(NEXT) | instid1(VALU_DEP_3)
	v_xor3_b32 v12, v37, v26, v12
	v_mad_u64_u32 v[13:14], null, 0xd2511f53, v15, 0
	v_xor3_b32 v15, v38, v28, v25
	s_delay_alu instid0(VALU_DEP_4) | instskip(NEXT) | instid1(VALU_DEP_4)
	v_mad_u64_u32 v[22:23], null, 0xd2511f53, v36, 0
	v_mad_u64_u32 v[25:26], null, 0xcd9e8d57, v12, 0
	s_delay_alu instid0(VALU_DEP_3) | instskip(SKIP_4) | instid1(VALU_DEP_4)
	v_mad_u64_u32 v[36:37], null, 0xcd9e8d57, v15, 0
	v_xor3_b32 v14, v38, v14, v20
	v_add_nc_u32_e32 v28, 0x78dde6e4, v18
	v_xor3_b32 v20, v40, v23, v13
	v_xor3_b32 v17, v17, v26, v24
	v_mad_u64_u32 v[12:13], null, 0xcd9e8d57, v14, 0
	v_xor3_b32 v37, v39, v37, v25
	s_delay_alu instid0(VALU_DEP_4) | instskip(NEXT) | instid1(VALU_DEP_4)
	v_mad_u64_u32 v[14:15], null, 0xcd9e8d57, v20, 0
	v_mad_u64_u32 v[23:24], null, 0xd2511f53, v17, 0
	s_delay_alu instid0(VALU_DEP_3) | instskip(SKIP_1) | instid1(VALU_DEP_4)
	v_mad_u64_u32 v[25:26], null, 0xd2511f53, v37, 0
	v_xor3_b32 v17, v39, v13, v21
	v_xor3_b32 v15, v28, v15, v12
	s_delay_alu instid0(VALU_DEP_2) | instskip(SKIP_2) | instid1(VALU_DEP_4)
	v_mad_u64_u32 v[12:13], null, 0xd2511f53, v17, 0
	v_xor3_b32 v17, v40, v24, v27
	v_xor3_b32 v23, v41, v26, v23
	v_mad_u64_u32 v[26:27], null, 0xd2511f53, v15, 0
	s_delay_alu instid0(VALU_DEP_3) | instskip(NEXT) | instid1(VALU_DEP_3)
	v_mad_u64_u32 v[20:21], null, 0xcd9e8d57, v17, 0
	v_mad_u64_u32 v[37:38], null, 0xcd9e8d57, v23, 0
	v_xor3_b32 v15, v41, v13, v22
	s_delay_alu instid0(VALU_DEP_4) | instskip(SKIP_2) | instid1(VALU_DEP_4)
	v_xor3_b32 v23, v43, v27, v12
	v_add_nc_u32_e32 v17, 0xb54cda56, v18
	v_add_nc_u32_e32 v22, 0x646e171e, v19
	v_mad_u64_u32 v[12:13], null, 0xcd9e8d57, v15, 0
	v_xor3_b32 v15, v28, v21, v36
	v_xor3_b32 v24, v42, v38, v20
	v_mad_u64_u32 v[38:39], null, 0xcd9e8d57, v23, 0
	v_add_nc_u32_e32 v28, 0x5384540f, v18
	s_delay_alu instid0(VALU_DEP_4) | instskip(NEXT) | instid1(VALU_DEP_4)
	v_mad_u64_u32 v[20:21], null, 0xd2511f53, v15, 0
	v_mad_u64_u32 v[40:41], null, 0xd2511f53, v24, 0
	v_xor3_b32 v14, v42, v13, v14
	v_xor3_b32 v15, v17, v39, v12
	v_add_nc_u32_e32 v42, 0x1fd5c5a3, v19
	v_add_co_u32 v36, null, 0xf1bbcdc8, v18
	v_xor3_b32 v23, v43, v21, v25
	v_xor3_b32 v25, v22, v41, v20
	v_mad_u64_u32 v[12:13], null, 0xd2511f53, v14, 0
	v_mad_u64_u32 v[20:21], null, 0xd2511f53, v15, 0
	s_delay_alu instid0(VALU_DEP_4) | instskip(NEXT) | instid1(VALU_DEP_4)
	v_mad_u64_u32 v[14:15], null, 0xcd9e8d57, v23, 0
	v_mad_u64_u32 v[23:24], null, 0xcd9e8d57, v25, 0
	s_delay_alu instid0(VALU_DEP_4) | instskip(NEXT) | instid1(VALU_DEP_4)
	v_xor3_b32 v22, v22, v13, v26
	v_xor3_b32 v25, v42, v21, v12
	s_delay_alu instid0(VALU_DEP_4) | instskip(NEXT) | instid1(VALU_DEP_3)
	v_xor3_b32 v17, v17, v15, v37
	v_mad_u64_u32 v[12:13], null, 0xcd9e8d57, v22, 0
	v_xor3_b32 v24, v28, v24, v14
	s_delay_alu instid0(VALU_DEP_4) | instskip(NEXT) | instid1(VALU_DEP_4)
	v_mad_u64_u32 v[21:22], null, 0xcd9e8d57, v25, 0
	v_mad_u64_u32 v[14:15], null, 0xd2511f53, v17, 0
	s_delay_alu instid0(VALU_DEP_3)
	v_mad_u64_u32 v[26:27], null, 0xd2511f53, v24, 0
	v_add_nc_u32_e32 v37, 0xdb3d7428, v19
	v_xor3_b32 v13, v28, v13, v38
	v_xor3_b32 v17, v36, v22, v12
	v_add_nc_u32_e32 v38, 0x96a522ad, v19
	v_xor3_b32 v15, v42, v15, v40
	v_and_b32_e32 v19, 3, v16
	v_xor3_b32 v22, v37, v27, v14
	v_mad_u64_u32 v[24:25], null, 0xd2511f53, v13, 0
	v_mad_u64_u32 v[12:13], null, 0xd2511f53, v17, 0
	;; [unrolled: 1-line block ×3, first 2 shown]
	s_delay_alu instid0(VALU_DEP_4) | instskip(SKIP_1) | instid1(VALU_DEP_4)
	v_mad_u64_u32 v[14:15], null, 0xcd9e8d57, v22, 0
	v_add_nc_u32_e32 v22, 0x8ff34781, v18
                                        ; implicit-def: $vgpr17
	v_xor3_b32 v18, v13, v24, v38
	s_delay_alu instid0(VALU_DEP_2)
	v_xor3_b32 v13, v15, v27, v22
	v_cmpx_lt_i32_e32 1, v19
	s_xor_b32 s0, exec_lo, s0
	s_cbranch_execz .LBB70_27
; %bb.22:                               ;   in Loop: Header=BB70_3 Depth=1
	s_mov_b32 s31, exec_lo
                                        ; implicit-def: $vgpr17
	v_cmpx_lt_i32_e32 2, v19
	s_xor_b32 s31, exec_lo, s31
; %bb.23:                               ;   in Loop: Header=BB70_3 Depth=1
	v_xor3_b32 v15, v36, v28, v23
                                        ; implicit-def: $vgpr18
	s_delay_alu instid0(VALU_DEP_1) | instskip(NEXT) | instid1(VALU_DEP_1)
	v_mul_hi_u32 v15, 0xd2511f53, v15
	v_xor3_b32 v17, v15, v26, v38
; %bb.24:                               ;   in Loop: Header=BB70_3 Depth=1
	s_and_not1_saveexec_b32 s31, s31
; %bb.25:                               ;   in Loop: Header=BB70_3 Depth=1
	v_dual_mov_b32 v17, v14 :: v_dual_mov_b32 v14, v13
	v_dual_mov_b32 v13, v12 :: v_dual_mov_b32 v12, v18
; %bb.26:                               ;   in Loop: Header=BB70_3 Depth=1
	s_or_b32 exec_lo, exec_lo, s31
                                        ; implicit-def: $vgpr20_vgpr21
                                        ; implicit-def: $vgpr19
                                        ; implicit-def: $vgpr18
                                        ; implicit-def: $vgpr37
                                        ; implicit-def: $vgpr24_vgpr25
                                        ; implicit-def: $vgpr21_vgpr22
                                        ; implicit-def: $vgpr22
.LBB70_27:                              ;   in Loop: Header=BB70_3 Depth=1
	s_and_not1_saveexec_b32 s0, s0
	s_cbranch_execz .LBB70_31
; %bb.28:                               ;   in Loop: Header=BB70_3 Depth=1
	v_xor3_b32 v14, v37, v25, v20
	v_cmp_eq_u32_e32 vcc_lo, 1, v19
	v_mov_b32_e32 v17, v12
	s_delay_alu instid0(VALU_DEP_3) | instskip(SKIP_1) | instid1(VALU_DEP_2)
	v_mad_u64_u32 v[15:16], null, 0xcd9e8d57, v14, 0
	v_mov_b32_e32 v14, v18
	v_xor3_b32 v19, v16, v21, v22
	s_delay_alu instid0(VALU_DEP_3)
	v_mov_b32_e32 v16, v15
	s_and_saveexec_b32 s31, vcc_lo
; %bb.29:                               ;   in Loop: Header=BB70_3 Depth=1
	v_dual_mov_b32 v17, v13 :: v_dual_mov_b32 v14, v12
	v_dual_mov_b32 v16, v18 :: v_dual_mov_b32 v19, v15
; %bb.30:                               ;   in Loop: Header=BB70_3 Depth=1
	s_or_b32 exec_lo, exec_lo, s31
	s_delay_alu instid0(VALU_DEP_1)
	v_dual_mov_b32 v12, v19 :: v_dual_mov_b32 v13, v16
.LBB70_31:                              ;   in Loop: Header=BB70_3 Depth=1
	s_or_b32 exec_lo, exec_lo, s0
	v_min_i32_e32 v15, 4, v32
	s_mov_b32 s31, 0
	s_mov_b32 s38, 0
                                        ; implicit-def: $sgpr33
                                        ; implicit-def: $sgpr34
                                        ; implicit-def: $sgpr35
	s_mov_b32 s0, exec_lo
	s_delay_alu instid0(VALU_DEP_1)
	v_cmpx_lt_i32_e32 2, v15
	s_xor_b32 s36, exec_lo, s0
	s_cbranch_execz .LBB70_41
; %bb.32:                               ;   in Loop: Header=BB70_3 Depth=1
	s_mov_b32 s35, -1
	s_mov_b32 s34, exec_lo
                                        ; implicit-def: $sgpr33
                                        ; implicit-def: $sgpr37
	v_cmpx_lt_i32_e32 3, v15
	s_cbranch_execz .LBB70_36
; %bb.33:                               ;   in Loop: Header=BB70_3 Depth=1
	v_cmp_le_f32_e32 vcc_lo, 0, v35
	v_cmp_ge_f32_e64 s0, 1.0, v35
	s_mov_b32 s33, 0
	s_delay_alu instid0(VALU_DEP_1)
	s_and_b32 s37, vcc_lo, s0
	s_mov_b32 s0, 0
	s_and_saveexec_b32 s35, s37
	s_cbranch_execz .LBB70_35
; %bb.34:                               ;   in Loop: Header=BB70_3 Depth=1
	v_cvt_f32_u32_e32 v16, v17
	v_lshlrev_b64 v[10:11], 3, v[10:11]
	s_mov_b32 s0, exec_lo
	s_delay_alu instid0(VALU_DEP_2) | instskip(NEXT) | instid1(VALU_DEP_2)
	v_fmaak_f32 v16, 0x2f800000, v16, 0x2f800000
	v_add_co_u32 v10, vcc_lo, s12, v10
	s_delay_alu instid0(VALU_DEP_3) | instskip(NEXT) | instid1(VALU_DEP_3)
	v_add_co_ci_u32_e32 v11, vcc_lo, s13, v11, vcc_lo
	v_cmp_le_f32_e32 vcc_lo, v16, v35
	v_mov_b32_e32 v16, v4
	v_cndmask_b32_e64 v17, 0, 0x3ff00000, vcc_lo
	global_store_b64 v[10:11], v[16:17], off
.LBB70_35:                              ;   in Loop: Header=BB70_3 Depth=1
	s_or_b32 exec_lo, exec_lo, s35
	s_mov_b32 s37, -1
	s_or_not1_b32 s35, s0, exec_lo
.LBB70_36:                              ;   in Loop: Header=BB70_3 Depth=1
	s_or_b32 exec_lo, exec_lo, s34
	s_mov_b32 s0, 0
	s_mov_b32 s38, s33
	s_and_saveexec_b32 s34, s35
	s_cbranch_execz .LBB70_40
; %bb.37:                               ;   in Loop: Header=BB70_3 Depth=1
	v_cmp_le_f32_e32 vcc_lo, 0, v34
	v_cmp_ge_f32_e64 s0, 1.0, v34
	s_delay_alu instid0(VALU_DEP_1) | instskip(SKIP_2) | instid1(SALU_CYCLE_1)
	s_and_b32 s35, vcc_lo, s0
	s_mov_b32 s0, 0
	s_and_saveexec_b32 s38, s35
	s_xor_b32 s35, exec_lo, s38
	s_cbranch_execz .LBB70_39
; %bb.38:                               ;   in Loop: Header=BB70_3 Depth=1
	v_cvt_f32_u32_e32 v10, v14
	v_lshlrev_b64 v[8:9], 3, v[8:9]
	s_mov_b32 s0, exec_lo
	s_delay_alu instid0(VALU_DEP_2) | instskip(NEXT) | instid1(VALU_DEP_2)
	v_fmaak_f32 v10, 0x2f800000, v10, 0x2f800000
	v_add_co_u32 v8, vcc_lo, s12, v8
	s_delay_alu instid0(VALU_DEP_3) | instskip(NEXT) | instid1(VALU_DEP_3)
	v_add_co_ci_u32_e32 v9, vcc_lo, s13, v9, vcc_lo
	v_cmp_le_f32_e32 vcc_lo, v10, v34
	v_mov_b32_e32 v10, v4
	v_cndmask_b32_e64 v11, 0, 0x3ff00000, vcc_lo
	global_store_b64 v[8:9], v[10:11], off
.LBB70_39:                              ;   in Loop: Header=BB70_3 Depth=1
	s_or_b32 exec_lo, exec_lo, s35
	s_delay_alu instid0(SALU_CYCLE_1)
	s_and_not1_b32 s38, s33, exec_lo
	s_or_b32 s33, s33, exec_lo
	s_and_not1_b32 s37, s37, exec_lo
	s_and_b32 s0, s0, exec_lo
.LBB70_40:                              ;   in Loop: Header=BB70_3 Depth=1
	s_or_b32 exec_lo, exec_lo, s34
	s_delay_alu instid0(SALU_CYCLE_1)
	s_and_b32 s35, s38, exec_lo
	s_and_b32 s34, s33, exec_lo
	;; [unrolled: 1-line block ×4, first 2 shown]
.LBB70_41:                              ;   in Loop: Header=BB70_3 Depth=1
	s_and_not1_saveexec_b32 s0, s36
; %bb.42:                               ;   in Loop: Header=BB70_3 Depth=1
	v_cmp_lt_i32_e32 vcc_lo, 1, v15
	s_and_not1_b32 s36, s38, exec_lo
	s_mov_b32 s31, exec_lo
	s_and_not1_b32 s35, s35, exec_lo
	s_and_not1_b32 s34, s34, exec_lo
	s_and_b32 s37, vcc_lo, exec_lo
	s_and_not1_b32 s33, s33, exec_lo
	s_or_b32 s38, s36, s37
; %bb.43:                               ;   in Loop: Header=BB70_3 Depth=1
	s_or_b32 exec_lo, exec_lo, s0
	s_mov_b32 s36, 0
	s_mov_b32 s0, 0
	;; [unrolled: 1-line block ×3, first 2 shown]
	s_and_saveexec_b32 s39, s38
	s_cbranch_execnz .LBB70_46
; %bb.44:                               ;   in Loop: Header=BB70_3 Depth=1
	s_or_b32 exec_lo, exec_lo, s39
	s_and_saveexec_b32 s38, s31
	s_cbranch_execnz .LBB70_49
.LBB70_45:                              ;   in Loop: Header=BB70_3 Depth=1
	s_or_b32 exec_lo, exec_lo, s38
	s_and_saveexec_b32 s31, s0
	s_cbranch_execnz .LBB70_50
	s_branch .LBB70_53
.LBB70_46:                              ;   in Loop: Header=BB70_3 Depth=1
	v_cmp_le_f32_e32 vcc_lo, 0, v33
	v_cmp_ge_f32_e64 s0, 1.0, v33
	s_delay_alu instid0(VALU_DEP_1) | instskip(SKIP_2) | instid1(SALU_CYCLE_1)
	s_and_b32 s37, vcc_lo, s0
	s_mov_b32 s0, 0
	s_and_saveexec_b32 s38, s37
	s_xor_b32 s37, exec_lo, s38
	s_cbranch_execz .LBB70_48
; %bb.47:                               ;   in Loop: Header=BB70_3 Depth=1
	v_cvt_f32_u32_e32 v8, v13
	v_lshlrev_b64 v[6:7], 3, v[6:7]
	s_mov_b32 s0, exec_lo
	s_delay_alu instid0(VALU_DEP_2) | instskip(NEXT) | instid1(VALU_DEP_2)
	v_fmaak_f32 v8, 0x2f800000, v8, 0x2f800000
	v_add_co_u32 v6, vcc_lo, s12, v6
	s_delay_alu instid0(VALU_DEP_3) | instskip(NEXT) | instid1(VALU_DEP_3)
	v_add_co_ci_u32_e32 v7, vcc_lo, s13, v7, vcc_lo
	v_cmp_le_f32_e32 vcc_lo, v8, v33
	v_mov_b32_e32 v8, v4
	v_cndmask_b32_e64 v9, 0, 0x3ff00000, vcc_lo
	global_store_b64 v[6:7], v[8:9], off
.LBB70_48:                              ;   in Loop: Header=BB70_3 Depth=1
	s_or_b32 exec_lo, exec_lo, s37
	s_delay_alu instid0(SALU_CYCLE_1)
	s_and_not1_b32 s37, s35, exec_lo
	s_or_b32 s35, s35, exec_lo
	s_and_not1_b32 s34, s34, exec_lo
	s_and_not1_b32 s33, s33, exec_lo
	s_and_b32 s0, s0, exec_lo
	s_and_not1_b32 s31, s31, exec_lo
	s_or_b32 exec_lo, exec_lo, s39
	s_and_saveexec_b32 s38, s31
	s_cbranch_execz .LBB70_45
.LBB70_49:                              ;   in Loop: Header=BB70_3 Depth=1
	v_cmp_eq_u32_e32 vcc_lo, 1, v15
	s_and_not1_b32 s0, s0, exec_lo
	s_mov_b32 s36, exec_lo
	s_and_not1_b32 s37, s37, exec_lo
	s_and_not1_b32 s35, s35, exec_lo
	s_and_b32 s31, vcc_lo, exec_lo
	s_and_not1_b32 s34, s34, exec_lo
	s_and_not1_b32 s33, s33, exec_lo
	s_or_b32 s0, s0, s31
	s_or_b32 exec_lo, exec_lo, s38
	s_and_saveexec_b32 s31, s0
	s_cbranch_execz .LBB70_53
.LBB70_50:                              ;   in Loop: Header=BB70_3 Depth=1
	v_cmp_le_f32_e32 vcc_lo, 0, v3
	v_cmp_ge_f32_e64 s0, 1.0, v3
	s_delay_alu instid0(VALU_DEP_1)
	s_and_b32 s39, vcc_lo, s0
	s_mov_b32 s0, 0
	s_and_saveexec_b32 s38, s39
	s_cbranch_execz .LBB70_52
; %bb.51:                               ;   in Loop: Header=BB70_3 Depth=1
	v_cvt_f32_u32_e32 v7, v12
	v_mov_b32_e32 v6, v4
	s_mov_b32 s0, exec_lo
	s_delay_alu instid0(VALU_DEP_2) | instskip(NEXT) | instid1(VALU_DEP_2)
	v_fmaak_f32 v7, 0x2f800000, v7, 0x2f800000
	v_lshlrev_b64 v[5:6], 3, v[5:6]
	s_delay_alu instid0(VALU_DEP_2) | instskip(SKIP_1) | instid1(VALU_DEP_3)
	v_cmp_le_f32_e32 vcc_lo, v7, v3
	v_cndmask_b32_e64 v7, 0, 0x3ff00000, vcc_lo
	v_add_co_u32 v8, vcc_lo, s12, v5
	s_delay_alu instid0(VALU_DEP_4)
	v_add_co_ci_u32_e32 v9, vcc_lo, s13, v6, vcc_lo
	v_mov_b32_e32 v6, v4
	global_store_b64 v[8:9], v[6:7], off
.LBB70_52:                              ;   in Loop: Header=BB70_3 Depth=1
	s_or_b32 exec_lo, exec_lo, s38
	s_delay_alu instid0(SALU_CYCLE_1)
	s_and_not1_b32 s36, s36, exec_lo
	s_and_b32 s0, s0, exec_lo
	s_or_b32 s37, s37, exec_lo
	s_and_not1_b32 s35, s35, exec_lo
	s_and_not1_b32 s34, s34, exec_lo
	;; [unrolled: 1-line block ×3, first 2 shown]
	s_or_b32 s36, s36, s0
.LBB70_53:                              ;   in Loop: Header=BB70_3 Depth=1
	s_or_b32 exec_lo, exec_lo, s31
	s_delay_alu instid0(SALU_CYCLE_1)
	s_and_not1_b32 s30, s30, exec_lo
	s_and_b32 s31, s37, exec_lo
	s_and_not1_b32 s28, s28, exec_lo
	s_and_b32 s35, s35, exec_lo
	s_or_b32 s30, s30, s31
	s_and_not1_b32 s29, s29, exec_lo
	s_and_b32 s31, s34, exec_lo
	s_and_not1_b32 s27, s27, exec_lo
	s_and_b32 s33, s33, exec_lo
	s_mov_b32 s0, -1
	s_or_b32 s28, s28, s35
	s_or_b32 s29, s29, s31
	;; [unrolled: 1-line block ×3, first 2 shown]
	s_and_saveexec_b32 s31, s36
	s_cbranch_execz .LBB70_2
; %bb.54:                               ;   in Loop: Header=BB70_3 Depth=1
	v_add_nc_u32_e32 v0, s24, v0
	v_subrev_nc_u32_e32 v32, s24, v32
	s_and_not1_b32 s30, s30, exec_lo
	s_and_not1_b32 s28, s28, exec_lo
	s_and_not1_b32 s29, s29, exec_lo
	v_cmp_le_u32_e32 vcc_lo, s16, v0
	s_and_not1_b32 s27, s27, exec_lo
	s_or_not1_b32 s0, vcc_lo, exec_lo
	s_branch .LBB70_2
.LBB70_55:
	s_or_b32 exec_lo, exec_lo, s22
	s_xor_b32 s4, s25, -1
	s_xor_b32 s5, s26, -1
	;; [unrolled: 1-line block ×3, first 2 shown]
	s_mov_b32 s2, 0
	s_and_saveexec_b32 s3, s0
	s_delay_alu instid0(SALU_CYCLE_1)
	s_xor_b32 s0, exec_lo, s3
	s_cbranch_execz .LBB70_64
; %bb.56:
	s_mov_b32 s3, 0
	s_and_saveexec_b32 s2, s5
	s_delay_alu instid0(SALU_CYCLE_1)
	s_xor_b32 s2, exec_lo, s2
	s_cbranch_execz .LBB70_62
; %bb.57:
	s_and_saveexec_b32 s5, s4
	s_delay_alu instid0(SALU_CYCLE_1)
	s_xor_b32 s4, exec_lo, s5
	s_cbranch_execz .LBB70_60
; %bb.58:
	s_and_saveexec_b32 s5, s1
	s_delay_alu instid0(SALU_CYCLE_1)
	s_xor_b32 s1, exec_lo, s5
	s_cbranch_execnz .LBB70_78
.LBB70_59:
	s_or_b32 exec_lo, exec_lo, s1
	s_delay_alu instid0(SALU_CYCLE_1)
	s_and_b32 s3, s3, exec_lo
.LBB70_60:
	s_and_not1_saveexec_b32 s1, s4
	s_cbranch_execnz .LBB70_74
.LBB70_61:
	s_or_b32 exec_lo, exec_lo, s1
	s_delay_alu instid0(SALU_CYCLE_1)
	s_and_b32 s3, s3, exec_lo
.LBB70_62:
	s_and_not1_saveexec_b32 s1, s2
	s_cbranch_execnz .LBB70_70
.LBB70_63:
	s_or_b32 exec_lo, exec_lo, s1
	s_delay_alu instid0(SALU_CYCLE_1)
	s_and_b32 s2, s3, exec_lo
.LBB70_64:
	s_and_not1_saveexec_b32 s0, s0
	s_cbranch_execnz .LBB70_68
; %bb.65:
	s_or_b32 exec_lo, exec_lo, s0
	s_delay_alu instid0(SALU_CYCLE_1)
	s_and_b32 exec_lo, exec_lo, s2
.LBB70_66:
	; divergent unreachable
.LBB70_67:
	s_nop 0
	s_sendmsg sendmsg(MSG_DEALLOC_VGPRS)
	s_endpgm
.LBB70_68:
	s_cbranch_execnz .LBB70_72
; %bb.69:
	s_or_b32 s2, s2, exec_lo
	s_or_b32 exec_lo, exec_lo, s0
	s_delay_alu instid0(SALU_CYCLE_1)
	s_and_b32 exec_lo, exec_lo, s2
	s_cbranch_execnz .LBB70_66
	s_branch .LBB70_67
.LBB70_70:
	s_cbranch_execnz .LBB70_76
; %bb.71:
	s_or_b32 s3, s3, exec_lo
	s_branch .LBB70_63
.LBB70_72:
	s_trap 2
	s_sendmsg_rtn_b32 s0, sendmsg(MSG_RTN_GET_DOORBELL)
	s_mov_b32 ttmp2, m0
	s_waitcnt lgkmcnt(0)
	s_and_b32 s0, s0, 0x3ff
	s_delay_alu instid0(SALU_CYCLE_1) | instskip(NEXT) | instid1(SALU_CYCLE_1)
	s_bitset1_b32 s0, 10
	s_mov_b32 m0, s0
	s_sendmsg sendmsg(MSG_INTERRUPT)
	s_mov_b32 m0, ttmp2
.LBB70_73:                              ; =>This Inner Loop Header: Depth=1
	s_sethalt 5
	s_branch .LBB70_73
.LBB70_74:
	s_cbranch_execnz .LBB70_80
; %bb.75:
	s_or_b32 s3, s3, exec_lo
	s_branch .LBB70_61
.LBB70_76:
	s_trap 2
	s_sendmsg_rtn_b32 s0, sendmsg(MSG_RTN_GET_DOORBELL)
	s_mov_b32 ttmp2, m0
	s_waitcnt lgkmcnt(0)
	s_and_b32 s0, s0, 0x3ff
	s_delay_alu instid0(SALU_CYCLE_1) | instskip(NEXT) | instid1(SALU_CYCLE_1)
	s_bitset1_b32 s0, 10
	s_mov_b32 m0, s0
	s_sendmsg sendmsg(MSG_INTERRUPT)
	s_mov_b32 m0, ttmp2
.LBB70_77:                              ; =>This Inner Loop Header: Depth=1
	s_sethalt 5
	s_branch .LBB70_77
.LBB70_78:
	s_cbranch_execnz .LBB70_82
; %bb.79:
	s_mov_b32 s3, exec_lo
	s_branch .LBB70_59
.LBB70_80:
	s_trap 2
	s_sendmsg_rtn_b32 s0, sendmsg(MSG_RTN_GET_DOORBELL)
	s_mov_b32 ttmp2, m0
	s_waitcnt lgkmcnt(0)
	s_and_b32 s0, s0, 0x3ff
	s_delay_alu instid0(SALU_CYCLE_1) | instskip(NEXT) | instid1(SALU_CYCLE_1)
	s_bitset1_b32 s0, 10
	s_mov_b32 m0, s0
	s_sendmsg sendmsg(MSG_INTERRUPT)
	s_mov_b32 m0, ttmp2
.LBB70_81:                              ; =>This Inner Loop Header: Depth=1
	s_sethalt 5
	s_branch .LBB70_81
.LBB70_82:
	s_trap 2
	s_sendmsg_rtn_b32 s0, sendmsg(MSG_RTN_GET_DOORBELL)
	s_mov_b32 ttmp2, m0
	s_waitcnt lgkmcnt(0)
	s_and_b32 s0, s0, 0x3ff
	s_delay_alu instid0(SALU_CYCLE_1) | instskip(NEXT) | instid1(SALU_CYCLE_1)
	s_bitset1_b32 s0, 10
	s_mov_b32 m0, s0
	s_sendmsg sendmsg(MSG_INTERRUPT)
	s_mov_b32 m0, ttmp2
.LBB70_83:                              ; =>This Inner Loop Header: Depth=1
	s_sethalt 5
	s_branch .LBB70_83
	.section	.rodata,"a",@progbits
	.p2align	6, 0x0
	.amdhsa_kernel _ZN2at4cuda12_GLOBAL__N_121kernelPointwiseApply2IZNS_6native9templates4cuda28bernoulli_tensor_cuda_kernelIdfEEvRKNS_10TensorBaseES9_NS_15PhiloxCudaStateEEUliRdSB_SB_SB_RKfSD_SD_SD_E_dSC_jLi2ELi2ELi4ELi512ELi2EEEvNS0_6detail10TensorInfoIT0_T2_EENSG_IT1_SI_EESI_T_
		.amdhsa_group_segment_fixed_size 0
		.amdhsa_private_segment_fixed_size 0
		.amdhsa_kernarg_size 728
		.amdhsa_user_sgpr_count 15
		.amdhsa_user_sgpr_dispatch_ptr 0
		.amdhsa_user_sgpr_queue_ptr 0
		.amdhsa_user_sgpr_kernarg_segment_ptr 1
		.amdhsa_user_sgpr_dispatch_id 0
		.amdhsa_user_sgpr_private_segment_size 0
		.amdhsa_wavefront_size32 1
		.amdhsa_uses_dynamic_stack 0
		.amdhsa_enable_private_segment 0
		.amdhsa_system_sgpr_workgroup_id_x 1
		.amdhsa_system_sgpr_workgroup_id_y 0
		.amdhsa_system_sgpr_workgroup_id_z 0
		.amdhsa_system_sgpr_workgroup_info 0
		.amdhsa_system_vgpr_workitem_id 0
		.amdhsa_next_free_vgpr 44
		.amdhsa_next_free_sgpr 40
		.amdhsa_reserve_vcc 1
		.amdhsa_float_round_mode_32 0
		.amdhsa_float_round_mode_16_64 0
		.amdhsa_float_denorm_mode_32 3
		.amdhsa_float_denorm_mode_16_64 3
		.amdhsa_dx10_clamp 1
		.amdhsa_ieee_mode 1
		.amdhsa_fp16_overflow 0
		.amdhsa_workgroup_processor_mode 1
		.amdhsa_memory_ordered 1
		.amdhsa_forward_progress 0
		.amdhsa_shared_vgpr_count 0
		.amdhsa_exception_fp_ieee_invalid_op 0
		.amdhsa_exception_fp_denorm_src 0
		.amdhsa_exception_fp_ieee_div_zero 0
		.amdhsa_exception_fp_ieee_overflow 0
		.amdhsa_exception_fp_ieee_underflow 0
		.amdhsa_exception_fp_ieee_inexact 0
		.amdhsa_exception_int_div_zero 0
	.end_amdhsa_kernel
	.section	.text._ZN2at4cuda12_GLOBAL__N_121kernelPointwiseApply2IZNS_6native9templates4cuda28bernoulli_tensor_cuda_kernelIdfEEvRKNS_10TensorBaseES9_NS_15PhiloxCudaStateEEUliRdSB_SB_SB_RKfSD_SD_SD_E_dSC_jLi2ELi2ELi4ELi512ELi2EEEvNS0_6detail10TensorInfoIT0_T2_EENSG_IT1_SI_EESI_T_,"axG",@progbits,_ZN2at4cuda12_GLOBAL__N_121kernelPointwiseApply2IZNS_6native9templates4cuda28bernoulli_tensor_cuda_kernelIdfEEvRKNS_10TensorBaseES9_NS_15PhiloxCudaStateEEUliRdSB_SB_SB_RKfSD_SD_SD_E_dSC_jLi2ELi2ELi4ELi512ELi2EEEvNS0_6detail10TensorInfoIT0_T2_EENSG_IT1_SI_EESI_T_,comdat
.Lfunc_end70:
	.size	_ZN2at4cuda12_GLOBAL__N_121kernelPointwiseApply2IZNS_6native9templates4cuda28bernoulli_tensor_cuda_kernelIdfEEvRKNS_10TensorBaseES9_NS_15PhiloxCudaStateEEUliRdSB_SB_SB_RKfSD_SD_SD_E_dSC_jLi2ELi2ELi4ELi512ELi2EEEvNS0_6detail10TensorInfoIT0_T2_EENSG_IT1_SI_EESI_T_, .Lfunc_end70-_ZN2at4cuda12_GLOBAL__N_121kernelPointwiseApply2IZNS_6native9templates4cuda28bernoulli_tensor_cuda_kernelIdfEEvRKNS_10TensorBaseES9_NS_15PhiloxCudaStateEEUliRdSB_SB_SB_RKfSD_SD_SD_E_dSC_jLi2ELi2ELi4ELi512ELi2EEEvNS0_6detail10TensorInfoIT0_T2_EENSG_IT1_SI_EESI_T_
                                        ; -- End function
	.section	.AMDGPU.csdata,"",@progbits
; Kernel info:
; codeLenInByte = 4268
; NumSgprs: 42
; NumVgprs: 44
; ScratchSize: 0
; MemoryBound: 0
; FloatMode: 240
; IeeeMode: 1
; LDSByteSize: 0 bytes/workgroup (compile time only)
; SGPRBlocks: 5
; VGPRBlocks: 5
; NumSGPRsForWavesPerEU: 42
; NumVGPRsForWavesPerEU: 44
; Occupancy: 16
; WaveLimiterHint : 1
; COMPUTE_PGM_RSRC2:SCRATCH_EN: 0
; COMPUTE_PGM_RSRC2:USER_SGPR: 15
; COMPUTE_PGM_RSRC2:TRAP_HANDLER: 0
; COMPUTE_PGM_RSRC2:TGID_X_EN: 1
; COMPUTE_PGM_RSRC2:TGID_Y_EN: 0
; COMPUTE_PGM_RSRC2:TGID_Z_EN: 0
; COMPUTE_PGM_RSRC2:TIDIG_COMP_CNT: 0
	.section	.text._ZN2at4cuda12_GLOBAL__N_121kernelPointwiseApply2IZNS_6native9templates4cuda28bernoulli_tensor_cuda_kernelIdfEEvRKNS_10TensorBaseES9_NS_15PhiloxCudaStateEEUliRdSB_SB_SB_RKfSD_SD_SD_E_dSC_jLi2ELin1ELi4ELi512ELi2EEEvNS0_6detail10TensorInfoIT0_T2_EENSG_IT1_SI_EESI_T_,"axG",@progbits,_ZN2at4cuda12_GLOBAL__N_121kernelPointwiseApply2IZNS_6native9templates4cuda28bernoulli_tensor_cuda_kernelIdfEEvRKNS_10TensorBaseES9_NS_15PhiloxCudaStateEEUliRdSB_SB_SB_RKfSD_SD_SD_E_dSC_jLi2ELin1ELi4ELi512ELi2EEEvNS0_6detail10TensorInfoIT0_T2_EENSG_IT1_SI_EESI_T_,comdat
	.globl	_ZN2at4cuda12_GLOBAL__N_121kernelPointwiseApply2IZNS_6native9templates4cuda28bernoulli_tensor_cuda_kernelIdfEEvRKNS_10TensorBaseES9_NS_15PhiloxCudaStateEEUliRdSB_SB_SB_RKfSD_SD_SD_E_dSC_jLi2ELin1ELi4ELi512ELi2EEEvNS0_6detail10TensorInfoIT0_T2_EENSG_IT1_SI_EESI_T_ ; -- Begin function _ZN2at4cuda12_GLOBAL__N_121kernelPointwiseApply2IZNS_6native9templates4cuda28bernoulli_tensor_cuda_kernelIdfEEvRKNS_10TensorBaseES9_NS_15PhiloxCudaStateEEUliRdSB_SB_SB_RKfSD_SD_SD_E_dSC_jLi2ELin1ELi4ELi512ELi2EEEvNS0_6detail10TensorInfoIT0_T2_EENSG_IT1_SI_EESI_T_
	.p2align	8
	.type	_ZN2at4cuda12_GLOBAL__N_121kernelPointwiseApply2IZNS_6native9templates4cuda28bernoulli_tensor_cuda_kernelIdfEEvRKNS_10TensorBaseES9_NS_15PhiloxCudaStateEEUliRdSB_SB_SB_RKfSD_SD_SD_E_dSC_jLi2ELin1ELi4ELi512ELi2EEEvNS0_6detail10TensorInfoIT0_T2_EENSG_IT1_SI_EESI_T_,@function
_ZN2at4cuda12_GLOBAL__N_121kernelPointwiseApply2IZNS_6native9templates4cuda28bernoulli_tensor_cuda_kernelIdfEEvRKNS_10TensorBaseES9_NS_15PhiloxCudaStateEEUliRdSB_SB_SB_RKfSD_SD_SD_E_dSC_jLi2ELin1ELi4ELi512ELi2EEEvNS0_6detail10TensorInfoIT0_T2_EENSG_IT1_SI_EESI_T_: ; @_ZN2at4cuda12_GLOBAL__N_121kernelPointwiseApply2IZNS_6native9templates4cuda28bernoulli_tensor_cuda_kernelIdfEEvRKNS_10TensorBaseES9_NS_15PhiloxCudaStateEEUliRdSB_SB_SB_RKfSD_SD_SD_E_dSC_jLi2ELin1ELi4ELi512ELi2EEEvNS0_6detail10TensorInfoIT0_T2_EENSG_IT1_SI_EESI_T_
; %bb.0:
	s_clause 0x1
	s_load_b32 s2, s[0:1], 0x1e4
	s_load_b32 s18, s[0:1], 0x1b0
	s_add_u32 s4, s0, 0x1d8
	s_addc_u32 s5, s1, 0
	s_waitcnt lgkmcnt(0)
	s_and_b32 s14, s2, 0xffff
	s_mov_b32 s2, exec_lo
	v_mad_u64_u32 v[1:2], null, s15, s14, v[0:1]
	s_delay_alu instid0(VALU_DEP_1) | instskip(NEXT) | instid1(VALU_DEP_1)
	v_lshlrev_b32_e32 v27, 2, v1
	v_cmpx_gt_u32_e64 s18, v27
	s_cbranch_execz .LBB71_81
; %bb.1:
	s_clause 0x4
	s_load_b32 s19, s[0:1], 0xc
	s_load_b32 s16, s[0:1], 0x1a8
	;; [unrolled: 1-line block ×3, first 2 shown]
	s_load_b64 s[2:3], s[0:1], 0x6c
	s_load_b64 s[8:9], s[0:1], 0xd8
	s_add_u32 s17, s0, 0xd8
	s_load_b32 s15, s[4:5], 0x0
	s_load_b32 s20, s[0:1], 0x144
	s_addc_u32 s23, s1, 0
	s_load_b64 s[10:11], s[0:1], 0x0
	v_mad_u64_u32 v[2:3], null, 0xcd9e8d57, v1, 0
                                        ; implicit-def: $sgpr26
                                        ; implicit-def: $sgpr28
                                        ; implicit-def: $sgpr27
                                        ; implicit-def: $sgpr29
                                        ; implicit-def: $sgpr31
                                        ; implicit-def: $sgpr30
                                        ; implicit-def: $sgpr33
	s_delay_alu instid0(VALU_DEP_1)
	v_mov_b32_e32 v28, v3
	s_waitcnt lgkmcnt(0)
	v_cvt_f32_u32_e32 v0, s19
	s_cmp_gt_i32 s16, 1
	s_cselect_b32 s21, -1, 0
	s_bitcmp1_b32 s6, 0
	s_delay_alu instid0(VALU_DEP_1)
	v_rcp_iflag_f32_e32 v0, v0
	s_cselect_b32 s22, -1, 0
	s_sub_i32 s4, 0, s19
	s_mul_i32 s15, s15, s14
	s_add_i32 s25, s16, 1
	s_lshl_b32 s24, s15, 2
	s_waitcnt_depctr 0xfff
	v_mul_f32_e32 v0, 0x4f7ffffe, v0
	s_delay_alu instid0(VALU_DEP_1) | instskip(NEXT) | instid1(VALU_DEP_1)
	v_cvt_u32_f32_e32 v0, v0
	v_mul_lo_u32 v5, s4, v0
	s_clause 0x1
	s_load_b64 s[12:13], s[0:1], 0x1c8
	s_load_b128 s[4:7], s[0:1], 0x1b8
	s_mov_b32 s1, 0
	s_add_i32 s0, s16, -1
	s_delay_alu instid0(SALU_CYCLE_1) | instskip(NEXT) | instid1(SALU_CYCLE_1)
	s_lshl_b64 s[14:15], s[0:1], 2
	s_add_u32 s0, s14, s17
	v_mul_hi_u32 v5, v0, v5
	v_mov_b32_e32 v4, 0
	s_addc_u32 s15, s15, s23
	s_add_u32 s14, s0, 8
	s_addc_u32 s15, s15, 0
                                        ; implicit-def: $sgpr23
	s_delay_alu instid0(VALU_DEP_2)
	v_add_nc_u32_e32 v29, v0, v5
	s_branch .LBB71_3
.LBB71_2:                               ;   in Loop: Header=BB71_3 Depth=1
	s_or_b32 exec_lo, exec_lo, s16
	s_delay_alu instid0(SALU_CYCLE_1) | instskip(NEXT) | instid1(SALU_CYCLE_1)
	s_and_b32 s0, exec_lo, s0
	s_or_b32 s1, s0, s1
	s_and_not1_b32 s0, s23, exec_lo
	s_and_b32 s16, s33, exec_lo
	s_and_not1_b32 s17, s27, exec_lo
	s_and_b32 s27, s30, exec_lo
	s_or_b32 s23, s0, s16
	s_or_b32 s27, s17, s27
	s_and_not1_b32 s0, s28, exec_lo
	s_and_b32 s16, s31, exec_lo
	s_and_not1_b32 s17, s26, exec_lo
	s_and_b32 s26, s29, exec_lo
	s_or_b32 s28, s0, s16
	s_or_b32 s26, s17, s26
	s_and_not1_b32 exec_lo, exec_lo, s1
	s_cbranch_execz .LBB71_69
.LBB71_3:                               ; =>This Loop Header: Depth=1
                                        ;     Child Loop BB71_8 Depth 2
                                        ;     Child Loop BB71_15 Depth 2
	;; [unrolled: 1-line block ×4, first 2 shown]
	v_sub_nc_u32_e32 v30, s18, v27
	v_mov_b32_e32 v5, 0
	s_delay_alu instid0(VALU_DEP_2)
	v_cmp_lt_i32_e32 vcc_lo, 0, v30
	s_and_saveexec_b32 s16, vcc_lo
	s_cbranch_execz .LBB71_5
; %bb.4:                                ;   in Loop: Header=BB71_3 Depth=1
	v_mul_hi_u32 v0, v27, v29
	s_delay_alu instid0(VALU_DEP_1) | instskip(SKIP_1) | instid1(VALU_DEP_2)
	v_mul_lo_u32 v3, v0, s19
	v_add_nc_u32_e32 v5, 1, v0
	v_sub_nc_u32_e32 v3, v27, v3
	s_delay_alu instid0(VALU_DEP_1) | instskip(SKIP_1) | instid1(VALU_DEP_1)
	v_subrev_nc_u32_e32 v6, s19, v3
	v_cmp_le_u32_e64 s0, s19, v3
	v_cndmask_b32_e64 v0, v0, v5, s0
	s_delay_alu instid0(VALU_DEP_3) | instskip(NEXT) | instid1(VALU_DEP_2)
	v_cndmask_b32_e64 v3, v3, v6, s0
	v_add_nc_u32_e32 v5, 1, v0
	s_delay_alu instid0(VALU_DEP_2) | instskip(NEXT) | instid1(VALU_DEP_1)
	v_cmp_le_u32_e64 s0, s19, v3
	v_cndmask_b32_e64 v3, v0, v5, s0
	s_delay_alu instid0(VALU_DEP_1) | instskip(NEXT) | instid1(VALU_DEP_1)
	v_mul_lo_u32 v0, v3, s19
	v_sub_nc_u32_e32 v0, v27, v0
	s_delay_alu instid0(VALU_DEP_1) | instskip(NEXT) | instid1(VALU_DEP_1)
	v_mul_lo_u32 v0, v0, s3
	v_mad_u64_u32 v[5:6], null, v3, s2, v[0:1]
.LBB71_5:                               ;   in Loop: Header=BB71_3 Depth=1
	s_or_b32 exec_lo, exec_lo, s16
	v_mov_b32_e32 v3, 0
	s_and_saveexec_b32 s0, vcc_lo
	s_cbranch_execz .LBB71_10
; %bb.6:                                ;   in Loop: Header=BB71_3 Depth=1
	v_dual_mov_b32 v0, 0 :: v_dual_mov_b32 v3, v27
	s_and_not1_b32 vcc_lo, exec_lo, s21
	s_cbranch_vccnz .LBB71_9
; %bb.7:                                ;   in Loop: Header=BB71_3 Depth=1
	v_dual_mov_b32 v0, 0 :: v_dual_mov_b32 v3, v27
	s_mov_b64 s[16:17], s[14:15]
	s_mov_b32 s34, s25
	s_set_inst_prefetch_distance 0x1
	.p2align	6
.LBB71_8:                               ;   Parent Loop BB71_3 Depth=1
                                        ; =>  This Inner Loop Header: Depth=2
	s_clause 0x1
	s_load_b32 s35, s[16:17], 0x0
	s_load_b32 s36, s[16:17], 0x64
	s_add_i32 s34, s34, -1
	s_waitcnt lgkmcnt(0)
	v_cvt_f32_u32_e32 v6, s35
	s_sub_i32 s37, 0, s35
	s_add_u32 s16, s16, -4
	s_addc_u32 s17, s17, -1
	s_cmp_gt_u32 s34, 2
	v_rcp_iflag_f32_e32 v6, v6
	s_waitcnt_depctr 0xfff
	v_mul_f32_e32 v6, 0x4f7ffffe, v6
	s_delay_alu instid0(VALU_DEP_1) | instskip(NEXT) | instid1(VALU_DEP_1)
	v_cvt_u32_f32_e32 v6, v6
	v_mul_lo_u32 v7, s37, v6
	s_delay_alu instid0(VALU_DEP_1) | instskip(NEXT) | instid1(VALU_DEP_1)
	v_mul_hi_u32 v7, v6, v7
	v_dual_mov_b32 v8, v3 :: v_dual_add_nc_u32 v3, v6, v7
	s_delay_alu instid0(VALU_DEP_1) | instskip(NEXT) | instid1(VALU_DEP_1)
	v_mul_hi_u32 v3, v8, v3
	v_mul_lo_u32 v6, v3, s35
	v_add_nc_u32_e32 v7, 1, v3
	s_delay_alu instid0(VALU_DEP_2) | instskip(NEXT) | instid1(VALU_DEP_1)
	v_sub_nc_u32_e32 v6, v8, v6
	v_subrev_nc_u32_e32 v9, s35, v6
	v_cmp_le_u32_e32 vcc_lo, s35, v6
	s_delay_alu instid0(VALU_DEP_2) | instskip(NEXT) | instid1(VALU_DEP_1)
	v_dual_cndmask_b32 v3, v3, v7 :: v_dual_cndmask_b32 v6, v6, v9
	v_add_nc_u32_e32 v7, 1, v3
	s_delay_alu instid0(VALU_DEP_2) | instskip(NEXT) | instid1(VALU_DEP_2)
	v_cmp_le_u32_e32 vcc_lo, s35, v6
	v_cndmask_b32_e32 v3, v3, v7, vcc_lo
	s_delay_alu instid0(VALU_DEP_1) | instskip(NEXT) | instid1(VALU_DEP_1)
	v_mul_lo_u32 v6, v3, s35
	v_sub_nc_u32_e32 v8, v8, v6
	s_delay_alu instid0(VALU_DEP_1) | instskip(NEXT) | instid1(VALU_DEP_1)
	v_mad_u64_u32 v[6:7], null, s36, v8, v[0:1]
	v_mov_b32_e32 v0, v6
	s_cbranch_scc1 .LBB71_8
.LBB71_9:                               ;   in Loop: Header=BB71_3 Depth=1
	s_set_inst_prefetch_distance 0x2
	s_delay_alu instid0(VALU_DEP_1) | instskip(NEXT) | instid1(VALU_DEP_1)
	v_mad_u64_u32 v[6:7], null, s20, v3, v[0:1]
	v_mov_b32_e32 v3, v6
.LBB71_10:                              ;   in Loop: Header=BB71_3 Depth=1
	s_or_b32 exec_lo, exec_lo, s0
	v_or_b32_e32 v8, 1, v27
	v_cmp_lt_i32_e32 vcc_lo, 1, v30
	v_mov_b32_e32 v10, 0
	v_mov_b32_e32 v6, 0
	s_and_saveexec_b32 s16, vcc_lo
	s_cbranch_execz .LBB71_12
; %bb.11:                               ;   in Loop: Header=BB71_3 Depth=1
	v_mul_hi_u32 v0, v8, v29
	s_delay_alu instid0(VALU_DEP_1) | instskip(SKIP_1) | instid1(VALU_DEP_2)
	v_mul_lo_u32 v6, v0, s19
	v_add_nc_u32_e32 v7, 1, v0
	v_sub_nc_u32_e32 v6, v8, v6
	s_delay_alu instid0(VALU_DEP_1) | instskip(SKIP_1) | instid1(VALU_DEP_1)
	v_subrev_nc_u32_e32 v9, s19, v6
	v_cmp_le_u32_e64 s0, s19, v6
	v_cndmask_b32_e64 v0, v0, v7, s0
	s_delay_alu instid0(VALU_DEP_3) | instskip(NEXT) | instid1(VALU_DEP_2)
	v_cndmask_b32_e64 v6, v6, v9, s0
	v_add_nc_u32_e32 v7, 1, v0
	s_delay_alu instid0(VALU_DEP_2) | instskip(NEXT) | instid1(VALU_DEP_1)
	v_cmp_le_u32_e64 s0, s19, v6
	v_cndmask_b32_e64 v9, v0, v7, s0
	s_delay_alu instid0(VALU_DEP_1) | instskip(NEXT) | instid1(VALU_DEP_1)
	v_mul_lo_u32 v0, v9, s19
	v_sub_nc_u32_e32 v0, v8, v0
	s_delay_alu instid0(VALU_DEP_1) | instskip(NEXT) | instid1(VALU_DEP_1)
	v_mul_lo_u32 v0, v0, s3
	v_mad_u64_u32 v[6:7], null, v9, s2, v[0:1]
.LBB71_12:                              ;   in Loop: Header=BB71_3 Depth=1
	s_or_b32 exec_lo, exec_lo, s16
	s_and_saveexec_b32 s0, vcc_lo
	s_cbranch_execz .LBB71_17
; %bb.13:                               ;   in Loop: Header=BB71_3 Depth=1
	v_mov_b32_e32 v0, 0
	s_and_not1_b32 vcc_lo, exec_lo, s21
	s_cbranch_vccnz .LBB71_16
; %bb.14:                               ;   in Loop: Header=BB71_3 Depth=1
	v_mov_b32_e32 v0, 0
	s_mov_b64 s[16:17], s[14:15]
	s_mov_b32 s34, s25
	s_set_inst_prefetch_distance 0x1
	.p2align	6
.LBB71_15:                              ;   Parent Loop BB71_3 Depth=1
                                        ; =>  This Inner Loop Header: Depth=2
	s_clause 0x1
	s_load_b32 s35, s[16:17], 0x0
	s_load_b32 s36, s[16:17], 0x64
	s_add_i32 s34, s34, -1
	v_mov_b32_e32 v10, v8
	s_waitcnt lgkmcnt(0)
	v_cvt_f32_u32_e32 v7, s35
	s_sub_i32 s37, 0, s35
	s_add_u32 s16, s16, -4
	s_addc_u32 s17, s17, -1
	s_cmp_gt_u32 s34, 2
	v_rcp_iflag_f32_e32 v7, v7
	s_waitcnt_depctr 0xfff
	v_mul_f32_e32 v7, 0x4f7ffffe, v7
	s_delay_alu instid0(VALU_DEP_1) | instskip(NEXT) | instid1(VALU_DEP_1)
	v_cvt_u32_f32_e32 v7, v7
	v_mul_lo_u32 v9, s37, v7
	s_delay_alu instid0(VALU_DEP_1) | instskip(NEXT) | instid1(VALU_DEP_1)
	v_mul_hi_u32 v9, v7, v9
	v_add_nc_u32_e32 v7, v7, v9
	s_delay_alu instid0(VALU_DEP_1) | instskip(NEXT) | instid1(VALU_DEP_1)
	v_mul_hi_u32 v7, v10, v7
	v_mul_lo_u32 v8, v7, s35
	v_add_nc_u32_e32 v9, 1, v7
	s_delay_alu instid0(VALU_DEP_2) | instskip(NEXT) | instid1(VALU_DEP_1)
	v_sub_nc_u32_e32 v8, v10, v8
	v_subrev_nc_u32_e32 v11, s35, v8
	v_cmp_le_u32_e32 vcc_lo, s35, v8
	s_delay_alu instid0(VALU_DEP_2) | instskip(NEXT) | instid1(VALU_DEP_1)
	v_dual_cndmask_b32 v8, v8, v11 :: v_dual_cndmask_b32 v7, v7, v9
	v_cmp_le_u32_e32 vcc_lo, s35, v8
	s_delay_alu instid0(VALU_DEP_2) | instskip(NEXT) | instid1(VALU_DEP_1)
	v_add_nc_u32_e32 v9, 1, v7
	v_cndmask_b32_e32 v8, v7, v9, vcc_lo
	s_delay_alu instid0(VALU_DEP_1) | instskip(NEXT) | instid1(VALU_DEP_1)
	v_mul_lo_u32 v7, v8, s35
	v_sub_nc_u32_e32 v7, v10, v7
	s_delay_alu instid0(VALU_DEP_1) | instskip(NEXT) | instid1(VALU_DEP_1)
	v_mad_u64_u32 v[9:10], null, s36, v7, v[0:1]
	v_mov_b32_e32 v0, v9
	s_cbranch_scc1 .LBB71_15
.LBB71_16:                              ;   in Loop: Header=BB71_3 Depth=1
	s_set_inst_prefetch_distance 0x2
	s_delay_alu instid0(VALU_DEP_1)
	v_mad_u64_u32 v[10:11], null, s20, v8, v[0:1]
.LBB71_17:                              ;   in Loop: Header=BB71_3 Depth=1
	s_or_b32 exec_lo, exec_lo, s0
	v_or_b32_e32 v9, 2, v27
	v_cmp_lt_i32_e32 vcc_lo, 2, v30
	v_mov_b32_e32 v7, 0
	s_and_saveexec_b32 s16, vcc_lo
	s_cbranch_execz .LBB71_19
; %bb.18:                               ;   in Loop: Header=BB71_3 Depth=1
	v_mul_hi_u32 v0, v9, v29
	s_delay_alu instid0(VALU_DEP_1) | instskip(SKIP_1) | instid1(VALU_DEP_2)
	v_mul_lo_u32 v7, v0, s19
	v_add_nc_u32_e32 v8, 1, v0
	v_sub_nc_u32_e32 v7, v9, v7
	s_delay_alu instid0(VALU_DEP_1) | instskip(SKIP_1) | instid1(VALU_DEP_1)
	v_subrev_nc_u32_e32 v11, s19, v7
	v_cmp_le_u32_e64 s0, s19, v7
	v_cndmask_b32_e64 v0, v0, v8, s0
	s_delay_alu instid0(VALU_DEP_3) | instskip(NEXT) | instid1(VALU_DEP_2)
	v_cndmask_b32_e64 v7, v7, v11, s0
	v_add_nc_u32_e32 v8, 1, v0
	s_delay_alu instid0(VALU_DEP_2) | instskip(NEXT) | instid1(VALU_DEP_1)
	v_cmp_le_u32_e64 s0, s19, v7
	v_cndmask_b32_e64 v11, v0, v8, s0
	s_delay_alu instid0(VALU_DEP_1) | instskip(NEXT) | instid1(VALU_DEP_1)
	v_mul_lo_u32 v0, v11, s19
	v_sub_nc_u32_e32 v0, v9, v0
	s_delay_alu instid0(VALU_DEP_1) | instskip(NEXT) | instid1(VALU_DEP_1)
	v_mul_lo_u32 v0, v0, s3
	v_mad_u64_u32 v[7:8], null, v11, s2, v[0:1]
.LBB71_19:                              ;   in Loop: Header=BB71_3 Depth=1
	s_or_b32 exec_lo, exec_lo, s16
	v_mov_b32_e32 v12, 0
	v_mov_b32_e32 v13, 0
	s_and_saveexec_b32 s0, vcc_lo
	s_cbranch_execz .LBB71_24
; %bb.20:                               ;   in Loop: Header=BB71_3 Depth=1
	v_mov_b32_e32 v0, 0
	s_and_not1_b32 vcc_lo, exec_lo, s21
	s_cbranch_vccnz .LBB71_23
; %bb.21:                               ;   in Loop: Header=BB71_3 Depth=1
	v_mov_b32_e32 v0, 0
	s_mov_b64 s[16:17], s[14:15]
	s_mov_b32 s34, s25
	s_set_inst_prefetch_distance 0x1
	.p2align	6
.LBB71_22:                              ;   Parent Loop BB71_3 Depth=1
                                        ; =>  This Inner Loop Header: Depth=2
	s_clause 0x1
	s_load_b32 s35, s[16:17], 0x0
	s_load_b32 s36, s[16:17], 0x64
	v_mov_b32_e32 v12, v9
	s_add_i32 s34, s34, -1
	s_waitcnt lgkmcnt(0)
	v_cvt_f32_u32_e32 v8, s35
	s_sub_i32 s37, 0, s35
	s_add_u32 s16, s16, -4
	s_addc_u32 s17, s17, -1
	s_cmp_gt_u32 s34, 2
	v_rcp_iflag_f32_e32 v8, v8
	s_waitcnt_depctr 0xfff
	v_mul_f32_e32 v8, 0x4f7ffffe, v8
	s_delay_alu instid0(VALU_DEP_1) | instskip(NEXT) | instid1(VALU_DEP_1)
	v_cvt_u32_f32_e32 v8, v8
	v_mul_lo_u32 v11, s37, v8
	s_delay_alu instid0(VALU_DEP_1) | instskip(NEXT) | instid1(VALU_DEP_1)
	v_mul_hi_u32 v11, v8, v11
	v_add_nc_u32_e32 v8, v8, v11
	s_delay_alu instid0(VALU_DEP_1) | instskip(NEXT) | instid1(VALU_DEP_1)
	v_mul_hi_u32 v8, v12, v8
	v_mul_lo_u32 v9, v8, s35
	v_add_nc_u32_e32 v11, 1, v8
	s_delay_alu instid0(VALU_DEP_2) | instskip(NEXT) | instid1(VALU_DEP_1)
	v_sub_nc_u32_e32 v9, v12, v9
	v_subrev_nc_u32_e32 v13, s35, v9
	v_cmp_le_u32_e32 vcc_lo, s35, v9
	s_delay_alu instid0(VALU_DEP_2) | instskip(NEXT) | instid1(VALU_DEP_1)
	v_dual_cndmask_b32 v9, v9, v13 :: v_dual_cndmask_b32 v8, v8, v11
	v_cmp_le_u32_e32 vcc_lo, s35, v9
	s_delay_alu instid0(VALU_DEP_2) | instskip(NEXT) | instid1(VALU_DEP_1)
	v_add_nc_u32_e32 v11, 1, v8
	v_cndmask_b32_e32 v9, v8, v11, vcc_lo
	s_delay_alu instid0(VALU_DEP_1) | instskip(NEXT) | instid1(VALU_DEP_1)
	v_mul_lo_u32 v8, v9, s35
	v_sub_nc_u32_e32 v8, v12, v8
	s_delay_alu instid0(VALU_DEP_1) | instskip(NEXT) | instid1(VALU_DEP_1)
	v_mad_u64_u32 v[11:12], null, s36, v8, v[0:1]
	v_mov_b32_e32 v0, v11
	s_cbranch_scc1 .LBB71_22
.LBB71_23:                              ;   in Loop: Header=BB71_3 Depth=1
	s_set_inst_prefetch_distance 0x2
	s_delay_alu instid0(VALU_DEP_1)
	v_mad_u64_u32 v[12:13], null, s20, v9, v[0:1]
	v_mov_b32_e32 v13, v4
.LBB71_24:                              ;   in Loop: Header=BB71_3 Depth=1
	s_or_b32 exec_lo, exec_lo, s0
	v_mov_b32_e32 v14, 0
	v_mov_b32_e32 v15, 0
	v_or_b32_e32 v11, 3, v27
	v_cmp_lt_i32_e32 vcc_lo, 3, v30
	s_delay_alu instid0(VALU_DEP_3)
	v_dual_mov_b32 v8, v14 :: v_dual_mov_b32 v9, v15
	s_and_saveexec_b32 s16, vcc_lo
	s_cbranch_execz .LBB71_26
; %bb.25:                               ;   in Loop: Header=BB71_3 Depth=1
	v_mul_hi_u32 v0, v11, v29
	s_delay_alu instid0(VALU_DEP_1) | instskip(SKIP_1) | instid1(VALU_DEP_2)
	v_mul_lo_u32 v8, v0, s19
	v_add_nc_u32_e32 v9, 1, v0
	v_sub_nc_u32_e32 v8, v11, v8
	s_delay_alu instid0(VALU_DEP_1) | instskip(SKIP_1) | instid1(VALU_DEP_1)
	v_subrev_nc_u32_e32 v16, s19, v8
	v_cmp_le_u32_e64 s0, s19, v8
	v_cndmask_b32_e64 v0, v0, v9, s0
	s_delay_alu instid0(VALU_DEP_3) | instskip(NEXT) | instid1(VALU_DEP_2)
	v_cndmask_b32_e64 v8, v8, v16, s0
	v_add_nc_u32_e32 v9, 1, v0
	s_delay_alu instid0(VALU_DEP_2) | instskip(NEXT) | instid1(VALU_DEP_1)
	v_cmp_le_u32_e64 s0, s19, v8
	v_cndmask_b32_e64 v16, v0, v9, s0
	s_delay_alu instid0(VALU_DEP_1) | instskip(NEXT) | instid1(VALU_DEP_1)
	v_mul_lo_u32 v0, v16, s19
	v_sub_nc_u32_e32 v0, v11, v0
	s_delay_alu instid0(VALU_DEP_1) | instskip(NEXT) | instid1(VALU_DEP_1)
	v_mul_lo_u32 v0, v0, s3
	v_mad_u64_u32 v[8:9], null, v16, s2, v[0:1]
	v_mov_b32_e32 v9, v4
.LBB71_26:                              ;   in Loop: Header=BB71_3 Depth=1
	s_or_b32 exec_lo, exec_lo, s16
	s_and_saveexec_b32 s0, vcc_lo
	s_cbranch_execz .LBB71_31
; %bb.27:                               ;   in Loop: Header=BB71_3 Depth=1
	v_mov_b32_e32 v0, 0
	s_and_not1_b32 vcc_lo, exec_lo, s21
	s_cbranch_vccnz .LBB71_30
; %bb.28:                               ;   in Loop: Header=BB71_3 Depth=1
	v_mov_b32_e32 v0, 0
	s_mov_b64 s[16:17], s[14:15]
	s_mov_b32 s34, s25
	s_set_inst_prefetch_distance 0x1
	.p2align	6
.LBB71_29:                              ;   Parent Loop BB71_3 Depth=1
                                        ; =>  This Inner Loop Header: Depth=2
	s_clause 0x1
	s_load_b32 s35, s[16:17], 0x0
	s_load_b32 s36, s[16:17], 0x64
	s_add_i32 s34, s34, -1
	s_waitcnt lgkmcnt(0)
	v_cvt_f32_u32_e32 v14, s35
	s_sub_i32 s37, 0, s35
	s_add_u32 s16, s16, -4
	s_addc_u32 s17, s17, -1
	s_cmp_gt_u32 s34, 2
	v_rcp_iflag_f32_e32 v14, v14
	s_waitcnt_depctr 0xfff
	v_mul_f32_e32 v14, 0x4f7ffffe, v14
	s_delay_alu instid0(VALU_DEP_1) | instskip(NEXT) | instid1(VALU_DEP_1)
	v_cvt_u32_f32_e32 v14, v14
	v_mul_lo_u32 v15, s37, v14
	s_delay_alu instid0(VALU_DEP_1) | instskip(NEXT) | instid1(VALU_DEP_1)
	v_mul_hi_u32 v15, v14, v15
	v_dual_mov_b32 v16, v11 :: v_dual_add_nc_u32 v11, v14, v15
	s_delay_alu instid0(VALU_DEP_1) | instskip(NEXT) | instid1(VALU_DEP_1)
	v_mul_hi_u32 v11, v16, v11
	v_mul_lo_u32 v14, v11, s35
	v_add_nc_u32_e32 v15, 1, v11
	s_delay_alu instid0(VALU_DEP_2) | instskip(NEXT) | instid1(VALU_DEP_1)
	v_sub_nc_u32_e32 v14, v16, v14
	v_subrev_nc_u32_e32 v17, s35, v14
	v_cmp_le_u32_e32 vcc_lo, s35, v14
	s_delay_alu instid0(VALU_DEP_2) | instskip(NEXT) | instid1(VALU_DEP_1)
	v_dual_cndmask_b32 v11, v11, v15 :: v_dual_cndmask_b32 v14, v14, v17
	v_add_nc_u32_e32 v15, 1, v11
	s_delay_alu instid0(VALU_DEP_2) | instskip(NEXT) | instid1(VALU_DEP_2)
	v_cmp_le_u32_e32 vcc_lo, s35, v14
	v_cndmask_b32_e32 v11, v11, v15, vcc_lo
	s_delay_alu instid0(VALU_DEP_1) | instskip(NEXT) | instid1(VALU_DEP_1)
	v_mul_lo_u32 v14, v11, s35
	v_sub_nc_u32_e32 v16, v16, v14
	s_delay_alu instid0(VALU_DEP_1) | instskip(NEXT) | instid1(VALU_DEP_1)
	v_mad_u64_u32 v[14:15], null, s36, v16, v[0:1]
	v_mov_b32_e32 v0, v14
	s_cbranch_scc1 .LBB71_29
.LBB71_30:                              ;   in Loop: Header=BB71_3 Depth=1
	s_set_inst_prefetch_distance 0x2
	s_delay_alu instid0(VALU_DEP_1)
	v_mad_u64_u32 v[14:15], null, s20, v11, v[0:1]
	v_mov_b32_e32 v15, v4
.LBB71_31:                              ;   in Loop: Header=BB71_3 Depth=1
	s_or_b32 exec_lo, exec_lo, s0
	v_mov_b32_e32 v11, v4
	v_lshlrev_b64 v[16:17], 2, v[3:4]
	v_lshlrev_b64 v[12:13], 2, v[12:13]
	;; [unrolled: 1-line block ×3, first 2 shown]
	s_delay_alu instid0(VALU_DEP_4) | instskip(NEXT) | instid1(VALU_DEP_4)
	v_lshlrev_b64 v[10:11], 2, v[10:11]
	v_add_co_u32 v16, vcc_lo, s8, v16
	v_add_co_ci_u32_e32 v17, vcc_lo, s9, v17, vcc_lo
	s_delay_alu instid0(VALU_DEP_3) | instskip(NEXT) | instid1(VALU_DEP_4)
	v_add_co_u32 v10, vcc_lo, s8, v10
	v_add_co_ci_u32_e32 v11, vcc_lo, s9, v11, vcc_lo
	v_add_co_u32 v12, vcc_lo, s8, v12
	v_add_co_ci_u32_e32 v13, vcc_lo, s9, v13, vcc_lo
	;; [unrolled: 2-line block ×3, first 2 shown]
	s_clause 0x3
	global_load_b32 v0, v[16:17], off
	global_load_b32 v3, v[10:11], off
	;; [unrolled: 1-line block ×4, first 2 shown]
	s_waitcnt lgkmcnt(0)
	v_mov_b32_e32 v15, s7
	v_dual_mov_b32 v17, s5 :: v_dual_mov_b32 v16, s4
	v_mov_b32_e32 v14, s6
	s_and_not1_b32 vcc_lo, exec_lo, s22
	s_cbranch_vccnz .LBB71_33
; %bb.32:                               ;   in Loop: Header=BB71_3 Depth=1
	v_dual_mov_b32 v11, s7 :: v_dual_mov_b32 v10, s6
	v_dual_mov_b32 v13, s5 :: v_dual_mov_b32 v12, s4
	flat_load_b64 v[10:11], v[10:11]
	flat_load_b64 v[16:17], v[12:13]
	s_waitcnt vmcnt(1) lgkmcnt(1)
	v_add_co_u32 v14, vcc_lo, v10, s12
	v_add_co_ci_u32_e32 v15, vcc_lo, s13, v11, vcc_lo
.LBB71_33:                              ;   in Loop: Header=BB71_3 Depth=1
	s_delay_alu instid0(VALU_DEP_1)
	v_alignbit_b32 v13, v15, v14, 2
	v_lshrrev_b32_e32 v12, 2, v15
	s_waitcnt vmcnt(0) lgkmcnt(0)
	v_add_nc_u32_e32 v34, 0xbb67ae85, v17
	v_add_nc_u32_e32 v35, 0x76cf5d0a, v17
	;; [unrolled: 1-line block ×3, first 2 shown]
	v_add_co_u32 v15, vcc_lo, v13, 1
	s_delay_alu instid0(VALU_DEP_1) | instskip(SKIP_4) | instid1(VALU_DEP_4)
	v_cndmask_b32_e64 v10, 0, 1, vcc_lo
	v_add_co_ci_u32_e32 v24, vcc_lo, 0, v12, vcc_lo
	v_xor3_b32 v20, v28, v16, v12
	v_add_nc_u32_e32 v37, 0x32370b8f, v17
	v_add_nc_u32_e32 v38, 0xed9eba14, v17
	v_cmp_eq_u32_e32 vcc_lo, 0, v24
	v_add_nc_u32_e32 v39, 0x1715609d, v16
	v_add_nc_u32_e32 v40, 0xa9066899, v17
	s_mov_b32 s0, exec_lo
	v_dual_cndmask_b32 v18, 0, v10 :: v_dual_add_nc_u32 v33, 0x9e3779b9, v16
	v_mad_u64_u32 v[10:11], null, 0xd2511f53, v15, 0
	s_delay_alu instid0(VALU_DEP_2) | instskip(NEXT) | instid1(VALU_DEP_2)
	v_add_nc_u32_e32 v15, v18, v1
	v_xor_b32_e32 v19, v11, v17
	s_delay_alu instid0(VALU_DEP_2) | instskip(SKIP_2) | instid1(VALU_DEP_1)
	v_cmp_eq_u32_e32 vcc_lo, 0, v15
	v_mad_u64_u32 v[11:12], null, 0xd2511f53, v13, 0
	v_cndmask_b32_e32 v18, 0, v18, vcc_lo
	v_xor_b32_e32 v13, v18, v19
	v_mad_u64_u32 v[18:19], null, 0xd2511f53, v20, 0
	v_mad_u64_u32 v[20:21], null, 0xcd9e8d57, v15, 0
	s_delay_alu instid0(VALU_DEP_3) | instskip(SKIP_3) | instid1(VALU_DEP_3)
	v_mad_u64_u32 v[22:23], null, 0xcd9e8d57, v13, 0
	v_xor_b32_e32 v13, v12, v17
	v_add_nc_u32_e32 v15, 0x3c6ef372, v16
	v_xor3_b32 v25, v34, v19, v11
	v_mad_u64_u32 v[11:12], null, 0xcd9e8d57, v13, 0
	v_xor3_b32 v13, v21, v16, v24
	v_xor3_b32 v21, v33, v23, v20
	s_delay_alu instid0(VALU_DEP_4) | instskip(NEXT) | instid1(VALU_DEP_3)
	v_mad_u64_u32 v[19:20], null, 0xcd9e8d57, v25, 0
	v_mad_u64_u32 v[23:24], null, 0xd2511f53, v13, 0
	s_delay_alu instid0(VALU_DEP_3) | instskip(SKIP_1) | instid1(VALU_DEP_4)
	v_mad_u64_u32 v[25:26], null, 0xd2511f53, v21, 0
	v_xor3_b32 v13, v2, v12, v33
	v_xor3_b32 v33, v15, v20, v11
	s_delay_alu instid0(VALU_DEP_4) | instskip(NEXT) | instid1(VALU_DEP_3)
	v_xor3_b32 v10, v34, v24, v10
	v_mad_u64_u32 v[11:12], null, 0xd2511f53, v13, 0
	v_xor3_b32 v13, v35, v26, v23
	s_delay_alu instid0(VALU_DEP_4) | instskip(NEXT) | instid1(VALU_DEP_4)
	v_mad_u64_u32 v[20:21], null, 0xd2511f53, v33, 0
	v_mad_u64_u32 v[23:24], null, 0xcd9e8d57, v10, 0
	s_delay_alu instid0(VALU_DEP_3) | instskip(SKIP_4) | instid1(VALU_DEP_4)
	v_mad_u64_u32 v[33:34], null, 0xcd9e8d57, v13, 0
	v_xor3_b32 v12, v35, v12, v18
	v_add_nc_u32_e32 v26, 0x78dde6e4, v16
	v_xor3_b32 v18, v37, v21, v11
	v_xor3_b32 v15, v15, v24, v22
	v_mad_u64_u32 v[10:11], null, 0xcd9e8d57, v12, 0
	v_xor3_b32 v34, v36, v34, v23
	s_delay_alu instid0(VALU_DEP_4) | instskip(NEXT) | instid1(VALU_DEP_4)
	v_mad_u64_u32 v[12:13], null, 0xcd9e8d57, v18, 0
	v_mad_u64_u32 v[21:22], null, 0xd2511f53, v15, 0
	s_delay_alu instid0(VALU_DEP_3) | instskip(SKIP_1) | instid1(VALU_DEP_4)
	v_mad_u64_u32 v[23:24], null, 0xd2511f53, v34, 0
	v_xor3_b32 v15, v36, v11, v19
	v_xor3_b32 v13, v26, v13, v10
	s_delay_alu instid0(VALU_DEP_2) | instskip(SKIP_2) | instid1(VALU_DEP_4)
	v_mad_u64_u32 v[10:11], null, 0xd2511f53, v15, 0
	v_xor3_b32 v15, v37, v22, v25
	v_xor3_b32 v21, v38, v24, v21
	v_mad_u64_u32 v[24:25], null, 0xd2511f53, v13, 0
	s_delay_alu instid0(VALU_DEP_3) | instskip(NEXT) | instid1(VALU_DEP_3)
	v_mad_u64_u32 v[18:19], null, 0xcd9e8d57, v15, 0
	v_mad_u64_u32 v[34:35], null, 0xcd9e8d57, v21, 0
	v_xor3_b32 v13, v38, v11, v20
	s_delay_alu instid0(VALU_DEP_4) | instskip(SKIP_2) | instid1(VALU_DEP_4)
	v_xor3_b32 v21, v40, v25, v10
	v_add_nc_u32_e32 v15, 0xb54cda56, v16
	v_add_nc_u32_e32 v20, 0x646e171e, v17
	v_mad_u64_u32 v[10:11], null, 0xcd9e8d57, v13, 0
	v_xor3_b32 v13, v26, v19, v33
	v_xor3_b32 v22, v39, v35, v18
	v_mad_u64_u32 v[35:36], null, 0xcd9e8d57, v21, 0
	v_add_nc_u32_e32 v26, 0x5384540f, v16
	s_delay_alu instid0(VALU_DEP_4) | instskip(NEXT) | instid1(VALU_DEP_4)
	v_mad_u64_u32 v[18:19], null, 0xd2511f53, v13, 0
	v_mad_u64_u32 v[37:38], null, 0xd2511f53, v22, 0
	v_xor3_b32 v12, v39, v11, v12
	v_xor3_b32 v13, v15, v36, v10
	v_add_nc_u32_e32 v39, 0x1fd5c5a3, v17
	v_add_co_u32 v33, null, 0xf1bbcdc8, v16
	v_xor3_b32 v21, v40, v19, v23
	v_xor3_b32 v23, v20, v38, v18
	v_mad_u64_u32 v[10:11], null, 0xd2511f53, v12, 0
	v_mad_u64_u32 v[18:19], null, 0xd2511f53, v13, 0
	s_delay_alu instid0(VALU_DEP_4) | instskip(NEXT) | instid1(VALU_DEP_4)
	v_mad_u64_u32 v[12:13], null, 0xcd9e8d57, v21, 0
	v_mad_u64_u32 v[21:22], null, 0xcd9e8d57, v23, 0
	s_delay_alu instid0(VALU_DEP_4) | instskip(NEXT) | instid1(VALU_DEP_4)
	v_xor3_b32 v20, v20, v11, v24
	v_xor3_b32 v23, v39, v19, v10
	s_delay_alu instid0(VALU_DEP_4) | instskip(NEXT) | instid1(VALU_DEP_3)
	v_xor3_b32 v15, v15, v13, v34
	v_mad_u64_u32 v[10:11], null, 0xcd9e8d57, v20, 0
	v_xor3_b32 v22, v26, v22, v12
	s_delay_alu instid0(VALU_DEP_4) | instskip(NEXT) | instid1(VALU_DEP_4)
	v_mad_u64_u32 v[19:20], null, 0xcd9e8d57, v23, 0
	v_mad_u64_u32 v[12:13], null, 0xd2511f53, v15, 0
	s_delay_alu instid0(VALU_DEP_3)
	v_mad_u64_u32 v[24:25], null, 0xd2511f53, v22, 0
	v_add_nc_u32_e32 v34, 0xdb3d7428, v17
	v_xor3_b32 v11, v26, v11, v35
	v_xor3_b32 v15, v33, v20, v10
	v_add_nc_u32_e32 v35, 0x96a522ad, v17
	v_xor3_b32 v13, v39, v13, v37
	v_and_b32_e32 v17, 3, v14
	v_xor3_b32 v20, v34, v25, v12
	v_mad_u64_u32 v[22:23], null, 0xd2511f53, v11, 0
	v_mad_u64_u32 v[10:11], null, 0xd2511f53, v15, 0
	;; [unrolled: 1-line block ×3, first 2 shown]
	s_delay_alu instid0(VALU_DEP_4) | instskip(SKIP_1) | instid1(VALU_DEP_4)
	v_mad_u64_u32 v[12:13], null, 0xcd9e8d57, v20, 0
	v_add_nc_u32_e32 v20, 0x8ff34781, v16
                                        ; implicit-def: $vgpr15
	v_xor3_b32 v16, v11, v22, v35
	s_delay_alu instid0(VALU_DEP_2)
	v_xor3_b32 v11, v13, v25, v20
	v_cmpx_lt_i32_e32 1, v17
	s_xor_b32 s0, exec_lo, s0
	s_cbranch_execz .LBB71_39
; %bb.34:                               ;   in Loop: Header=BB71_3 Depth=1
	s_mov_b32 s16, exec_lo
                                        ; implicit-def: $vgpr15
	v_cmpx_lt_i32_e32 2, v17
	s_xor_b32 s16, exec_lo, s16
; %bb.35:                               ;   in Loop: Header=BB71_3 Depth=1
	v_xor3_b32 v13, v33, v26, v21
                                        ; implicit-def: $vgpr16
	s_delay_alu instid0(VALU_DEP_1) | instskip(NEXT) | instid1(VALU_DEP_1)
	v_mul_hi_u32 v13, 0xd2511f53, v13
	v_xor3_b32 v15, v13, v24, v35
; %bb.36:                               ;   in Loop: Header=BB71_3 Depth=1
	s_and_not1_saveexec_b32 s16, s16
; %bb.37:                               ;   in Loop: Header=BB71_3 Depth=1
	v_dual_mov_b32 v15, v12 :: v_dual_mov_b32 v12, v11
	v_dual_mov_b32 v11, v10 :: v_dual_mov_b32 v10, v16
; %bb.38:                               ;   in Loop: Header=BB71_3 Depth=1
	s_or_b32 exec_lo, exec_lo, s16
                                        ; implicit-def: $vgpr18_vgpr19
                                        ; implicit-def: $vgpr17
                                        ; implicit-def: $vgpr16
                                        ; implicit-def: $vgpr34
                                        ; implicit-def: $vgpr22_vgpr23
                                        ; implicit-def: $vgpr19_vgpr20
                                        ; implicit-def: $vgpr20
.LBB71_39:                              ;   in Loop: Header=BB71_3 Depth=1
	s_and_not1_saveexec_b32 s0, s0
	s_cbranch_execz .LBB71_43
; %bb.40:                               ;   in Loop: Header=BB71_3 Depth=1
	v_xor3_b32 v12, v34, v23, v18
	v_cmp_eq_u32_e32 vcc_lo, 1, v17
	v_mov_b32_e32 v15, v10
	s_delay_alu instid0(VALU_DEP_3) | instskip(SKIP_1) | instid1(VALU_DEP_2)
	v_mad_u64_u32 v[13:14], null, 0xcd9e8d57, v12, 0
	v_mov_b32_e32 v12, v16
	v_xor3_b32 v17, v14, v19, v20
	s_delay_alu instid0(VALU_DEP_3)
	v_mov_b32_e32 v14, v13
	s_and_saveexec_b32 s16, vcc_lo
; %bb.41:                               ;   in Loop: Header=BB71_3 Depth=1
	v_dual_mov_b32 v15, v11 :: v_dual_mov_b32 v12, v10
	v_dual_mov_b32 v14, v16 :: v_dual_mov_b32 v17, v13
; %bb.42:                               ;   in Loop: Header=BB71_3 Depth=1
	s_or_b32 exec_lo, exec_lo, s16
	s_delay_alu instid0(VALU_DEP_1)
	v_dual_mov_b32 v10, v17 :: v_dual_mov_b32 v11, v14
.LBB71_43:                              ;   in Loop: Header=BB71_3 Depth=1
	s_or_b32 exec_lo, exec_lo, s0
	v_min_i32_e32 v13, 4, v30
	s_mov_b32 s16, 0
	s_mov_b32 s38, 0
	;; [unrolled: 1-line block ×3, first 2 shown]
                                        ; implicit-def: $sgpr34
                                        ; implicit-def: $sgpr35
                                        ; implicit-def: $sgpr36
	s_mov_b32 s0, exec_lo
	v_cmpx_lt_i32_e32 2, v13
	s_xor_b32 s37, exec_lo, s0
	s_cbranch_execz .LBB71_55
; %bb.44:                               ;   in Loop: Header=BB71_3 Depth=1
	s_mov_b32 s0, -1
	s_mov_b32 s39, 0
	s_mov_b32 s35, exec_lo
                                        ; implicit-def: $sgpr17
                                        ; implicit-def: $sgpr34
	v_cmpx_lt_i32_e32 3, v13
	s_cbranch_execz .LBB71_50
; %bb.45:                               ;   in Loop: Header=BB71_3 Depth=1
	s_mov_b32 s0, 0
	s_mov_b32 s39, -1
	s_mov_b32 s36, exec_lo
                                        ; implicit-def: $sgpr17
                                        ; implicit-def: $sgpr34
	v_cmpx_eq_u32_e32 4, v13
	s_cbranch_execz .LBB71_49
; %bb.46:                               ;   in Loop: Header=BB71_3 Depth=1
	v_cmp_le_f32_e32 vcc_lo, 0, v32
	v_cmp_ge_f32_e64 s0, 1.0, v32
	s_mov_b32 s17, 0
	s_delay_alu instid0(VALU_DEP_1)
	s_and_b32 s39, vcc_lo, s0
	s_mov_b32 s0, 0
	s_and_saveexec_b32 s34, s39
	s_cbranch_execz .LBB71_48
; %bb.47:                               ;   in Loop: Header=BB71_3 Depth=1
	v_cvt_f32_u32_e32 v14, v15
	v_lshlrev_b64 v[8:9], 3, v[8:9]
	s_mov_b32 s0, exec_lo
	s_delay_alu instid0(VALU_DEP_2) | instskip(NEXT) | instid1(VALU_DEP_2)
	v_fmaak_f32 v14, 0x2f800000, v14, 0x2f800000
	v_add_co_u32 v8, vcc_lo, s10, v8
	s_delay_alu instid0(VALU_DEP_3) | instskip(NEXT) | instid1(VALU_DEP_3)
	v_add_co_ci_u32_e32 v9, vcc_lo, s11, v9, vcc_lo
	v_cmp_le_f32_e32 vcc_lo, v14, v32
	v_mov_b32_e32 v14, v4
	v_cndmask_b32_e64 v15, 0, 0x3ff00000, vcc_lo
	global_store_b64 v[8:9], v[14:15], off
.LBB71_48:                              ;   in Loop: Header=BB71_3 Depth=1
	s_or_b32 exec_lo, exec_lo, s34
	s_mov_b32 s34, -1
	s_xor_b32 s39, exec_lo, -1
	s_and_b32 s0, s0, exec_lo
.LBB71_49:                              ;   in Loop: Header=BB71_3 Depth=1
	s_or_b32 exec_lo, exec_lo, s36
	s_delay_alu instid0(SALU_CYCLE_1)
	s_and_b32 s39, s39, exec_lo
	s_or_not1_b32 s0, s0, exec_lo
.LBB71_50:                              ;   in Loop: Header=BB71_3 Depth=1
	s_or_b32 exec_lo, exec_lo, s35
	s_mov_b32 s36, s17
	s_and_saveexec_b32 s35, s0
	s_cbranch_execz .LBB71_54
; %bb.51:                               ;   in Loop: Header=BB71_3 Depth=1
	v_cmp_le_f32_e32 vcc_lo, 0, v31
	v_cmp_ge_f32_e64 s0, 1.0, v31
	s_delay_alu instid0(VALU_DEP_1) | instskip(SKIP_2) | instid1(SALU_CYCLE_1)
	s_and_b32 s36, vcc_lo, s0
	s_mov_b32 s0, 0
	s_and_saveexec_b32 s38, s36
	s_xor_b32 s36, exec_lo, s38
	s_cbranch_execz .LBB71_53
; %bb.52:                               ;   in Loop: Header=BB71_3 Depth=1
	v_cvt_f32_u32_e32 v9, v12
	v_mov_b32_e32 v8, v4
	s_mov_b32 s0, exec_lo
	s_delay_alu instid0(VALU_DEP_2) | instskip(NEXT) | instid1(VALU_DEP_2)
	v_fmaak_f32 v9, 0x2f800000, v9, 0x2f800000
	v_lshlrev_b64 v[7:8], 3, v[7:8]
	s_delay_alu instid0(VALU_DEP_2) | instskip(SKIP_1) | instid1(VALU_DEP_3)
	v_cmp_le_f32_e32 vcc_lo, v9, v31
	v_cndmask_b32_e64 v9, 0, 0x3ff00000, vcc_lo
	v_add_co_u32 v14, vcc_lo, s10, v7
	s_delay_alu instid0(VALU_DEP_4)
	v_add_co_ci_u32_e32 v15, vcc_lo, s11, v8, vcc_lo
	v_mov_b32_e32 v8, v4
	global_store_b64 v[14:15], v[8:9], off
.LBB71_53:                              ;   in Loop: Header=BB71_3 Depth=1
	s_or_b32 exec_lo, exec_lo, s36
	s_delay_alu instid0(SALU_CYCLE_1)
	s_and_not1_b32 s36, s17, exec_lo
	s_or_b32 s17, s17, exec_lo
	s_and_not1_b32 s34, s34, exec_lo
	s_and_b32 s38, s0, exec_lo
.LBB71_54:                              ;   in Loop: Header=BB71_3 Depth=1
	s_or_b32 exec_lo, exec_lo, s35
	s_delay_alu instid0(SALU_CYCLE_1)
	s_and_b32 s36, s36, exec_lo
	s_and_b32 s35, s17, exec_lo
	;; [unrolled: 1-line block ×5, first 2 shown]
.LBB71_55:                              ;   in Loop: Header=BB71_3 Depth=1
	s_and_not1_saveexec_b32 s0, s37
; %bb.56:                               ;   in Loop: Header=BB71_3 Depth=1
	v_cmp_lt_i32_e32 vcc_lo, 1, v13
	s_and_not1_b32 s37, s38, exec_lo
	s_mov_b32 s16, exec_lo
	s_and_not1_b32 s36, s36, exec_lo
	s_and_not1_b32 s35, s35, exec_lo
	s_and_b32 s38, vcc_lo, exec_lo
	s_and_not1_b32 s34, s34, exec_lo
	s_or_b32 s38, s37, s38
; %bb.57:                               ;   in Loop: Header=BB71_3 Depth=1
	s_or_b32 exec_lo, exec_lo, s0
	s_mov_b32 s0, 0
	s_mov_b32 s37, s36
	s_and_saveexec_b32 s39, s38
	s_cbranch_execnz .LBB71_60
; %bb.58:                               ;   in Loop: Header=BB71_3 Depth=1
	s_or_b32 exec_lo, exec_lo, s39
	s_and_saveexec_b32 s38, s16
	s_cbranch_execnz .LBB71_63
.LBB71_59:                              ;   in Loop: Header=BB71_3 Depth=1
	s_or_b32 exec_lo, exec_lo, s38
	s_and_saveexec_b32 s16, s0
	s_cbranch_execnz .LBB71_64
	s_branch .LBB71_67
.LBB71_60:                              ;   in Loop: Header=BB71_3 Depth=1
	v_cmp_le_f32_e32 vcc_lo, 0, v3
	v_cmp_ge_f32_e64 s0, 1.0, v3
	s_delay_alu instid0(VALU_DEP_1) | instskip(SKIP_2) | instid1(SALU_CYCLE_1)
	s_and_b32 s37, vcc_lo, s0
	s_mov_b32 s0, 0
	s_and_saveexec_b32 s38, s37
	s_xor_b32 s37, exec_lo, s38
	s_cbranch_execz .LBB71_62
; %bb.61:                               ;   in Loop: Header=BB71_3 Depth=1
	v_cvt_f32_u32_e32 v8, v11
	v_mov_b32_e32 v7, v4
	s_mov_b32 s0, exec_lo
	s_delay_alu instid0(VALU_DEP_2) | instskip(NEXT) | instid1(VALU_DEP_2)
	v_fmaak_f32 v8, 0x2f800000, v8, 0x2f800000
	v_lshlrev_b64 v[6:7], 3, v[6:7]
	s_delay_alu instid0(VALU_DEP_2) | instskip(SKIP_1) | instid1(VALU_DEP_3)
	v_cmp_le_f32_e32 vcc_lo, v8, v3
	v_cndmask_b32_e64 v8, 0, 0x3ff00000, vcc_lo
	v_add_co_u32 v11, vcc_lo, s10, v6
	s_delay_alu instid0(VALU_DEP_4)
	v_add_co_ci_u32_e32 v12, vcc_lo, s11, v7, vcc_lo
	v_mov_b32_e32 v7, v4
	global_store_b64 v[11:12], v[7:8], off
.LBB71_62:                              ;   in Loop: Header=BB71_3 Depth=1
	s_or_b32 exec_lo, exec_lo, s37
	s_delay_alu instid0(SALU_CYCLE_1)
	s_and_not1_b32 s37, s36, exec_lo
	s_or_b32 s36, s36, exec_lo
	s_and_not1_b32 s35, s35, exec_lo
	s_and_not1_b32 s34, s34, exec_lo
	s_and_b32 s0, s0, exec_lo
	s_and_not1_b32 s16, s16, exec_lo
	s_or_b32 exec_lo, exec_lo, s39
	s_and_saveexec_b32 s38, s16
	s_cbranch_execz .LBB71_59
.LBB71_63:                              ;   in Loop: Header=BB71_3 Depth=1
	v_cmp_eq_u32_e32 vcc_lo, 1, v13
	s_and_not1_b32 s0, s0, exec_lo
	s_and_not1_b32 s37, s37, exec_lo
	;; [unrolled: 1-line block ×4, first 2 shown]
	s_and_b32 s16, vcc_lo, exec_lo
	s_and_not1_b32 s34, s34, exec_lo
	s_or_b32 s17, s17, exec_lo
	s_or_b32 s0, s0, s16
	s_or_b32 exec_lo, exec_lo, s38
	s_and_saveexec_b32 s16, s0
	s_cbranch_execz .LBB71_67
.LBB71_64:                              ;   in Loop: Header=BB71_3 Depth=1
	v_cmp_le_f32_e32 vcc_lo, 0, v0
	v_cmp_ge_f32_e64 s0, 1.0, v0
	s_delay_alu instid0(VALU_DEP_1)
	s_and_b32 s39, vcc_lo, s0
	s_mov_b32 s0, 0
	s_and_saveexec_b32 s38, s39
	s_cbranch_execz .LBB71_66
; %bb.65:                               ;   in Loop: Header=BB71_3 Depth=1
	v_cvt_f32_u32_e32 v3, v10
	v_mov_b32_e32 v6, v4
	s_mov_b32 s0, exec_lo
	s_delay_alu instid0(VALU_DEP_2) | instskip(NEXT) | instid1(VALU_DEP_2)
	v_fmaak_f32 v3, 0x2f800000, v3, 0x2f800000
	v_lshlrev_b64 v[5:6], 3, v[5:6]
	s_delay_alu instid0(VALU_DEP_2) | instskip(SKIP_1) | instid1(VALU_DEP_3)
	v_cmp_le_f32_e32 vcc_lo, v3, v0
	v_cndmask_b32_e64 v7, 0, 0x3ff00000, vcc_lo
	v_add_co_u32 v8, vcc_lo, s10, v5
	s_delay_alu instid0(VALU_DEP_4)
	v_add_co_ci_u32_e32 v9, vcc_lo, s11, v6, vcc_lo
	v_mov_b32_e32 v6, v4
	global_store_b64 v[8:9], v[6:7], off
.LBB71_66:                              ;   in Loop: Header=BB71_3 Depth=1
	s_or_b32 exec_lo, exec_lo, s38
	s_delay_alu instid0(SALU_CYCLE_1)
	s_and_not1_b32 s17, s17, exec_lo
	s_and_b32 s0, s0, exec_lo
	s_or_b32 s37, s37, exec_lo
	s_and_not1_b32 s36, s36, exec_lo
	s_and_not1_b32 s35, s35, exec_lo
	;; [unrolled: 1-line block ×3, first 2 shown]
	s_or_b32 s17, s17, s0
.LBB71_67:                              ;   in Loop: Header=BB71_3 Depth=1
	s_or_b32 exec_lo, exec_lo, s16
	s_delay_alu instid0(SALU_CYCLE_1)
	s_and_not1_b32 s16, s33, exec_lo
	s_and_b32 s33, s37, exec_lo
	s_and_not1_b32 s30, s30, exec_lo
	s_and_b32 s36, s36, exec_lo
	s_or_b32 s33, s16, s33
	s_and_not1_b32 s16, s31, exec_lo
	s_and_b32 s31, s35, exec_lo
	s_and_not1_b32 s29, s29, exec_lo
	s_and_b32 s34, s34, exec_lo
	s_mov_b32 s0, -1
	s_or_b32 s30, s30, s36
	s_or_b32 s31, s16, s31
	;; [unrolled: 1-line block ×3, first 2 shown]
	s_and_saveexec_b32 s16, s17
	s_cbranch_execz .LBB71_2
; %bb.68:                               ;   in Loop: Header=BB71_3 Depth=1
	v_add_nc_u32_e32 v27, s24, v27
	s_and_not1_b32 s33, s33, exec_lo
	s_and_not1_b32 s30, s30, exec_lo
	;; [unrolled: 1-line block ×4, first 2 shown]
	v_cmp_le_u32_e32 vcc_lo, s18, v27
	s_or_not1_b32 s0, vcc_lo, exec_lo
	s_branch .LBB71_2
.LBB71_69:
	s_or_b32 exec_lo, exec_lo, s1
	s_xor_b32 s3, s27, -1
	s_xor_b32 s4, s28, -1
	;; [unrolled: 1-line block ×3, first 2 shown]
	s_mov_b32 s1, 0
	s_and_saveexec_b32 s2, s0
	s_delay_alu instid0(SALU_CYCLE_1)
	s_xor_b32 s0, exec_lo, s2
	s_cbranch_execz .LBB71_78
; %bb.70:
	s_mov_b32 s2, 0
	s_and_saveexec_b32 s1, s4
	s_delay_alu instid0(SALU_CYCLE_1)
	s_xor_b32 s1, exec_lo, s1
	s_cbranch_execz .LBB71_76
; %bb.71:
	s_and_saveexec_b32 s4, s3
	s_delay_alu instid0(SALU_CYCLE_1)
	s_xor_b32 s3, exec_lo, s4
	s_cbranch_execz .LBB71_74
; %bb.72:
	s_and_saveexec_b32 s4, s23
	s_delay_alu instid0(SALU_CYCLE_1)
	s_xor_b32 s4, exec_lo, s4
	s_cbranch_execnz .LBB71_92
.LBB71_73:
	s_or_b32 exec_lo, exec_lo, s4
	s_delay_alu instid0(SALU_CYCLE_1)
	s_and_b32 s2, s2, exec_lo
.LBB71_74:
	s_and_not1_saveexec_b32 s3, s3
	s_cbranch_execnz .LBB71_88
.LBB71_75:
	s_or_b32 exec_lo, exec_lo, s3
	s_delay_alu instid0(SALU_CYCLE_1)
	s_and_b32 s2, s2, exec_lo
.LBB71_76:
	s_and_not1_saveexec_b32 s1, s1
	s_cbranch_execnz .LBB71_84
.LBB71_77:
	s_or_b32 exec_lo, exec_lo, s1
	s_delay_alu instid0(SALU_CYCLE_1)
	s_and_b32 s1, s2, exec_lo
.LBB71_78:
	s_and_not1_saveexec_b32 s0, s0
	s_cbranch_execnz .LBB71_82
; %bb.79:
	s_or_b32 exec_lo, exec_lo, s0
	s_delay_alu instid0(SALU_CYCLE_1)
	s_and_b32 exec_lo, exec_lo, s1
.LBB71_80:
	; divergent unreachable
.LBB71_81:
	s_nop 0
	s_sendmsg sendmsg(MSG_DEALLOC_VGPRS)
	s_endpgm
.LBB71_82:
	s_cbranch_execnz .LBB71_86
; %bb.83:
	s_or_b32 s1, s1, exec_lo
	s_or_b32 exec_lo, exec_lo, s0
	s_delay_alu instid0(SALU_CYCLE_1)
	s_and_b32 exec_lo, exec_lo, s1
	s_cbranch_execnz .LBB71_80
	s_branch .LBB71_81
.LBB71_84:
	s_cbranch_execnz .LBB71_90
; %bb.85:
	s_or_b32 s2, s2, exec_lo
	s_branch .LBB71_77
.LBB71_86:
	s_trap 2
	s_sendmsg_rtn_b32 s0, sendmsg(MSG_RTN_GET_DOORBELL)
	s_mov_b32 ttmp2, m0
	s_waitcnt lgkmcnt(0)
	s_and_b32 s0, s0, 0x3ff
	s_delay_alu instid0(SALU_CYCLE_1) | instskip(NEXT) | instid1(SALU_CYCLE_1)
	s_bitset1_b32 s0, 10
	s_mov_b32 m0, s0
	s_sendmsg sendmsg(MSG_INTERRUPT)
	s_mov_b32 m0, ttmp2
.LBB71_87:                              ; =>This Inner Loop Header: Depth=1
	s_sethalt 5
	s_branch .LBB71_87
.LBB71_88:
	s_cbranch_execnz .LBB71_94
; %bb.89:
	s_or_b32 s2, s2, exec_lo
	s_branch .LBB71_75
.LBB71_90:
	s_trap 2
	s_sendmsg_rtn_b32 s0, sendmsg(MSG_RTN_GET_DOORBELL)
	s_mov_b32 ttmp2, m0
	s_waitcnt lgkmcnt(0)
	s_and_b32 s0, s0, 0x3ff
	s_delay_alu instid0(SALU_CYCLE_1) | instskip(NEXT) | instid1(SALU_CYCLE_1)
	s_bitset1_b32 s0, 10
	s_mov_b32 m0, s0
	s_sendmsg sendmsg(MSG_INTERRUPT)
	s_mov_b32 m0, ttmp2
.LBB71_91:                              ; =>This Inner Loop Header: Depth=1
	s_sethalt 5
	s_branch .LBB71_91
.LBB71_92:
	s_cbranch_execnz .LBB71_96
; %bb.93:
	s_mov_b32 s2, exec_lo
	s_branch .LBB71_73
.LBB71_94:
	s_trap 2
	s_sendmsg_rtn_b32 s0, sendmsg(MSG_RTN_GET_DOORBELL)
	s_mov_b32 ttmp2, m0
	s_waitcnt lgkmcnt(0)
	s_and_b32 s0, s0, 0x3ff
	s_delay_alu instid0(SALU_CYCLE_1) | instskip(NEXT) | instid1(SALU_CYCLE_1)
	s_bitset1_b32 s0, 10
	s_mov_b32 m0, s0
	s_sendmsg sendmsg(MSG_INTERRUPT)
	s_mov_b32 m0, ttmp2
.LBB71_95:                              ; =>This Inner Loop Header: Depth=1
	s_sethalt 5
	s_branch .LBB71_95
.LBB71_96:
	s_trap 2
	s_sendmsg_rtn_b32 s0, sendmsg(MSG_RTN_GET_DOORBELL)
	s_mov_b32 ttmp2, m0
	s_waitcnt lgkmcnt(0)
	s_and_b32 s0, s0, 0x3ff
	s_delay_alu instid0(SALU_CYCLE_1) | instskip(NEXT) | instid1(SALU_CYCLE_1)
	s_bitset1_b32 s0, 10
	s_mov_b32 m0, s0
	s_sendmsg sendmsg(MSG_INTERRUPT)
	s_mov_b32 m0, ttmp2
.LBB71_97:                              ; =>This Inner Loop Header: Depth=1
	s_sethalt 5
	s_branch .LBB71_97
	.section	.rodata,"a",@progbits
	.p2align	6, 0x0
	.amdhsa_kernel _ZN2at4cuda12_GLOBAL__N_121kernelPointwiseApply2IZNS_6native9templates4cuda28bernoulli_tensor_cuda_kernelIdfEEvRKNS_10TensorBaseES9_NS_15PhiloxCudaStateEEUliRdSB_SB_SB_RKfSD_SD_SD_E_dSC_jLi2ELin1ELi4ELi512ELi2EEEvNS0_6detail10TensorInfoIT0_T2_EENSG_IT1_SI_EESI_T_
		.amdhsa_group_segment_fixed_size 0
		.amdhsa_private_segment_fixed_size 0
		.amdhsa_kernarg_size 728
		.amdhsa_user_sgpr_count 15
		.amdhsa_user_sgpr_dispatch_ptr 0
		.amdhsa_user_sgpr_queue_ptr 0
		.amdhsa_user_sgpr_kernarg_segment_ptr 1
		.amdhsa_user_sgpr_dispatch_id 0
		.amdhsa_user_sgpr_private_segment_size 0
		.amdhsa_wavefront_size32 1
		.amdhsa_uses_dynamic_stack 0
		.amdhsa_enable_private_segment 0
		.amdhsa_system_sgpr_workgroup_id_x 1
		.amdhsa_system_sgpr_workgroup_id_y 0
		.amdhsa_system_sgpr_workgroup_id_z 0
		.amdhsa_system_sgpr_workgroup_info 0
		.amdhsa_system_vgpr_workitem_id 0
		.amdhsa_next_free_vgpr 41
		.amdhsa_next_free_sgpr 40
		.amdhsa_reserve_vcc 1
		.amdhsa_float_round_mode_32 0
		.amdhsa_float_round_mode_16_64 0
		.amdhsa_float_denorm_mode_32 3
		.amdhsa_float_denorm_mode_16_64 3
		.amdhsa_dx10_clamp 1
		.amdhsa_ieee_mode 1
		.amdhsa_fp16_overflow 0
		.amdhsa_workgroup_processor_mode 1
		.amdhsa_memory_ordered 1
		.amdhsa_forward_progress 0
		.amdhsa_shared_vgpr_count 0
		.amdhsa_exception_fp_ieee_invalid_op 0
		.amdhsa_exception_fp_denorm_src 0
		.amdhsa_exception_fp_ieee_div_zero 0
		.amdhsa_exception_fp_ieee_overflow 0
		.amdhsa_exception_fp_ieee_underflow 0
		.amdhsa_exception_fp_ieee_inexact 0
		.amdhsa_exception_int_div_zero 0
	.end_amdhsa_kernel
	.section	.text._ZN2at4cuda12_GLOBAL__N_121kernelPointwiseApply2IZNS_6native9templates4cuda28bernoulli_tensor_cuda_kernelIdfEEvRKNS_10TensorBaseES9_NS_15PhiloxCudaStateEEUliRdSB_SB_SB_RKfSD_SD_SD_E_dSC_jLi2ELin1ELi4ELi512ELi2EEEvNS0_6detail10TensorInfoIT0_T2_EENSG_IT1_SI_EESI_T_,"axG",@progbits,_ZN2at4cuda12_GLOBAL__N_121kernelPointwiseApply2IZNS_6native9templates4cuda28bernoulli_tensor_cuda_kernelIdfEEvRKNS_10TensorBaseES9_NS_15PhiloxCudaStateEEUliRdSB_SB_SB_RKfSD_SD_SD_E_dSC_jLi2ELin1ELi4ELi512ELi2EEEvNS0_6detail10TensorInfoIT0_T2_EENSG_IT1_SI_EESI_T_,comdat
.Lfunc_end71:
	.size	_ZN2at4cuda12_GLOBAL__N_121kernelPointwiseApply2IZNS_6native9templates4cuda28bernoulli_tensor_cuda_kernelIdfEEvRKNS_10TensorBaseES9_NS_15PhiloxCudaStateEEUliRdSB_SB_SB_RKfSD_SD_SD_E_dSC_jLi2ELin1ELi4ELi512ELi2EEEvNS0_6detail10TensorInfoIT0_T2_EENSG_IT1_SI_EESI_T_, .Lfunc_end71-_ZN2at4cuda12_GLOBAL__N_121kernelPointwiseApply2IZNS_6native9templates4cuda28bernoulli_tensor_cuda_kernelIdfEEvRKNS_10TensorBaseES9_NS_15PhiloxCudaStateEEUliRdSB_SB_SB_RKfSD_SD_SD_E_dSC_jLi2ELin1ELi4ELi512ELi2EEEvNS0_6detail10TensorInfoIT0_T2_EENSG_IT1_SI_EESI_T_
                                        ; -- End function
	.section	.AMDGPU.csdata,"",@progbits
; Kernel info:
; codeLenInByte = 4888
; NumSgprs: 42
; NumVgprs: 41
; ScratchSize: 0
; MemoryBound: 0
; FloatMode: 240
; IeeeMode: 1
; LDSByteSize: 0 bytes/workgroup (compile time only)
; SGPRBlocks: 5
; VGPRBlocks: 5
; NumSGPRsForWavesPerEU: 42
; NumVGPRsForWavesPerEU: 41
; Occupancy: 16
; WaveLimiterHint : 1
; COMPUTE_PGM_RSRC2:SCRATCH_EN: 0
; COMPUTE_PGM_RSRC2:USER_SGPR: 15
; COMPUTE_PGM_RSRC2:TRAP_HANDLER: 0
; COMPUTE_PGM_RSRC2:TGID_X_EN: 1
; COMPUTE_PGM_RSRC2:TGID_Y_EN: 0
; COMPUTE_PGM_RSRC2:TGID_Z_EN: 0
; COMPUTE_PGM_RSRC2:TIDIG_COMP_CNT: 0
	.section	.text._ZN2at4cuda12_GLOBAL__N_121kernelPointwiseApply2IZNS_6native9templates4cuda28bernoulli_tensor_cuda_kernelIdfEEvRKNS_10TensorBaseES9_NS_15PhiloxCudaStateEEUliRdSB_SB_SB_RKfSD_SD_SD_E_dSC_jLin1ELi1ELi4ELi512ELi2EEEvNS0_6detail10TensorInfoIT0_T2_EENSG_IT1_SI_EESI_T_,"axG",@progbits,_ZN2at4cuda12_GLOBAL__N_121kernelPointwiseApply2IZNS_6native9templates4cuda28bernoulli_tensor_cuda_kernelIdfEEvRKNS_10TensorBaseES9_NS_15PhiloxCudaStateEEUliRdSB_SB_SB_RKfSD_SD_SD_E_dSC_jLin1ELi1ELi4ELi512ELi2EEEvNS0_6detail10TensorInfoIT0_T2_EENSG_IT1_SI_EESI_T_,comdat
	.globl	_ZN2at4cuda12_GLOBAL__N_121kernelPointwiseApply2IZNS_6native9templates4cuda28bernoulli_tensor_cuda_kernelIdfEEvRKNS_10TensorBaseES9_NS_15PhiloxCudaStateEEUliRdSB_SB_SB_RKfSD_SD_SD_E_dSC_jLin1ELi1ELi4ELi512ELi2EEEvNS0_6detail10TensorInfoIT0_T2_EENSG_IT1_SI_EESI_T_ ; -- Begin function _ZN2at4cuda12_GLOBAL__N_121kernelPointwiseApply2IZNS_6native9templates4cuda28bernoulli_tensor_cuda_kernelIdfEEvRKNS_10TensorBaseES9_NS_15PhiloxCudaStateEEUliRdSB_SB_SB_RKfSD_SD_SD_E_dSC_jLin1ELi1ELi4ELi512ELi2EEEvNS0_6detail10TensorInfoIT0_T2_EENSG_IT1_SI_EESI_T_
	.p2align	8
	.type	_ZN2at4cuda12_GLOBAL__N_121kernelPointwiseApply2IZNS_6native9templates4cuda28bernoulli_tensor_cuda_kernelIdfEEvRKNS_10TensorBaseES9_NS_15PhiloxCudaStateEEUliRdSB_SB_SB_RKfSD_SD_SD_E_dSC_jLin1ELi1ELi4ELi512ELi2EEEvNS0_6detail10TensorInfoIT0_T2_EENSG_IT1_SI_EESI_T_,@function
_ZN2at4cuda12_GLOBAL__N_121kernelPointwiseApply2IZNS_6native9templates4cuda28bernoulli_tensor_cuda_kernelIdfEEvRKNS_10TensorBaseES9_NS_15PhiloxCudaStateEEUliRdSB_SB_SB_RKfSD_SD_SD_E_dSC_jLin1ELi1ELi4ELi512ELi2EEEvNS0_6detail10TensorInfoIT0_T2_EENSG_IT1_SI_EESI_T_: ; @_ZN2at4cuda12_GLOBAL__N_121kernelPointwiseApply2IZNS_6native9templates4cuda28bernoulli_tensor_cuda_kernelIdfEEvRKNS_10TensorBaseES9_NS_15PhiloxCudaStateEEUliRdSB_SB_SB_RKfSD_SD_SD_E_dSC_jLin1ELi1ELi4ELi512ELi2EEEvNS0_6detail10TensorInfoIT0_T2_EENSG_IT1_SI_EESI_T_
; %bb.0:
	s_clause 0x1
	s_load_b32 s4, s[0:1], 0x1e4
	s_load_b32 s20, s[0:1], 0x1b0
	s_add_u32 s2, s0, 0x1d8
	s_addc_u32 s3, s1, 0
	s_waitcnt lgkmcnt(0)
	s_and_b32 s14, s4, 0xffff
	s_mov_b32 s4, exec_lo
	v_mad_u64_u32 v[1:2], null, s15, s14, v[0:1]
	s_delay_alu instid0(VALU_DEP_1) | instskip(NEXT) | instid1(VALU_DEP_1)
	v_lshlrev_b32_e32 v29, 2, v1
	v_cmpx_gt_u32_e64 s20, v29
	s_cbranch_execz .LBB72_73
; %bb.1:
	s_load_b32 s16, s[0:1], 0xd0
	s_load_b32 s2, s[2:3], 0x0
	s_clause 0x6
	s_load_b32 s3, s[0:1], 0x1d0
	s_load_b64 s[8:9], s[0:1], 0xd8
	s_load_b64 s[10:11], s[0:1], 0x1c8
	s_load_b32 s21, s[0:1], 0x144
	s_load_b128 s[4:7], s[0:1], 0x1b8
	s_load_b32 s22, s[0:1], 0x6c
	s_load_b64 s[12:13], s[0:1], 0x0
	v_mad_u64_u32 v[2:3], null, 0xcd9e8d57, v1, 0
	s_mov_b32 s15, 0
	v_mov_b32_e32 v4, 0
                                        ; implicit-def: $sgpr27
                                        ; implicit-def: $sgpr29
                                        ; implicit-def: $sgpr28
                                        ; implicit-def: $sgpr30
                                        ; implicit-def: $sgpr33
                                        ; implicit-def: $sgpr31
                                        ; implicit-def: $sgpr34
	s_delay_alu instid0(VALU_DEP_2)
	v_mov_b32_e32 v30, v3
	s_waitcnt lgkmcnt(0)
	s_cmp_gt_i32 s16, 1
	s_mul_i32 s2, s2, s14
	s_cselect_b32 s23, -1, 0
	s_bitcmp1_b32 s3, 0
	s_cselect_b32 s24, -1, 0
	s_add_i32 s14, s16, -1
	s_lshl_b32 s25, s2, 2
	s_lshl_b64 s[2:3], s[14:15], 2
	s_add_i32 s26, s16, 1
	s_add_u32 s0, s2, s0
	s_addc_u32 s1, s3, s1
	s_add_u32 s16, s0, 8
	s_addc_u32 s17, s1, 0
                                        ; implicit-def: $sgpr14
	s_branch .LBB72_3
.LBB72_2:                               ;   in Loop: Header=BB72_3 Depth=1
	s_or_b32 exec_lo, exec_lo, s1
	s_delay_alu instid0(SALU_CYCLE_1) | instskip(NEXT) | instid1(SALU_CYCLE_1)
	s_and_b32 s0, exec_lo, s0
	s_or_b32 s15, s0, s15
	s_and_not1_b32 s0, s14, exec_lo
	s_and_b32 s1, s34, exec_lo
	s_and_not1_b32 s2, s28, exec_lo
	s_and_b32 s3, s31, exec_lo
	s_or_b32 s14, s0, s1
	s_or_b32 s28, s2, s3
	s_and_not1_b32 s0, s29, exec_lo
	s_and_b32 s1, s33, exec_lo
	s_and_not1_b32 s2, s27, exec_lo
	s_and_b32 s3, s30, exec_lo
	s_or_b32 s29, s0, s1
	s_or_b32 s27, s2, s3
	s_and_not1_b32 exec_lo, exec_lo, s15
	s_cbranch_execz .LBB72_61
.LBB72_3:                               ; =>This Loop Header: Depth=1
                                        ;     Child Loop BB72_6 Depth 2
                                        ;     Child Loop BB72_11 Depth 2
	;; [unrolled: 1-line block ×4, first 2 shown]
	v_sub_nc_u32_e32 v31, s20, v29
	v_mov_b32_e32 v5, 0
	s_delay_alu instid0(VALU_DEP_2) | instskip(NEXT) | instid1(VALU_DEP_1)
	v_cmp_lt_i32_e64 s0, 0, v31
	s_and_saveexec_b32 s1, s0
	s_cbranch_execz .LBB72_8
; %bb.4:                                ;   in Loop: Header=BB72_3 Depth=1
	v_dual_mov_b32 v0, 0 :: v_dual_mov_b32 v3, v29
	s_and_not1_b32 vcc_lo, exec_lo, s23
	s_cbranch_vccnz .LBB72_7
; %bb.5:                                ;   in Loop: Header=BB72_3 Depth=1
	v_dual_mov_b32 v0, 0 :: v_dual_mov_b32 v3, v29
	s_mov_b64 s[2:3], s[16:17]
	s_mov_b32 s18, s26
	s_set_inst_prefetch_distance 0x1
	.p2align	6
.LBB72_6:                               ;   Parent Loop BB72_3 Depth=1
                                        ; =>  This Inner Loop Header: Depth=2
	s_clause 0x1
	s_load_b32 s19, s[2:3], 0x0
	s_load_b32 s35, s[2:3], 0x64
	v_mov_b32_e32 v7, v3
	s_add_i32 s18, s18, -1
	s_waitcnt lgkmcnt(0)
	v_cvt_f32_u32_e32 v5, s19
	s_sub_i32 s36, 0, s19
	s_add_u32 s2, s2, -4
	s_addc_u32 s3, s3, -1
	s_cmp_gt_u32 s18, 2
	v_rcp_iflag_f32_e32 v5, v5
	s_waitcnt_depctr 0xfff
	v_mul_f32_e32 v5, 0x4f7ffffe, v5
	s_delay_alu instid0(VALU_DEP_1) | instskip(NEXT) | instid1(VALU_DEP_1)
	v_cvt_u32_f32_e32 v5, v5
	v_mul_lo_u32 v6, s36, v5
	s_delay_alu instid0(VALU_DEP_1) | instskip(NEXT) | instid1(VALU_DEP_1)
	v_mul_hi_u32 v6, v5, v6
	v_add_nc_u32_e32 v3, v5, v6
	s_delay_alu instid0(VALU_DEP_1) | instskip(NEXT) | instid1(VALU_DEP_1)
	v_mul_hi_u32 v3, v7, v3
	v_add_nc_u32_e32 v6, 1, v3
	v_mul_lo_u32 v5, v3, s19
	s_delay_alu instid0(VALU_DEP_1) | instskip(NEXT) | instid1(VALU_DEP_1)
	v_sub_nc_u32_e32 v5, v7, v5
	v_subrev_nc_u32_e32 v8, s19, v5
	v_cmp_le_u32_e32 vcc_lo, s19, v5
	v_cndmask_b32_e32 v3, v3, v6, vcc_lo
	s_delay_alu instid0(VALU_DEP_1) | instskip(NEXT) | instid1(VALU_DEP_1)
	v_dual_cndmask_b32 v5, v5, v8 :: v_dual_add_nc_u32 v6, 1, v3
	v_cmp_le_u32_e32 vcc_lo, s19, v5
	s_delay_alu instid0(VALU_DEP_2) | instskip(NEXT) | instid1(VALU_DEP_1)
	v_cndmask_b32_e32 v3, v3, v6, vcc_lo
	v_mul_lo_u32 v5, v3, s19
	s_delay_alu instid0(VALU_DEP_1) | instskip(NEXT) | instid1(VALU_DEP_1)
	v_sub_nc_u32_e32 v7, v7, v5
	v_mad_u64_u32 v[5:6], null, s35, v7, v[0:1]
	s_delay_alu instid0(VALU_DEP_1)
	v_mov_b32_e32 v0, v5
	s_cbranch_scc1 .LBB72_6
.LBB72_7:                               ;   in Loop: Header=BB72_3 Depth=1
	s_set_inst_prefetch_distance 0x2
	s_delay_alu instid0(VALU_DEP_1)
	v_mad_u64_u32 v[5:6], null, s22, v3, v[0:1]
.LBB72_8:                               ;   in Loop: Header=BB72_3 Depth=1
	s_or_b32 exec_lo, exec_lo, s1
	v_mov_b32_e32 v6, 0
	v_mov_b32_e32 v7, 0
	v_cmp_lt_i32_e64 s1, 1, v31
	s_delay_alu instid0(VALU_DEP_1)
	s_and_saveexec_b32 s18, s1
	s_cbranch_execz .LBB72_13
; %bb.9:                                ;   in Loop: Header=BB72_3 Depth=1
	v_or_b32_e32 v3, 1, v29
	v_mov_b32_e32 v0, 0
	s_and_not1_b32 vcc_lo, exec_lo, s23
	s_cbranch_vccnz .LBB72_12
; %bb.10:                               ;   in Loop: Header=BB72_3 Depth=1
	v_mov_b32_e32 v0, 0
	s_mov_b64 s[2:3], s[16:17]
	s_mov_b32 s19, s26
	s_set_inst_prefetch_distance 0x1
	.p2align	6
.LBB72_11:                              ;   Parent Loop BB72_3 Depth=1
                                        ; =>  This Inner Loop Header: Depth=2
	s_clause 0x1
	s_load_b32 s35, s[2:3], 0x0
	s_load_b32 s36, s[2:3], 0x64
	s_add_i32 s19, s19, -1
	s_waitcnt lgkmcnt(0)
	v_cvt_f32_u32_e32 v6, s35
	s_sub_i32 s37, 0, s35
	s_add_u32 s2, s2, -4
	s_addc_u32 s3, s3, -1
	s_cmp_gt_u32 s19, 2
	v_rcp_iflag_f32_e32 v6, v6
	s_waitcnt_depctr 0xfff
	v_mul_f32_e32 v6, 0x4f7ffffe, v6
	s_delay_alu instid0(VALU_DEP_1) | instskip(NEXT) | instid1(VALU_DEP_1)
	v_cvt_u32_f32_e32 v6, v6
	v_mul_lo_u32 v7, s37, v6
	s_delay_alu instid0(VALU_DEP_1) | instskip(NEXT) | instid1(VALU_DEP_1)
	v_mul_hi_u32 v7, v6, v7
	v_dual_mov_b32 v8, v3 :: v_dual_add_nc_u32 v3, v6, v7
	s_delay_alu instid0(VALU_DEP_1) | instskip(NEXT) | instid1(VALU_DEP_1)
	v_mul_hi_u32 v3, v8, v3
	v_mul_lo_u32 v6, v3, s35
	v_add_nc_u32_e32 v7, 1, v3
	s_delay_alu instid0(VALU_DEP_2) | instskip(NEXT) | instid1(VALU_DEP_1)
	v_sub_nc_u32_e32 v6, v8, v6
	v_subrev_nc_u32_e32 v9, s35, v6
	v_cmp_le_u32_e32 vcc_lo, s35, v6
	s_delay_alu instid0(VALU_DEP_2) | instskip(NEXT) | instid1(VALU_DEP_1)
	v_dual_cndmask_b32 v3, v3, v7 :: v_dual_cndmask_b32 v6, v6, v9
	v_add_nc_u32_e32 v7, 1, v3
	s_delay_alu instid0(VALU_DEP_2) | instskip(NEXT) | instid1(VALU_DEP_2)
	v_cmp_le_u32_e32 vcc_lo, s35, v6
	v_cndmask_b32_e32 v3, v3, v7, vcc_lo
	s_delay_alu instid0(VALU_DEP_1) | instskip(NEXT) | instid1(VALU_DEP_1)
	v_mul_lo_u32 v6, v3, s35
	v_sub_nc_u32_e32 v8, v8, v6
	s_delay_alu instid0(VALU_DEP_1) | instskip(NEXT) | instid1(VALU_DEP_1)
	v_mad_u64_u32 v[6:7], null, s36, v8, v[0:1]
	v_mov_b32_e32 v0, v6
	s_cbranch_scc1 .LBB72_11
.LBB72_12:                              ;   in Loop: Header=BB72_3 Depth=1
	s_set_inst_prefetch_distance 0x2
	s_delay_alu instid0(VALU_DEP_1)
	v_mad_u64_u32 v[6:7], null, s22, v3, v[0:1]
	v_mov_b32_e32 v7, v4
.LBB72_13:                              ;   in Loop: Header=BB72_3 Depth=1
	s_or_b32 exec_lo, exec_lo, s18
	v_mov_b32_e32 v8, 0
	v_mov_b32_e32 v9, 0
	v_cmp_lt_i32_e64 s2, 2, v31
	s_delay_alu instid0(VALU_DEP_1)
	s_and_saveexec_b32 s3, s2
	s_cbranch_execz .LBB72_18
; %bb.14:                               ;   in Loop: Header=BB72_3 Depth=1
	v_or_b32_e32 v3, 2, v29
	v_mov_b32_e32 v0, 0
	s_and_not1_b32 vcc_lo, exec_lo, s23
	s_cbranch_vccnz .LBB72_17
; %bb.15:                               ;   in Loop: Header=BB72_3 Depth=1
	v_mov_b32_e32 v0, 0
	s_mov_b64 s[18:19], s[16:17]
	s_mov_b32 s35, s26
	s_set_inst_prefetch_distance 0x1
	.p2align	6
.LBB72_16:                              ;   Parent Loop BB72_3 Depth=1
                                        ; =>  This Inner Loop Header: Depth=2
	s_clause 0x1
	s_load_b32 s36, s[18:19], 0x0
	s_load_b32 s37, s[18:19], 0x64
	s_add_i32 s35, s35, -1
	s_waitcnt lgkmcnt(0)
	v_cvt_f32_u32_e32 v8, s36
	s_sub_i32 s38, 0, s36
	s_add_u32 s18, s18, -4
	s_addc_u32 s19, s19, -1
	s_cmp_gt_u32 s35, 2
	v_rcp_iflag_f32_e32 v8, v8
	s_waitcnt_depctr 0xfff
	v_mul_f32_e32 v8, 0x4f7ffffe, v8
	s_delay_alu instid0(VALU_DEP_1) | instskip(NEXT) | instid1(VALU_DEP_1)
	v_cvt_u32_f32_e32 v8, v8
	v_mul_lo_u32 v9, s38, v8
	s_delay_alu instid0(VALU_DEP_1) | instskip(NEXT) | instid1(VALU_DEP_1)
	v_mul_hi_u32 v9, v8, v9
	v_dual_mov_b32 v10, v3 :: v_dual_add_nc_u32 v3, v8, v9
	s_delay_alu instid0(VALU_DEP_1) | instskip(NEXT) | instid1(VALU_DEP_1)
	v_mul_hi_u32 v3, v10, v3
	v_mul_lo_u32 v8, v3, s36
	v_add_nc_u32_e32 v9, 1, v3
	s_delay_alu instid0(VALU_DEP_2) | instskip(NEXT) | instid1(VALU_DEP_1)
	v_sub_nc_u32_e32 v8, v10, v8
	v_subrev_nc_u32_e32 v11, s36, v8
	v_cmp_le_u32_e32 vcc_lo, s36, v8
	s_delay_alu instid0(VALU_DEP_2) | instskip(NEXT) | instid1(VALU_DEP_1)
	v_dual_cndmask_b32 v3, v3, v9 :: v_dual_cndmask_b32 v8, v8, v11
	v_add_nc_u32_e32 v9, 1, v3
	s_delay_alu instid0(VALU_DEP_2) | instskip(NEXT) | instid1(VALU_DEP_2)
	v_cmp_le_u32_e32 vcc_lo, s36, v8
	v_cndmask_b32_e32 v3, v3, v9, vcc_lo
	s_delay_alu instid0(VALU_DEP_1) | instskip(NEXT) | instid1(VALU_DEP_1)
	v_mul_lo_u32 v8, v3, s36
	v_sub_nc_u32_e32 v10, v10, v8
	s_delay_alu instid0(VALU_DEP_1) | instskip(NEXT) | instid1(VALU_DEP_1)
	v_mad_u64_u32 v[8:9], null, s37, v10, v[0:1]
	v_mov_b32_e32 v0, v8
	s_cbranch_scc1 .LBB72_16
.LBB72_17:                              ;   in Loop: Header=BB72_3 Depth=1
	s_set_inst_prefetch_distance 0x2
	s_delay_alu instid0(VALU_DEP_1)
	v_mad_u64_u32 v[8:9], null, s22, v3, v[0:1]
	v_mov_b32_e32 v9, v4
.LBB72_18:                              ;   in Loop: Header=BB72_3 Depth=1
	s_or_b32 exec_lo, exec_lo, s3
	v_mov_b32_e32 v12, 0
	v_mov_b32_e32 v13, 0
	v_cmp_lt_i32_e64 s3, 3, v31
	s_delay_alu instid0(VALU_DEP_1)
	s_and_saveexec_b32 s35, s3
	s_cbranch_execz .LBB72_23
; %bb.19:                               ;   in Loop: Header=BB72_3 Depth=1
	v_or_b32_e32 v3, 3, v29
	v_mov_b32_e32 v0, 0
	s_and_not1_b32 vcc_lo, exec_lo, s23
	s_cbranch_vccnz .LBB72_22
; %bb.20:                               ;   in Loop: Header=BB72_3 Depth=1
	v_mov_b32_e32 v0, 0
	s_mov_b64 s[18:19], s[16:17]
	s_mov_b32 s36, s26
	s_set_inst_prefetch_distance 0x1
	.p2align	6
.LBB72_21:                              ;   Parent Loop BB72_3 Depth=1
                                        ; =>  This Inner Loop Header: Depth=2
	s_clause 0x1
	s_load_b32 s37, s[18:19], 0x0
	s_load_b32 s38, s[18:19], 0x64
	s_add_i32 s36, s36, -1
	s_waitcnt lgkmcnt(0)
	v_cvt_f32_u32_e32 v10, s37
	s_sub_i32 s39, 0, s37
	s_add_u32 s18, s18, -4
	s_addc_u32 s19, s19, -1
	s_cmp_gt_u32 s36, 2
	v_rcp_iflag_f32_e32 v10, v10
	s_waitcnt_depctr 0xfff
	v_mul_f32_e32 v10, 0x4f7ffffe, v10
	s_delay_alu instid0(VALU_DEP_1) | instskip(NEXT) | instid1(VALU_DEP_1)
	v_cvt_u32_f32_e32 v10, v10
	v_mul_lo_u32 v11, s39, v10
	s_delay_alu instid0(VALU_DEP_1) | instskip(NEXT) | instid1(VALU_DEP_1)
	v_mul_hi_u32 v11, v10, v11
	v_dual_mov_b32 v12, v3 :: v_dual_add_nc_u32 v3, v10, v11
	s_delay_alu instid0(VALU_DEP_1) | instskip(NEXT) | instid1(VALU_DEP_1)
	v_mul_hi_u32 v3, v12, v3
	v_mul_lo_u32 v10, v3, s37
	v_add_nc_u32_e32 v11, 1, v3
	s_delay_alu instid0(VALU_DEP_2) | instskip(NEXT) | instid1(VALU_DEP_1)
	v_sub_nc_u32_e32 v10, v12, v10
	v_subrev_nc_u32_e32 v13, s37, v10
	v_cmp_le_u32_e32 vcc_lo, s37, v10
	s_delay_alu instid0(VALU_DEP_2) | instskip(NEXT) | instid1(VALU_DEP_1)
	v_dual_cndmask_b32 v3, v3, v11 :: v_dual_cndmask_b32 v10, v10, v13
	v_add_nc_u32_e32 v11, 1, v3
	s_delay_alu instid0(VALU_DEP_2) | instskip(NEXT) | instid1(VALU_DEP_2)
	v_cmp_le_u32_e32 vcc_lo, s37, v10
	v_cndmask_b32_e32 v3, v3, v11, vcc_lo
	s_delay_alu instid0(VALU_DEP_1) | instskip(NEXT) | instid1(VALU_DEP_1)
	v_mul_lo_u32 v10, v3, s37
	v_sub_nc_u32_e32 v12, v12, v10
	s_delay_alu instid0(VALU_DEP_1) | instskip(NEXT) | instid1(VALU_DEP_1)
	v_mad_u64_u32 v[10:11], null, s38, v12, v[0:1]
	v_mov_b32_e32 v0, v10
	s_cbranch_scc1 .LBB72_21
.LBB72_22:                              ;   in Loop: Header=BB72_3 Depth=1
	s_set_inst_prefetch_distance 0x2
	s_delay_alu instid0(VALU_DEP_1)
	v_mad_u64_u32 v[12:13], null, s22, v3, v[0:1]
	v_mov_b32_e32 v13, v4
.LBB72_23:                              ;   in Loop: Header=BB72_3 Depth=1
	s_or_b32 exec_lo, exec_lo, s35
	v_mul_lo_u32 v0, v29, s21
	s_delay_alu instid0(VALU_DEP_1) | instskip(SKIP_1) | instid1(VALU_DEP_2)
	v_add_nc_u32_e32 v14, s21, v0
	v_cndmask_b32_e64 v3, 0, v0, s0
	v_add_nc_u32_e32 v0, s21, v14
	s_delay_alu instid0(VALU_DEP_2) | instskip(SKIP_1) | instid1(VALU_DEP_3)
	v_lshlrev_b64 v[10:11], 2, v[3:4]
	v_cndmask_b32_e64 v3, 0, v14, s1
	v_add_nc_u32_e32 v18, s21, v0
	s_delay_alu instid0(VALU_DEP_2) | instskip(SKIP_3) | instid1(VALU_DEP_3)
	v_lshlrev_b64 v[14:15], 2, v[3:4]
	v_cndmask_b32_e64 v3, 0, v0, s2
	v_add_co_u32 v10, vcc_lo, s8, v10
	v_add_co_ci_u32_e32 v11, vcc_lo, s9, v11, vcc_lo
	v_lshlrev_b64 v[16:17], 2, v[3:4]
	v_cndmask_b32_e64 v3, 0, v18, s3
	v_add_co_u32 v14, vcc_lo, s8, v14
	v_add_co_ci_u32_e32 v15, vcc_lo, s9, v15, vcc_lo
	s_delay_alu instid0(VALU_DEP_3) | instskip(SKIP_2) | instid1(VALU_DEP_3)
	v_lshlrev_b64 v[18:19], 2, v[3:4]
	v_add_co_u32 v16, vcc_lo, s8, v16
	v_add_co_ci_u32_e32 v17, vcc_lo, s9, v17, vcc_lo
	v_add_co_u32 v18, vcc_lo, s8, v18
	s_delay_alu instid0(VALU_DEP_4)
	v_add_co_ci_u32_e32 v19, vcc_lo, s9, v19, vcc_lo
	s_clause 0x3
	global_load_b32 v0, v[10:11], off
	global_load_b32 v3, v[14:15], off
	;; [unrolled: 1-line block ×4, first 2 shown]
	v_mov_b32_e32 v19, s5
	v_dual_mov_b32 v17, s7 :: v_dual_mov_b32 v16, s6
	v_mov_b32_e32 v18, s4
	s_and_not1_b32 vcc_lo, exec_lo, s24
	s_cbranch_vccnz .LBB72_25
; %bb.24:                               ;   in Loop: Header=BB72_3 Depth=1
	v_dual_mov_b32 v11, s7 :: v_dual_mov_b32 v10, s6
	v_dual_mov_b32 v15, s5 :: v_dual_mov_b32 v14, s4
	flat_load_b64 v[10:11], v[10:11]
	flat_load_b64 v[18:19], v[14:15]
	s_waitcnt vmcnt(1) lgkmcnt(1)
	v_add_co_u32 v16, vcc_lo, v10, s10
	v_add_co_ci_u32_e32 v17, vcc_lo, s11, v11, vcc_lo
.LBB72_25:                              ;   in Loop: Header=BB72_3 Depth=1
	s_delay_alu instid0(VALU_DEP_1)
	v_alignbit_b32 v20, v17, v16, 2
	v_lshrrev_b32_e32 v14, 2, v17
	s_waitcnt vmcnt(0) lgkmcnt(0)
	v_add_nc_u32_e32 v35, 0xbb67ae85, v19
	v_add_nc_u32_e32 v36, 0x3c6ef372, v18
	;; [unrolled: 1-line block ×3, first 2 shown]
	v_add_co_u32 v15, vcc_lo, v20, 1
	s_delay_alu instid0(VALU_DEP_1) | instskip(SKIP_4) | instid1(VALU_DEP_4)
	v_cndmask_b32_e64 v10, 0, 1, vcc_lo
	v_add_co_ci_u32_e32 v17, vcc_lo, 0, v14, vcc_lo
	v_xor3_b32 v22, v30, v18, v14
	v_add_nc_u32_e32 v39, 0xed9eba14, v19
	v_add_nc_u32_e32 v40, 0x1fd5c5a3, v19
	v_cmp_eq_u32_e32 vcc_lo, 0, v17
	s_mov_b32 s0, exec_lo
	v_dual_cndmask_b32 v21, 0, v10 :: v_dual_add_nc_u32 v38, 0x32370b8f, v19
	v_mad_u64_u32 v[10:11], null, 0xd2511f53, v15, 0
	v_mad_u64_u32 v[14:15], null, 0xd2511f53, v20, 0
	s_delay_alu instid0(VALU_DEP_3) | instskip(NEXT) | instid1(VALU_DEP_3)
	v_add_nc_u32_e32 v24, v21, v1
	v_xor_b32_e32 v11, v11, v19
	s_delay_alu instid0(VALU_DEP_2) | instskip(SKIP_1) | instid1(VALU_DEP_1)
	v_cmp_eq_u32_e32 vcc_lo, 0, v24
	v_dual_cndmask_b32 v21, 0, v21 :: v_dual_add_nc_u32 v34, 0x9e3779b9, v18
	v_xor_b32_e32 v11, v21, v11
	v_mad_u64_u32 v[20:21], null, 0xd2511f53, v22, 0
	v_mad_u64_u32 v[22:23], null, 0xcd9e8d57, v24, 0
	s_delay_alu instid0(VALU_DEP_3) | instskip(SKIP_1) | instid1(VALU_DEP_4)
	v_mad_u64_u32 v[24:25], null, 0xcd9e8d57, v11, 0
	v_xor_b32_e32 v11, v15, v19
	v_xor3_b32 v26, v35, v21, v14
	s_delay_alu instid0(VALU_DEP_2) | instskip(SKIP_2) | instid1(VALU_DEP_4)
	v_mad_u64_u32 v[14:15], null, 0xcd9e8d57, v11, 0
	v_xor3_b32 v11, v23, v18, v17
	v_xor3_b32 v17, v34, v25, v22
	v_mad_u64_u32 v[21:22], null, 0xcd9e8d57, v26, 0
	s_delay_alu instid0(VALU_DEP_3) | instskip(NEXT) | instid1(VALU_DEP_3)
	v_mad_u64_u32 v[25:26], null, 0xd2511f53, v11, 0
	v_mad_u64_u32 v[27:28], null, 0xd2511f53, v17, 0
	v_xor3_b32 v11, v2, v15, v34
	s_delay_alu instid0(VALU_DEP_4) | instskip(SKIP_2) | instid1(VALU_DEP_4)
	v_xor3_b32 v22, v36, v22, v14
	v_add_nc_u32_e32 v17, 0xdaa66d2b, v18
	v_xor3_b32 v26, v35, v26, v10
	v_mad_u64_u32 v[14:15], null, 0xd2511f53, v11, 0
	v_xor3_b32 v28, v37, v28, v25
	v_mad_u64_u32 v[10:11], null, 0xd2511f53, v22, 0
	s_delay_alu instid0(VALU_DEP_4) | instskip(NEXT) | instid1(VALU_DEP_3)
	v_mad_u64_u32 v[22:23], null, 0xcd9e8d57, v26, 0
	v_mad_u64_u32 v[25:26], null, 0xcd9e8d57, v28, 0
	v_xor3_b32 v20, v37, v15, v20
	v_add_nc_u32_e32 v28, 0x78dde6e4, v18
	v_xor3_b32 v11, v38, v11, v14
	s_delay_alu instid0(VALU_DEP_3) | instskip(SKIP_2) | instid1(VALU_DEP_4)
	v_mad_u64_u32 v[14:15], null, 0xcd9e8d57, v20, 0
	v_xor3_b32 v20, v36, v23, v24
	v_xor3_b32 v24, v17, v26, v22
	v_mad_u64_u32 v[22:23], null, 0xcd9e8d57, v11, 0
	s_delay_alu instid0(VALU_DEP_3) | instskip(NEXT) | instid1(VALU_DEP_3)
	v_mad_u64_u32 v[34:35], null, 0xd2511f53, v20, 0
	v_mad_u64_u32 v[36:37], null, 0xd2511f53, v24, 0
	v_xor3_b32 v11, v17, v15, v21
	s_delay_alu instid0(VALU_DEP_4) | instskip(SKIP_2) | instid1(VALU_DEP_4)
	v_xor3_b32 v20, v28, v23, v14
	v_add_nc_u32_e32 v17, 0x1715609d, v18
	v_add_nc_u32_e32 v24, 0xa9066899, v19
	v_mad_u64_u32 v[14:15], null, 0xd2511f53, v11, 0
	v_xor3_b32 v11, v38, v35, v27
	v_xor3_b32 v23, v39, v37, v34
	v_mad_u64_u32 v[26:27], null, 0xd2511f53, v20, 0
	v_add_nc_u32_e32 v35, 0xb54cda56, v18
	s_delay_alu instid0(VALU_DEP_4) | instskip(NEXT) | instid1(VALU_DEP_4)
	v_mad_u64_u32 v[20:21], null, 0xcd9e8d57, v11, 0
	v_mad_u64_u32 v[37:38], null, 0xcd9e8d57, v23, 0
	v_xor3_b32 v15, v39, v15, v10
	v_xor3_b32 v23, v24, v27, v14
	v_add_nc_u32_e32 v34, 0x646e171e, v19
	v_xor3_b32 v25, v28, v21, v25
	s_delay_alu instid0(VALU_DEP_4) | instskip(SKIP_2) | instid1(VALU_DEP_4)
	v_mad_u64_u32 v[10:11], null, 0xcd9e8d57, v15, 0
	v_xor3_b32 v27, v17, v38, v20
	v_mad_u64_u32 v[14:15], null, 0xcd9e8d57, v23, 0
	v_mad_u64_u32 v[20:21], null, 0xd2511f53, v25, 0
	s_delay_alu instid0(VALU_DEP_3) | instskip(SKIP_3) | instid1(VALU_DEP_3)
	v_mad_u64_u32 v[38:39], null, 0xd2511f53, v27, 0
	v_xor3_b32 v17, v17, v11, v22
	v_add_nc_u32_e32 v25, 0x5384540f, v18
	v_xor3_b32 v15, v35, v15, v10
	v_mad_u64_u32 v[10:11], null, 0xd2511f53, v17, 0
	v_xor3_b32 v17, v24, v21, v36
	v_xor3_b32 v22, v34, v39, v20
	s_delay_alu instid0(VALU_DEP_4) | instskip(NEXT) | instid1(VALU_DEP_3)
	v_mad_u64_u32 v[20:21], null, 0xd2511f53, v15, 0
	v_mad_u64_u32 v[27:28], null, 0xcd9e8d57, v17, 0
	s_delay_alu instid0(VALU_DEP_3) | instskip(SKIP_1) | instid1(VALU_DEP_4)
	v_mad_u64_u32 v[23:24], null, 0xcd9e8d57, v22, 0
	v_xor3_b32 v15, v34, v11, v26
	v_xor3_b32 v17, v40, v21, v10
	v_add_co_u32 v34, null, 0xf1bbcdc8, v18
	s_delay_alu instid0(VALU_DEP_3) | instskip(SKIP_4) | instid1(VALU_DEP_4)
	v_mad_u64_u32 v[10:11], null, 0xcd9e8d57, v15, 0
	v_xor3_b32 v15, v35, v28, v37
	v_xor3_b32 v24, v25, v24, v27
	v_mad_u64_u32 v[21:22], null, 0xcd9e8d57, v17, 0
	v_add_nc_u32_e32 v35, 0xdb3d7428, v19
	v_mad_u64_u32 v[36:37], null, 0xd2511f53, v15, 0
	s_delay_alu instid0(VALU_DEP_4) | instskip(SKIP_4) | instid1(VALU_DEP_4)
	v_mad_u64_u32 v[26:27], null, 0xd2511f53, v24, 0
	v_xor3_b32 v11, v25, v11, v14
	v_xor3_b32 v14, v34, v22, v10
	v_add_nc_u32_e32 v22, 0x8ff34781, v18
	v_xor3_b32 v15, v40, v37, v38
	v_mad_u64_u32 v[24:25], null, 0xd2511f53, v11, 0
	v_xor3_b32 v17, v35, v27, v36
	v_mad_u64_u32 v[10:11], null, 0xd2511f53, v14, 0
	s_delay_alu instid0(VALU_DEP_4) | instskip(NEXT) | instid1(VALU_DEP_3)
	v_mad_u64_u32 v[27:28], null, 0xcd9e8d57, v15, 0
	v_mad_u64_u32 v[14:15], null, 0xcd9e8d57, v17, 0
	v_add_nc_u32_e32 v36, 0x96a522ad, v19
	v_and_b32_e32 v19, 3, v16
                                        ; implicit-def: $vgpr17
	s_delay_alu instid0(VALU_DEP_2) | instskip(NEXT) | instid1(VALU_DEP_4)
	v_xor3_b32 v18, v11, v24, v36
	v_xor3_b32 v11, v15, v27, v22
	s_delay_alu instid0(VALU_DEP_3)
	v_cmpx_lt_i32_e32 1, v19
	s_xor_b32 s0, exec_lo, s0
	s_cbranch_execz .LBB72_31
; %bb.26:                               ;   in Loop: Header=BB72_3 Depth=1
	s_mov_b32 s1, exec_lo
                                        ; implicit-def: $vgpr17
	v_cmpx_lt_i32_e32 2, v19
	s_xor_b32 s1, exec_lo, s1
; %bb.27:                               ;   in Loop: Header=BB72_3 Depth=1
	v_xor3_b32 v15, v34, v28, v23
                                        ; implicit-def: $vgpr18
	s_delay_alu instid0(VALU_DEP_1) | instskip(NEXT) | instid1(VALU_DEP_1)
	v_mul_hi_u32 v15, 0xd2511f53, v15
	v_xor3_b32 v17, v15, v26, v36
; %bb.28:                               ;   in Loop: Header=BB72_3 Depth=1
	s_and_not1_saveexec_b32 s1, s1
; %bb.29:                               ;   in Loop: Header=BB72_3 Depth=1
	v_dual_mov_b32 v17, v14 :: v_dual_mov_b32 v14, v11
	v_mov_b32_e32 v11, v10
	v_mov_b32_e32 v10, v18
; %bb.30:                               ;   in Loop: Header=BB72_3 Depth=1
	s_or_b32 exec_lo, exec_lo, s1
                                        ; implicit-def: $vgpr20_vgpr21
                                        ; implicit-def: $vgpr19
                                        ; implicit-def: $vgpr18
                                        ; implicit-def: $vgpr35
                                        ; implicit-def: $vgpr24_vgpr25
                                        ; implicit-def: $vgpr21_vgpr22
                                        ; implicit-def: $vgpr22
.LBB72_31:                              ;   in Loop: Header=BB72_3 Depth=1
	s_and_not1_saveexec_b32 s0, s0
	s_cbranch_execz .LBB72_35
; %bb.32:                               ;   in Loop: Header=BB72_3 Depth=1
	v_xor3_b32 v14, v35, v25, v20
	v_cmp_eq_u32_e32 vcc_lo, 1, v19
	s_delay_alu instid0(VALU_DEP_2) | instskip(SKIP_2) | instid1(VALU_DEP_3)
	v_mad_u64_u32 v[15:16], null, 0xcd9e8d57, v14, 0
	v_mov_b32_e32 v17, v10
	v_mov_b32_e32 v14, v18
	v_xor3_b32 v19, v16, v21, v22
	s_delay_alu instid0(VALU_DEP_4)
	v_mov_b32_e32 v16, v15
	s_and_saveexec_b32 s1, vcc_lo
; %bb.33:                               ;   in Loop: Header=BB72_3 Depth=1
	v_dual_mov_b32 v17, v11 :: v_dual_mov_b32 v14, v10
	v_dual_mov_b32 v16, v18 :: v_dual_mov_b32 v19, v15
; %bb.34:                               ;   in Loop: Header=BB72_3 Depth=1
	s_or_b32 exec_lo, exec_lo, s1
	s_delay_alu instid0(VALU_DEP_1)
	v_dual_mov_b32 v10, v19 :: v_dual_mov_b32 v11, v16
.LBB72_35:                              ;   in Loop: Header=BB72_3 Depth=1
	s_or_b32 exec_lo, exec_lo, s0
	v_min_i32_e32 v15, 4, v31
	s_mov_b32 s1, 0
	s_mov_b32 s36, 0
	;; [unrolled: 1-line block ×3, first 2 shown]
                                        ; implicit-def: $sgpr3
                                        ; implicit-def: $sgpr18
                                        ; implicit-def: $sgpr19
	s_mov_b32 s0, exec_lo
	v_cmpx_lt_i32_e32 2, v15
	s_xor_b32 s35, exec_lo, s0
	s_cbranch_execz .LBB72_47
; %bb.36:                               ;   in Loop: Header=BB72_3 Depth=1
	s_mov_b32 s0, -1
	s_mov_b32 s37, 0
	s_mov_b32 s18, exec_lo
                                        ; implicit-def: $sgpr2
                                        ; implicit-def: $sgpr3
	v_cmpx_lt_i32_e32 3, v15
	s_cbranch_execz .LBB72_42
; %bb.37:                               ;   in Loop: Header=BB72_3 Depth=1
	s_mov_b32 s0, 0
	s_mov_b32 s37, -1
	s_mov_b32 s19, exec_lo
                                        ; implicit-def: $sgpr2
                                        ; implicit-def: $sgpr3
	v_cmpx_eq_u32_e32 4, v15
	s_cbranch_execz .LBB72_41
; %bb.38:                               ;   in Loop: Header=BB72_3 Depth=1
	v_cmp_le_f32_e32 vcc_lo, 0, v33
	v_cmp_ge_f32_e64 s0, 1.0, v33
	s_mov_b32 s2, 0
	s_delay_alu instid0(VALU_DEP_1)
	s_and_b32 s37, vcc_lo, s0
	s_mov_b32 s0, 0
	s_and_saveexec_b32 s3, s37
	s_cbranch_execz .LBB72_40
; %bb.39:                               ;   in Loop: Header=BB72_3 Depth=1
	v_cvt_f32_u32_e32 v16, v17
	v_lshlrev_b64 v[12:13], 3, v[12:13]
	s_mov_b32 s0, exec_lo
	s_delay_alu instid0(VALU_DEP_2) | instskip(NEXT) | instid1(VALU_DEP_2)
	v_fmaak_f32 v16, 0x2f800000, v16, 0x2f800000
	v_add_co_u32 v12, vcc_lo, s12, v12
	s_delay_alu instid0(VALU_DEP_3) | instskip(NEXT) | instid1(VALU_DEP_3)
	v_add_co_ci_u32_e32 v13, vcc_lo, s13, v13, vcc_lo
	v_cmp_le_f32_e32 vcc_lo, v16, v33
	v_mov_b32_e32 v16, v4
	v_cndmask_b32_e64 v17, 0, 0x3ff00000, vcc_lo
	global_store_b64 v[12:13], v[16:17], off
.LBB72_40:                              ;   in Loop: Header=BB72_3 Depth=1
	s_or_b32 exec_lo, exec_lo, s3
	s_mov_b32 s3, -1
	s_xor_b32 s37, exec_lo, -1
	s_and_b32 s0, s0, exec_lo
.LBB72_41:                              ;   in Loop: Header=BB72_3 Depth=1
	s_or_b32 exec_lo, exec_lo, s19
	s_delay_alu instid0(SALU_CYCLE_1)
	s_and_b32 s37, s37, exec_lo
	s_or_not1_b32 s0, s0, exec_lo
.LBB72_42:                              ;   in Loop: Header=BB72_3 Depth=1
	s_or_b32 exec_lo, exec_lo, s18
	s_mov_b32 s19, s2
	s_and_saveexec_b32 s18, s0
	s_cbranch_execz .LBB72_46
; %bb.43:                               ;   in Loop: Header=BB72_3 Depth=1
	v_cmp_le_f32_e32 vcc_lo, 0, v32
	v_cmp_ge_f32_e64 s0, 1.0, v32
	s_delay_alu instid0(VALU_DEP_1) | instskip(SKIP_2) | instid1(SALU_CYCLE_1)
	s_and_b32 s19, vcc_lo, s0
	s_mov_b32 s0, 0
	s_and_saveexec_b32 s36, s19
	s_xor_b32 s19, exec_lo, s36
	s_cbranch_execz .LBB72_45
; %bb.44:                               ;   in Loop: Header=BB72_3 Depth=1
	v_cvt_f32_u32_e32 v12, v14
	v_lshlrev_b64 v[8:9], 3, v[8:9]
	s_mov_b32 s0, exec_lo
	s_delay_alu instid0(VALU_DEP_2) | instskip(NEXT) | instid1(VALU_DEP_2)
	v_fmaak_f32 v12, 0x2f800000, v12, 0x2f800000
	v_add_co_u32 v8, vcc_lo, s12, v8
	s_delay_alu instid0(VALU_DEP_3) | instskip(NEXT) | instid1(VALU_DEP_3)
	v_add_co_ci_u32_e32 v9, vcc_lo, s13, v9, vcc_lo
	v_cmp_le_f32_e32 vcc_lo, v12, v32
	v_mov_b32_e32 v12, v4
	v_cndmask_b32_e64 v13, 0, 0x3ff00000, vcc_lo
	global_store_b64 v[8:9], v[12:13], off
.LBB72_45:                              ;   in Loop: Header=BB72_3 Depth=1
	s_or_b32 exec_lo, exec_lo, s19
	s_delay_alu instid0(SALU_CYCLE_1)
	s_and_not1_b32 s19, s2, exec_lo
	s_or_b32 s2, s2, exec_lo
	s_and_not1_b32 s3, s3, exec_lo
	s_and_b32 s36, s0, exec_lo
.LBB72_46:                              ;   in Loop: Header=BB72_3 Depth=1
	s_or_b32 exec_lo, exec_lo, s18
	s_delay_alu instid0(SALU_CYCLE_1)
	s_and_b32 s19, s19, exec_lo
	s_and_b32 s18, s2, exec_lo
	;; [unrolled: 1-line block ×5, first 2 shown]
.LBB72_47:                              ;   in Loop: Header=BB72_3 Depth=1
	s_and_not1_saveexec_b32 s0, s35
; %bb.48:                               ;   in Loop: Header=BB72_3 Depth=1
	v_cmp_lt_i32_e32 vcc_lo, 1, v15
	s_and_not1_b32 s35, s36, exec_lo
	s_mov_b32 s1, exec_lo
	s_and_not1_b32 s19, s19, exec_lo
	s_and_not1_b32 s18, s18, exec_lo
	s_and_b32 s36, vcc_lo, exec_lo
	s_and_not1_b32 s3, s3, exec_lo
	s_or_b32 s36, s35, s36
; %bb.49:                               ;   in Loop: Header=BB72_3 Depth=1
	s_or_b32 exec_lo, exec_lo, s0
	s_mov_b32 s0, 0
	s_mov_b32 s35, s19
	s_and_saveexec_b32 s37, s36
	s_cbranch_execnz .LBB72_52
; %bb.50:                               ;   in Loop: Header=BB72_3 Depth=1
	s_or_b32 exec_lo, exec_lo, s37
	s_and_saveexec_b32 s36, s1
	s_cbranch_execnz .LBB72_55
.LBB72_51:                              ;   in Loop: Header=BB72_3 Depth=1
	s_or_b32 exec_lo, exec_lo, s36
	s_and_saveexec_b32 s1, s0
	s_cbranch_execnz .LBB72_56
	s_branch .LBB72_59
.LBB72_52:                              ;   in Loop: Header=BB72_3 Depth=1
	v_cmp_le_f32_e32 vcc_lo, 0, v3
	v_cmp_ge_f32_e64 s0, 1.0, v3
	s_delay_alu instid0(VALU_DEP_1) | instskip(SKIP_2) | instid1(SALU_CYCLE_1)
	s_and_b32 s35, vcc_lo, s0
	s_mov_b32 s0, 0
	s_and_saveexec_b32 s36, s35
	s_xor_b32 s35, exec_lo, s36
	s_cbranch_execz .LBB72_54
; %bb.53:                               ;   in Loop: Header=BB72_3 Depth=1
	v_cvt_f32_u32_e32 v8, v11
	v_lshlrev_b64 v[6:7], 3, v[6:7]
	s_mov_b32 s0, exec_lo
	s_delay_alu instid0(VALU_DEP_2) | instskip(NEXT) | instid1(VALU_DEP_2)
	v_fmaak_f32 v8, 0x2f800000, v8, 0x2f800000
	v_add_co_u32 v6, vcc_lo, s12, v6
	s_delay_alu instid0(VALU_DEP_3) | instskip(NEXT) | instid1(VALU_DEP_3)
	v_add_co_ci_u32_e32 v7, vcc_lo, s13, v7, vcc_lo
	v_cmp_le_f32_e32 vcc_lo, v8, v3
	v_mov_b32_e32 v8, v4
	v_cndmask_b32_e64 v9, 0, 0x3ff00000, vcc_lo
	global_store_b64 v[6:7], v[8:9], off
.LBB72_54:                              ;   in Loop: Header=BB72_3 Depth=1
	s_or_b32 exec_lo, exec_lo, s35
	s_delay_alu instid0(SALU_CYCLE_1)
	s_and_not1_b32 s35, s19, exec_lo
	s_or_b32 s19, s19, exec_lo
	s_and_not1_b32 s18, s18, exec_lo
	s_and_not1_b32 s3, s3, exec_lo
	s_and_b32 s0, s0, exec_lo
	s_and_not1_b32 s1, s1, exec_lo
	s_or_b32 exec_lo, exec_lo, s37
	s_and_saveexec_b32 s36, s1
	s_cbranch_execz .LBB72_51
.LBB72_55:                              ;   in Loop: Header=BB72_3 Depth=1
	v_cmp_eq_u32_e32 vcc_lo, 1, v15
	s_and_not1_b32 s0, s0, exec_lo
	s_and_not1_b32 s35, s35, exec_lo
	;; [unrolled: 1-line block ×4, first 2 shown]
	s_and_b32 s1, vcc_lo, exec_lo
	s_and_not1_b32 s3, s3, exec_lo
	s_or_b32 s2, s2, exec_lo
	s_or_b32 s0, s0, s1
	s_or_b32 exec_lo, exec_lo, s36
	s_and_saveexec_b32 s1, s0
	s_cbranch_execz .LBB72_59
.LBB72_56:                              ;   in Loop: Header=BB72_3 Depth=1
	v_cmp_le_f32_e32 vcc_lo, 0, v0
	v_cmp_ge_f32_e64 s0, 1.0, v0
	s_delay_alu instid0(VALU_DEP_1)
	s_and_b32 s37, vcc_lo, s0
	s_mov_b32 s0, 0
	s_and_saveexec_b32 s36, s37
	s_cbranch_execz .LBB72_58
; %bb.57:                               ;   in Loop: Header=BB72_3 Depth=1
	v_cvt_f32_u32_e32 v3, v10
	v_mov_b32_e32 v6, v4
	s_mov_b32 s0, exec_lo
	s_delay_alu instid0(VALU_DEP_2) | instskip(NEXT) | instid1(VALU_DEP_2)
	v_fmaak_f32 v3, 0x2f800000, v3, 0x2f800000
	v_lshlrev_b64 v[5:6], 3, v[5:6]
	s_delay_alu instid0(VALU_DEP_2) | instskip(SKIP_1) | instid1(VALU_DEP_3)
	v_cmp_le_f32_e32 vcc_lo, v3, v0
	v_cndmask_b32_e64 v7, 0, 0x3ff00000, vcc_lo
	v_add_co_u32 v8, vcc_lo, s12, v5
	s_delay_alu instid0(VALU_DEP_4)
	v_add_co_ci_u32_e32 v9, vcc_lo, s13, v6, vcc_lo
	v_mov_b32_e32 v6, v4
	global_store_b64 v[8:9], v[6:7], off
.LBB72_58:                              ;   in Loop: Header=BB72_3 Depth=1
	s_or_b32 exec_lo, exec_lo, s36
	s_delay_alu instid0(SALU_CYCLE_1)
	s_and_not1_b32 s2, s2, exec_lo
	s_and_b32 s0, s0, exec_lo
	s_or_b32 s35, s35, exec_lo
	s_and_not1_b32 s19, s19, exec_lo
	s_and_not1_b32 s18, s18, exec_lo
	;; [unrolled: 1-line block ×3, first 2 shown]
	s_or_b32 s2, s2, s0
.LBB72_59:                              ;   in Loop: Header=BB72_3 Depth=1
	s_or_b32 exec_lo, exec_lo, s1
	s_delay_alu instid0(SALU_CYCLE_1)
	s_and_not1_b32 s1, s34, exec_lo
	s_and_b32 s34, s35, exec_lo
	s_and_not1_b32 s31, s31, exec_lo
	s_and_b32 s19, s19, exec_lo
	s_or_b32 s34, s1, s34
	s_or_b32 s31, s31, s19
	s_and_not1_b32 s1, s33, exec_lo
	s_and_b32 s18, s18, exec_lo
	s_and_not1_b32 s19, s30, exec_lo
	s_and_b32 s3, s3, exec_lo
	s_mov_b32 s0, -1
	s_or_b32 s33, s1, s18
	s_or_b32 s30, s19, s3
	s_and_saveexec_b32 s1, s2
	s_cbranch_execz .LBB72_2
; %bb.60:                               ;   in Loop: Header=BB72_3 Depth=1
	v_add_nc_u32_e32 v29, s25, v29
	s_and_not1_b32 s34, s34, exec_lo
	s_and_not1_b32 s31, s31, exec_lo
	;; [unrolled: 1-line block ×4, first 2 shown]
	v_cmp_le_u32_e32 vcc_lo, s20, v29
	s_or_not1_b32 s0, vcc_lo, exec_lo
	s_branch .LBB72_2
.LBB72_61:
	s_or_b32 exec_lo, exec_lo, s15
	s_xor_b32 s3, s28, -1
	s_xor_b32 s4, s29, -1
	;; [unrolled: 1-line block ×3, first 2 shown]
	s_mov_b32 s1, 0
	s_and_saveexec_b32 s2, s0
	s_delay_alu instid0(SALU_CYCLE_1)
	s_xor_b32 s0, exec_lo, s2
	s_cbranch_execz .LBB72_70
; %bb.62:
	s_mov_b32 s2, 0
	s_and_saveexec_b32 s1, s4
	s_delay_alu instid0(SALU_CYCLE_1)
	s_xor_b32 s1, exec_lo, s1
	s_cbranch_execz .LBB72_68
; %bb.63:
	s_and_saveexec_b32 s4, s3
	s_delay_alu instid0(SALU_CYCLE_1)
	s_xor_b32 s3, exec_lo, s4
	s_cbranch_execz .LBB72_66
; %bb.64:
	s_and_saveexec_b32 s4, s14
	s_delay_alu instid0(SALU_CYCLE_1)
	s_xor_b32 s4, exec_lo, s4
	s_cbranch_execnz .LBB72_84
.LBB72_65:
	s_or_b32 exec_lo, exec_lo, s4
	s_delay_alu instid0(SALU_CYCLE_1)
	s_and_b32 s2, s2, exec_lo
.LBB72_66:
	s_and_not1_saveexec_b32 s3, s3
	s_cbranch_execnz .LBB72_80
.LBB72_67:
	s_or_b32 exec_lo, exec_lo, s3
	s_delay_alu instid0(SALU_CYCLE_1)
	s_and_b32 s2, s2, exec_lo
.LBB72_68:
	s_and_not1_saveexec_b32 s1, s1
	s_cbranch_execnz .LBB72_76
.LBB72_69:
	s_or_b32 exec_lo, exec_lo, s1
	s_delay_alu instid0(SALU_CYCLE_1)
	s_and_b32 s1, s2, exec_lo
.LBB72_70:
	s_and_not1_saveexec_b32 s0, s0
	s_cbranch_execnz .LBB72_74
; %bb.71:
	s_or_b32 exec_lo, exec_lo, s0
	s_delay_alu instid0(SALU_CYCLE_1)
	s_and_b32 exec_lo, exec_lo, s1
.LBB72_72:
	; divergent unreachable
.LBB72_73:
	s_nop 0
	s_sendmsg sendmsg(MSG_DEALLOC_VGPRS)
	s_endpgm
.LBB72_74:
	s_cbranch_execnz .LBB72_78
; %bb.75:
	s_or_b32 s1, s1, exec_lo
	s_or_b32 exec_lo, exec_lo, s0
	s_delay_alu instid0(SALU_CYCLE_1)
	s_and_b32 exec_lo, exec_lo, s1
	s_cbranch_execnz .LBB72_72
	s_branch .LBB72_73
.LBB72_76:
	s_cbranch_execnz .LBB72_82
; %bb.77:
	s_or_b32 s2, s2, exec_lo
	s_branch .LBB72_69
.LBB72_78:
	s_trap 2
	s_sendmsg_rtn_b32 s0, sendmsg(MSG_RTN_GET_DOORBELL)
	s_mov_b32 ttmp2, m0
	s_waitcnt lgkmcnt(0)
	s_and_b32 s0, s0, 0x3ff
	s_delay_alu instid0(SALU_CYCLE_1) | instskip(NEXT) | instid1(SALU_CYCLE_1)
	s_bitset1_b32 s0, 10
	s_mov_b32 m0, s0
	s_sendmsg sendmsg(MSG_INTERRUPT)
	s_mov_b32 m0, ttmp2
.LBB72_79:                              ; =>This Inner Loop Header: Depth=1
	s_sethalt 5
	s_branch .LBB72_79
.LBB72_80:
	s_cbranch_execnz .LBB72_86
; %bb.81:
	s_or_b32 s2, s2, exec_lo
	s_branch .LBB72_67
.LBB72_82:
	s_trap 2
	s_sendmsg_rtn_b32 s0, sendmsg(MSG_RTN_GET_DOORBELL)
	s_mov_b32 ttmp2, m0
	s_waitcnt lgkmcnt(0)
	s_and_b32 s0, s0, 0x3ff
	s_delay_alu instid0(SALU_CYCLE_1) | instskip(NEXT) | instid1(SALU_CYCLE_1)
	s_bitset1_b32 s0, 10
	s_mov_b32 m0, s0
	s_sendmsg sendmsg(MSG_INTERRUPT)
	s_mov_b32 m0, ttmp2
.LBB72_83:                              ; =>This Inner Loop Header: Depth=1
	s_sethalt 5
	s_branch .LBB72_83
.LBB72_84:
	s_cbranch_execnz .LBB72_88
; %bb.85:
	s_mov_b32 s2, exec_lo
	s_branch .LBB72_65
.LBB72_86:
	s_trap 2
	s_sendmsg_rtn_b32 s0, sendmsg(MSG_RTN_GET_DOORBELL)
	s_mov_b32 ttmp2, m0
	s_waitcnt lgkmcnt(0)
	s_and_b32 s0, s0, 0x3ff
	s_delay_alu instid0(SALU_CYCLE_1) | instskip(NEXT) | instid1(SALU_CYCLE_1)
	s_bitset1_b32 s0, 10
	s_mov_b32 m0, s0
	s_sendmsg sendmsg(MSG_INTERRUPT)
	s_mov_b32 m0, ttmp2
.LBB72_87:                              ; =>This Inner Loop Header: Depth=1
	s_sethalt 5
	s_branch .LBB72_87
.LBB72_88:
	s_trap 2
	s_sendmsg_rtn_b32 s0, sendmsg(MSG_RTN_GET_DOORBELL)
	s_mov_b32 ttmp2, m0
	s_waitcnt lgkmcnt(0)
	s_and_b32 s0, s0, 0x3ff
	s_delay_alu instid0(SALU_CYCLE_1) | instskip(NEXT) | instid1(SALU_CYCLE_1)
	s_bitset1_b32 s0, 10
	s_mov_b32 m0, s0
	s_sendmsg sendmsg(MSG_INTERRUPT)
	s_mov_b32 m0, ttmp2
.LBB72_89:                              ; =>This Inner Loop Header: Depth=1
	s_sethalt 5
	s_branch .LBB72_89
	.section	.rodata,"a",@progbits
	.p2align	6, 0x0
	.amdhsa_kernel _ZN2at4cuda12_GLOBAL__N_121kernelPointwiseApply2IZNS_6native9templates4cuda28bernoulli_tensor_cuda_kernelIdfEEvRKNS_10TensorBaseES9_NS_15PhiloxCudaStateEEUliRdSB_SB_SB_RKfSD_SD_SD_E_dSC_jLin1ELi1ELi4ELi512ELi2EEEvNS0_6detail10TensorInfoIT0_T2_EENSG_IT1_SI_EESI_T_
		.amdhsa_group_segment_fixed_size 0
		.amdhsa_private_segment_fixed_size 0
		.amdhsa_kernarg_size 728
		.amdhsa_user_sgpr_count 15
		.amdhsa_user_sgpr_dispatch_ptr 0
		.amdhsa_user_sgpr_queue_ptr 0
		.amdhsa_user_sgpr_kernarg_segment_ptr 1
		.amdhsa_user_sgpr_dispatch_id 0
		.amdhsa_user_sgpr_private_segment_size 0
		.amdhsa_wavefront_size32 1
		.amdhsa_uses_dynamic_stack 0
		.amdhsa_enable_private_segment 0
		.amdhsa_system_sgpr_workgroup_id_x 1
		.amdhsa_system_sgpr_workgroup_id_y 0
		.amdhsa_system_sgpr_workgroup_id_z 0
		.amdhsa_system_sgpr_workgroup_info 0
		.amdhsa_system_vgpr_workitem_id 0
		.amdhsa_next_free_vgpr 41
		.amdhsa_next_free_sgpr 40
		.amdhsa_reserve_vcc 1
		.amdhsa_float_round_mode_32 0
		.amdhsa_float_round_mode_16_64 0
		.amdhsa_float_denorm_mode_32 3
		.amdhsa_float_denorm_mode_16_64 3
		.amdhsa_dx10_clamp 1
		.amdhsa_ieee_mode 1
		.amdhsa_fp16_overflow 0
		.amdhsa_workgroup_processor_mode 1
		.amdhsa_memory_ordered 1
		.amdhsa_forward_progress 0
		.amdhsa_shared_vgpr_count 0
		.amdhsa_exception_fp_ieee_invalid_op 0
		.amdhsa_exception_fp_denorm_src 0
		.amdhsa_exception_fp_ieee_div_zero 0
		.amdhsa_exception_fp_ieee_overflow 0
		.amdhsa_exception_fp_ieee_underflow 0
		.amdhsa_exception_fp_ieee_inexact 0
		.amdhsa_exception_int_div_zero 0
	.end_amdhsa_kernel
	.section	.text._ZN2at4cuda12_GLOBAL__N_121kernelPointwiseApply2IZNS_6native9templates4cuda28bernoulli_tensor_cuda_kernelIdfEEvRKNS_10TensorBaseES9_NS_15PhiloxCudaStateEEUliRdSB_SB_SB_RKfSD_SD_SD_E_dSC_jLin1ELi1ELi4ELi512ELi2EEEvNS0_6detail10TensorInfoIT0_T2_EENSG_IT1_SI_EESI_T_,"axG",@progbits,_ZN2at4cuda12_GLOBAL__N_121kernelPointwiseApply2IZNS_6native9templates4cuda28bernoulli_tensor_cuda_kernelIdfEEvRKNS_10TensorBaseES9_NS_15PhiloxCudaStateEEUliRdSB_SB_SB_RKfSD_SD_SD_E_dSC_jLin1ELi1ELi4ELi512ELi2EEEvNS0_6detail10TensorInfoIT0_T2_EENSG_IT1_SI_EESI_T_,comdat
.Lfunc_end72:
	.size	_ZN2at4cuda12_GLOBAL__N_121kernelPointwiseApply2IZNS_6native9templates4cuda28bernoulli_tensor_cuda_kernelIdfEEvRKNS_10TensorBaseES9_NS_15PhiloxCudaStateEEUliRdSB_SB_SB_RKfSD_SD_SD_E_dSC_jLin1ELi1ELi4ELi512ELi2EEEvNS0_6detail10TensorInfoIT0_T2_EENSG_IT1_SI_EESI_T_, .Lfunc_end72-_ZN2at4cuda12_GLOBAL__N_121kernelPointwiseApply2IZNS_6native9templates4cuda28bernoulli_tensor_cuda_kernelIdfEEvRKNS_10TensorBaseES9_NS_15PhiloxCudaStateEEUliRdSB_SB_SB_RKfSD_SD_SD_E_dSC_jLin1ELi1ELi4ELi512ELi2EEEvNS0_6detail10TensorInfoIT0_T2_EENSG_IT1_SI_EESI_T_
                                        ; -- End function
	.section	.AMDGPU.csdata,"",@progbits
; Kernel info:
; codeLenInByte = 4296
; NumSgprs: 42
; NumVgprs: 41
; ScratchSize: 0
; MemoryBound: 0
; FloatMode: 240
; IeeeMode: 1
; LDSByteSize: 0 bytes/workgroup (compile time only)
; SGPRBlocks: 5
; VGPRBlocks: 5
; NumSGPRsForWavesPerEU: 42
; NumVGPRsForWavesPerEU: 41
; Occupancy: 16
; WaveLimiterHint : 1
; COMPUTE_PGM_RSRC2:SCRATCH_EN: 0
; COMPUTE_PGM_RSRC2:USER_SGPR: 15
; COMPUTE_PGM_RSRC2:TRAP_HANDLER: 0
; COMPUTE_PGM_RSRC2:TGID_X_EN: 1
; COMPUTE_PGM_RSRC2:TGID_Y_EN: 0
; COMPUTE_PGM_RSRC2:TGID_Z_EN: 0
; COMPUTE_PGM_RSRC2:TIDIG_COMP_CNT: 0
	.section	.text._ZN2at4cuda12_GLOBAL__N_121kernelPointwiseApply2IZNS_6native9templates4cuda28bernoulli_tensor_cuda_kernelIdfEEvRKNS_10TensorBaseES9_NS_15PhiloxCudaStateEEUliRdSB_SB_SB_RKfSD_SD_SD_E_dSC_jLin1ELi2ELi4ELi512ELi2EEEvNS0_6detail10TensorInfoIT0_T2_EENSG_IT1_SI_EESI_T_,"axG",@progbits,_ZN2at4cuda12_GLOBAL__N_121kernelPointwiseApply2IZNS_6native9templates4cuda28bernoulli_tensor_cuda_kernelIdfEEvRKNS_10TensorBaseES9_NS_15PhiloxCudaStateEEUliRdSB_SB_SB_RKfSD_SD_SD_E_dSC_jLin1ELi2ELi4ELi512ELi2EEEvNS0_6detail10TensorInfoIT0_T2_EENSG_IT1_SI_EESI_T_,comdat
	.globl	_ZN2at4cuda12_GLOBAL__N_121kernelPointwiseApply2IZNS_6native9templates4cuda28bernoulli_tensor_cuda_kernelIdfEEvRKNS_10TensorBaseES9_NS_15PhiloxCudaStateEEUliRdSB_SB_SB_RKfSD_SD_SD_E_dSC_jLin1ELi2ELi4ELi512ELi2EEEvNS0_6detail10TensorInfoIT0_T2_EENSG_IT1_SI_EESI_T_ ; -- Begin function _ZN2at4cuda12_GLOBAL__N_121kernelPointwiseApply2IZNS_6native9templates4cuda28bernoulli_tensor_cuda_kernelIdfEEvRKNS_10TensorBaseES9_NS_15PhiloxCudaStateEEUliRdSB_SB_SB_RKfSD_SD_SD_E_dSC_jLin1ELi2ELi4ELi512ELi2EEEvNS0_6detail10TensorInfoIT0_T2_EENSG_IT1_SI_EESI_T_
	.p2align	8
	.type	_ZN2at4cuda12_GLOBAL__N_121kernelPointwiseApply2IZNS_6native9templates4cuda28bernoulli_tensor_cuda_kernelIdfEEvRKNS_10TensorBaseES9_NS_15PhiloxCudaStateEEUliRdSB_SB_SB_RKfSD_SD_SD_E_dSC_jLin1ELi2ELi4ELi512ELi2EEEvNS0_6detail10TensorInfoIT0_T2_EENSG_IT1_SI_EESI_T_,@function
_ZN2at4cuda12_GLOBAL__N_121kernelPointwiseApply2IZNS_6native9templates4cuda28bernoulli_tensor_cuda_kernelIdfEEvRKNS_10TensorBaseES9_NS_15PhiloxCudaStateEEUliRdSB_SB_SB_RKfSD_SD_SD_E_dSC_jLin1ELi2ELi4ELi512ELi2EEEvNS0_6detail10TensorInfoIT0_T2_EENSG_IT1_SI_EESI_T_: ; @_ZN2at4cuda12_GLOBAL__N_121kernelPointwiseApply2IZNS_6native9templates4cuda28bernoulli_tensor_cuda_kernelIdfEEvRKNS_10TensorBaseES9_NS_15PhiloxCudaStateEEUliRdSB_SB_SB_RKfSD_SD_SD_E_dSC_jLin1ELi2ELi4ELi512ELi2EEEvNS0_6detail10TensorInfoIT0_T2_EENSG_IT1_SI_EESI_T_
; %bb.0:
	s_clause 0x1
	s_load_b32 s2, s[0:1], 0x1e4
	s_load_b32 s20, s[0:1], 0x1b0
	s_add_u32 s4, s0, 0x1d8
	s_addc_u32 s5, s1, 0
	s_waitcnt lgkmcnt(0)
	s_and_b32 s12, s2, 0xffff
	s_mov_b32 s2, exec_lo
	v_mad_u64_u32 v[1:2], null, s15, s12, v[0:1]
	s_delay_alu instid0(VALU_DEP_1) | instskip(NEXT) | instid1(VALU_DEP_1)
	v_lshlrev_b32_e32 v28, 2, v1
	v_cmpx_gt_u32_e64 s20, v28
	s_cbranch_execz .LBB73_81
; %bb.1:
	s_clause 0x3
	s_load_b32 s21, s[0:1], 0xe4
	s_load_b32 s18, s[0:1], 0xd0
	s_load_b64 s[2:3], s[0:1], 0x144
	s_load_b32 s6, s[0:1], 0x1d0
	v_mad_u64_u32 v[2:3], null, 0xcd9e8d57, v1, 0
	s_load_b32 s16, s[4:5], 0x0
	s_clause 0x2
	s_load_b32 s22, s[0:1], 0x6c
	s_load_b64 s[8:9], s[0:1], 0xd8
	s_load_b64 s[14:15], s[0:1], 0x0
	v_mov_b32_e32 v4, 0
                                        ; implicit-def: $sgpr26
                                        ; implicit-def: $sgpr28
                                        ; implicit-def: $sgpr27
                                        ; implicit-def: $sgpr29
                                        ; implicit-def: $sgpr31
                                        ; implicit-def: $sgpr30
                                        ; implicit-def: $sgpr33
	s_delay_alu instid0(VALU_DEP_2)
	v_mov_b32_e32 v29, v3
	s_waitcnt lgkmcnt(0)
	v_cvt_f32_u32_e32 v0, s21
	s_cmp_gt_i32 s18, 1
	s_cselect_b32 s23, -1, 0
	s_bitcmp1_b32 s6, 0
	s_delay_alu instid0(VALU_DEP_1)
	v_rcp_iflag_f32_e32 v0, v0
	s_cselect_b32 s24, -1, 0
	s_sub_i32 s13, 0, s21
	s_clause 0x1
	s_load_b64 s[10:11], s[0:1], 0x1c8
	s_load_b128 s[4:7], s[0:1], 0x1b8
	s_mul_i32 s16, s16, s12
	s_add_i32 s12, s18, -1
	s_lshl_b32 s25, s16, 2
	s_waitcnt_depctr 0xfff
	v_mul_f32_e32 v0, 0x4f7ffffe, v0
	s_delay_alu instid0(VALU_DEP_1) | instskip(NEXT) | instid1(VALU_DEP_1)
	v_cvt_u32_f32_e32 v0, v0
	v_mul_lo_u32 v5, s13, v0
	s_mov_b32 s13, 0
	s_delay_alu instid0(SALU_CYCLE_1) | instskip(SKIP_4) | instid1(VALU_DEP_1)
	s_lshl_b64 s[16:17], s[12:13], 2
	s_add_i32 s12, s18, 1
	s_add_u32 s0, s16, s0
	s_addc_u32 s1, s17, s1
	s_add_u32 s16, s0, 8
	v_mul_hi_u32 v5, v0, v5
	s_addc_u32 s17, s1, 0
                                        ; implicit-def: $sgpr1
	s_delay_alu instid0(VALU_DEP_1)
	v_add_nc_u32_e32 v30, v0, v5
	s_branch .LBB73_3
.LBB73_2:                               ;   in Loop: Header=BB73_3 Depth=1
	s_or_b32 exec_lo, exec_lo, s18
	s_delay_alu instid0(SALU_CYCLE_1) | instskip(NEXT) | instid1(SALU_CYCLE_1)
	s_and_b32 s0, exec_lo, s0
	s_or_b32 s13, s0, s13
	s_and_not1_b32 s0, s1, exec_lo
	s_and_b32 s1, s33, exec_lo
	s_and_not1_b32 s18, s27, exec_lo
	s_and_b32 s19, s30, exec_lo
	s_or_b32 s1, s0, s1
	s_or_b32 s27, s18, s19
	s_and_not1_b32 s0, s28, exec_lo
	s_and_b32 s18, s31, exec_lo
	s_and_not1_b32 s19, s26, exec_lo
	s_and_b32 s26, s29, exec_lo
	s_or_b32 s28, s0, s18
	s_or_b32 s26, s19, s26
	s_and_not1_b32 exec_lo, exec_lo, s13
	s_cbranch_execz .LBB73_69
.LBB73_3:                               ; =>This Loop Header: Depth=1
                                        ;     Child Loop BB73_6 Depth 2
                                        ;     Child Loop BB73_13 Depth 2
	;; [unrolled: 1-line block ×4, first 2 shown]
	v_sub_nc_u32_e32 v31, s20, v28
	v_mov_b32_e32 v5, 0
	s_delay_alu instid0(VALU_DEP_2) | instskip(NEXT) | instid1(VALU_DEP_1)
	v_cmp_lt_i32_e64 s0, 0, v31
	s_and_saveexec_b32 s34, s0
	s_cbranch_execz .LBB73_8
; %bb.4:                                ;   in Loop: Header=BB73_3 Depth=1
	v_dual_mov_b32 v0, 0 :: v_dual_mov_b32 v3, v28
	s_and_not1_b32 vcc_lo, exec_lo, s23
	s_cbranch_vccnz .LBB73_7
; %bb.5:                                ;   in Loop: Header=BB73_3 Depth=1
	v_dual_mov_b32 v0, 0 :: v_dual_mov_b32 v3, v28
	s_mov_b64 s[18:19], s[16:17]
	s_mov_b32 s35, s12
	s_set_inst_prefetch_distance 0x1
	.p2align	6
.LBB73_6:                               ;   Parent Loop BB73_3 Depth=1
                                        ; =>  This Inner Loop Header: Depth=2
	s_clause 0x1
	s_load_b32 s36, s[18:19], 0x0
	s_load_b32 s37, s[18:19], 0x64
	v_mov_b32_e32 v7, v3
	s_add_i32 s35, s35, -1
	s_waitcnt lgkmcnt(0)
	v_cvt_f32_u32_e32 v5, s36
	s_sub_i32 s38, 0, s36
	s_add_u32 s18, s18, -4
	s_addc_u32 s19, s19, -1
	s_cmp_gt_u32 s35, 2
	v_rcp_iflag_f32_e32 v5, v5
	s_waitcnt_depctr 0xfff
	v_mul_f32_e32 v5, 0x4f7ffffe, v5
	s_delay_alu instid0(VALU_DEP_1) | instskip(NEXT) | instid1(VALU_DEP_1)
	v_cvt_u32_f32_e32 v5, v5
	v_mul_lo_u32 v6, s38, v5
	s_delay_alu instid0(VALU_DEP_1) | instskip(NEXT) | instid1(VALU_DEP_1)
	v_mul_hi_u32 v6, v5, v6
	v_add_nc_u32_e32 v3, v5, v6
	s_delay_alu instid0(VALU_DEP_1) | instskip(NEXT) | instid1(VALU_DEP_1)
	v_mul_hi_u32 v3, v7, v3
	v_add_nc_u32_e32 v6, 1, v3
	v_mul_lo_u32 v5, v3, s36
	s_delay_alu instid0(VALU_DEP_1) | instskip(NEXT) | instid1(VALU_DEP_1)
	v_sub_nc_u32_e32 v5, v7, v5
	v_subrev_nc_u32_e32 v8, s36, v5
	v_cmp_le_u32_e32 vcc_lo, s36, v5
	v_cndmask_b32_e32 v3, v3, v6, vcc_lo
	s_delay_alu instid0(VALU_DEP_1) | instskip(NEXT) | instid1(VALU_DEP_1)
	v_dual_cndmask_b32 v5, v5, v8 :: v_dual_add_nc_u32 v6, 1, v3
	v_cmp_le_u32_e32 vcc_lo, s36, v5
	s_delay_alu instid0(VALU_DEP_2) | instskip(NEXT) | instid1(VALU_DEP_1)
	v_cndmask_b32_e32 v3, v3, v6, vcc_lo
	v_mul_lo_u32 v5, v3, s36
	s_delay_alu instid0(VALU_DEP_1) | instskip(NEXT) | instid1(VALU_DEP_1)
	v_sub_nc_u32_e32 v7, v7, v5
	v_mad_u64_u32 v[5:6], null, s37, v7, v[0:1]
	s_delay_alu instid0(VALU_DEP_1)
	v_mov_b32_e32 v0, v5
	s_cbranch_scc1 .LBB73_6
.LBB73_7:                               ;   in Loop: Header=BB73_3 Depth=1
	s_set_inst_prefetch_distance 0x2
	s_delay_alu instid0(VALU_DEP_1)
	v_mad_u64_u32 v[5:6], null, s22, v3, v[0:1]
.LBB73_8:                               ;   in Loop: Header=BB73_3 Depth=1
	s_or_b32 exec_lo, exec_lo, s34
	v_dual_mov_b32 v6, 0 :: v_dual_mov_b32 v3, 0
	s_and_saveexec_b32 s18, s0
	s_cbranch_execz .LBB73_10
; %bb.9:                                ;   in Loop: Header=BB73_3 Depth=1
	v_mul_hi_u32 v0, v28, v30
	s_delay_alu instid0(VALU_DEP_1) | instskip(SKIP_1) | instid1(VALU_DEP_2)
	v_mul_lo_u32 v3, v0, s21
	v_add_nc_u32_e32 v7, 1, v0
	v_sub_nc_u32_e32 v3, v28, v3
	s_delay_alu instid0(VALU_DEP_1) | instskip(SKIP_1) | instid1(VALU_DEP_2)
	v_subrev_nc_u32_e32 v8, s21, v3
	v_cmp_le_u32_e32 vcc_lo, s21, v3
	v_dual_cndmask_b32 v0, v0, v7 :: v_dual_cndmask_b32 v3, v3, v8
	s_delay_alu instid0(VALU_DEP_1) | instskip(NEXT) | instid1(VALU_DEP_2)
	v_add_nc_u32_e32 v7, 1, v0
	v_cmp_le_u32_e32 vcc_lo, s21, v3
	s_delay_alu instid0(VALU_DEP_2) | instskip(NEXT) | instid1(VALU_DEP_1)
	v_cndmask_b32_e32 v3, v0, v7, vcc_lo
	v_mul_lo_u32 v0, v3, s21
	s_delay_alu instid0(VALU_DEP_1) | instskip(NEXT) | instid1(VALU_DEP_1)
	v_sub_nc_u32_e32 v0, v28, v0
	v_mul_lo_u32 v0, v0, s3
	s_delay_alu instid0(VALU_DEP_1) | instskip(NEXT) | instid1(VALU_DEP_1)
	v_mad_u64_u32 v[7:8], null, v3, s2, v[0:1]
	v_mov_b32_e32 v3, v7
.LBB73_10:                              ;   in Loop: Header=BB73_3 Depth=1
	s_or_b32 exec_lo, exec_lo, s18
	v_or_b32_e32 v8, 1, v28
	v_cmp_lt_i32_e64 s0, 1, v31
	s_delay_alu instid0(VALU_DEP_1)
	s_and_saveexec_b32 s34, s0
	s_cbranch_execz .LBB73_15
; %bb.11:                               ;   in Loop: Header=BB73_3 Depth=1
	s_delay_alu instid0(VALU_DEP_2)
	v_dual_mov_b32 v0, 0 :: v_dual_mov_b32 v9, v8
	s_and_not1_b32 vcc_lo, exec_lo, s23
	s_cbranch_vccnz .LBB73_14
; %bb.12:                               ;   in Loop: Header=BB73_3 Depth=1
	v_dual_mov_b32 v0, 0 :: v_dual_mov_b32 v9, v8
	s_mov_b64 s[18:19], s[16:17]
	s_mov_b32 s35, s12
	s_set_inst_prefetch_distance 0x1
	.p2align	6
.LBB73_13:                              ;   Parent Loop BB73_3 Depth=1
                                        ; =>  This Inner Loop Header: Depth=2
	s_clause 0x1
	s_load_b32 s36, s[18:19], 0x0
	s_load_b32 s37, s[18:19], 0x64
	v_mov_b32_e32 v10, v9
	s_add_i32 s35, s35, -1
	s_waitcnt lgkmcnt(0)
	v_cvt_f32_u32_e32 v6, s36
	s_sub_i32 s38, 0, s36
	s_add_u32 s18, s18, -4
	s_addc_u32 s19, s19, -1
	s_cmp_gt_u32 s35, 2
	v_rcp_iflag_f32_e32 v6, v6
	s_waitcnt_depctr 0xfff
	v_mul_f32_e32 v6, 0x4f7ffffe, v6
	s_delay_alu instid0(VALU_DEP_1) | instskip(NEXT) | instid1(VALU_DEP_1)
	v_cvt_u32_f32_e32 v6, v6
	v_mul_lo_u32 v7, s38, v6
	s_delay_alu instid0(VALU_DEP_1) | instskip(NEXT) | instid1(VALU_DEP_1)
	v_mul_hi_u32 v7, v6, v7
	v_add_nc_u32_e32 v6, v6, v7
	s_delay_alu instid0(VALU_DEP_1) | instskip(NEXT) | instid1(VALU_DEP_1)
	v_mul_hi_u32 v6, v10, v6
	v_mul_lo_u32 v7, v6, s36
	v_add_nc_u32_e32 v9, 1, v6
	s_delay_alu instid0(VALU_DEP_2) | instskip(NEXT) | instid1(VALU_DEP_1)
	v_sub_nc_u32_e32 v7, v10, v7
	v_subrev_nc_u32_e32 v11, s36, v7
	v_cmp_le_u32_e32 vcc_lo, s36, v7
	s_delay_alu instid0(VALU_DEP_2) | instskip(NEXT) | instid1(VALU_DEP_1)
	v_dual_cndmask_b32 v7, v7, v11 :: v_dual_cndmask_b32 v6, v6, v9
	v_cmp_le_u32_e32 vcc_lo, s36, v7
	s_delay_alu instid0(VALU_DEP_2) | instskip(NEXT) | instid1(VALU_DEP_1)
	v_add_nc_u32_e32 v9, 1, v6
	v_cndmask_b32_e32 v9, v6, v9, vcc_lo
	s_delay_alu instid0(VALU_DEP_1) | instskip(NEXT) | instid1(VALU_DEP_1)
	v_mul_lo_u32 v6, v9, s36
	v_sub_nc_u32_e32 v10, v10, v6
	s_delay_alu instid0(VALU_DEP_1) | instskip(NEXT) | instid1(VALU_DEP_1)
	v_mad_u64_u32 v[6:7], null, s37, v10, v[0:1]
	v_mov_b32_e32 v0, v6
	s_cbranch_scc1 .LBB73_13
.LBB73_14:                              ;   in Loop: Header=BB73_3 Depth=1
	s_set_inst_prefetch_distance 0x2
	s_delay_alu instid0(VALU_DEP_1)
	v_mad_u64_u32 v[6:7], null, s22, v9, v[0:1]
.LBB73_15:                              ;   in Loop: Header=BB73_3 Depth=1
	s_or_b32 exec_lo, exec_lo, s34
	v_mov_b32_e32 v11, 0
	s_and_saveexec_b32 s18, s0
	s_cbranch_execz .LBB73_17
; %bb.16:                               ;   in Loop: Header=BB73_3 Depth=1
	v_mul_hi_u32 v0, v8, v30
	s_delay_alu instid0(VALU_DEP_1) | instskip(SKIP_1) | instid1(VALU_DEP_2)
	v_mul_lo_u32 v7, v0, s21
	v_add_nc_u32_e32 v9, 1, v0
	v_sub_nc_u32_e32 v7, v8, v7
	s_delay_alu instid0(VALU_DEP_1) | instskip(SKIP_1) | instid1(VALU_DEP_2)
	v_subrev_nc_u32_e32 v10, s21, v7
	v_cmp_le_u32_e32 vcc_lo, s21, v7
	v_dual_cndmask_b32 v0, v0, v9 :: v_dual_cndmask_b32 v7, v7, v10
	s_delay_alu instid0(VALU_DEP_1) | instskip(NEXT) | instid1(VALU_DEP_2)
	v_add_nc_u32_e32 v9, 1, v0
	v_cmp_le_u32_e32 vcc_lo, s21, v7
	s_delay_alu instid0(VALU_DEP_2) | instskip(NEXT) | instid1(VALU_DEP_1)
	v_cndmask_b32_e32 v7, v0, v9, vcc_lo
	v_mul_lo_u32 v0, v7, s21
	s_delay_alu instid0(VALU_DEP_1) | instskip(NEXT) | instid1(VALU_DEP_1)
	v_sub_nc_u32_e32 v0, v8, v0
	v_mul_lo_u32 v0, v0, s3
	s_delay_alu instid0(VALU_DEP_1)
	v_mad_u64_u32 v[11:12], null, v7, s2, v[0:1]
.LBB73_17:                              ;   in Loop: Header=BB73_3 Depth=1
	s_or_b32 exec_lo, exec_lo, s18
	v_mov_b32_e32 v7, 0
	v_or_b32_e32 v12, 2, v28
	v_mov_b32_e32 v8, 0
	v_cmp_lt_i32_e64 s0, 2, v31
	s_delay_alu instid0(VALU_DEP_1)
	s_and_saveexec_b32 s34, s0
	s_cbranch_execz .LBB73_22
; %bb.18:                               ;   in Loop: Header=BB73_3 Depth=1
	v_dual_mov_b32 v0, 0 :: v_dual_mov_b32 v9, v12
	s_and_not1_b32 vcc_lo, exec_lo, s23
	s_cbranch_vccnz .LBB73_21
; %bb.19:                               ;   in Loop: Header=BB73_3 Depth=1
	v_dual_mov_b32 v0, 0 :: v_dual_mov_b32 v9, v12
	s_mov_b64 s[18:19], s[16:17]
	s_mov_b32 s35, s12
	s_set_inst_prefetch_distance 0x1
	.p2align	6
.LBB73_20:                              ;   Parent Loop BB73_3 Depth=1
                                        ; =>  This Inner Loop Header: Depth=2
	s_clause 0x1
	s_load_b32 s36, s[18:19], 0x0
	s_load_b32 s37, s[18:19], 0x64
	s_add_i32 s35, s35, -1
	v_mov_b32_e32 v10, v9
	s_waitcnt lgkmcnt(0)
	v_cvt_f32_u32_e32 v7, s36
	s_sub_i32 s38, 0, s36
	s_add_u32 s18, s18, -4
	s_addc_u32 s19, s19, -1
	s_cmp_gt_u32 s35, 2
	v_rcp_iflag_f32_e32 v7, v7
	s_waitcnt_depctr 0xfff
	v_mul_f32_e32 v7, 0x4f7ffffe, v7
	s_delay_alu instid0(VALU_DEP_1) | instskip(NEXT) | instid1(VALU_DEP_1)
	v_cvt_u32_f32_e32 v7, v7
	v_mul_lo_u32 v8, s38, v7
	s_delay_alu instid0(VALU_DEP_1) | instskip(NEXT) | instid1(VALU_DEP_1)
	v_mul_hi_u32 v8, v7, v8
	v_add_nc_u32_e32 v7, v7, v8
	s_delay_alu instid0(VALU_DEP_1) | instskip(NEXT) | instid1(VALU_DEP_1)
	v_mul_hi_u32 v7, v10, v7
	v_mul_lo_u32 v8, v7, s36
	v_add_nc_u32_e32 v9, 1, v7
	s_delay_alu instid0(VALU_DEP_2) | instskip(NEXT) | instid1(VALU_DEP_1)
	v_sub_nc_u32_e32 v8, v10, v8
	v_subrev_nc_u32_e32 v13, s36, v8
	v_cmp_le_u32_e32 vcc_lo, s36, v8
	s_delay_alu instid0(VALU_DEP_4) | instskip(NEXT) | instid1(VALU_DEP_1)
	v_cndmask_b32_e32 v7, v7, v9, vcc_lo
	v_dual_cndmask_b32 v8, v8, v13 :: v_dual_add_nc_u32 v9, 1, v7
	s_delay_alu instid0(VALU_DEP_1) | instskip(NEXT) | instid1(VALU_DEP_2)
	v_cmp_le_u32_e32 vcc_lo, s36, v8
	v_cndmask_b32_e32 v9, v7, v9, vcc_lo
	s_delay_alu instid0(VALU_DEP_1) | instskip(NEXT) | instid1(VALU_DEP_1)
	v_mul_lo_u32 v7, v9, s36
	v_sub_nc_u32_e32 v10, v10, v7
	s_delay_alu instid0(VALU_DEP_1) | instskip(NEXT) | instid1(VALU_DEP_1)
	v_mad_u64_u32 v[7:8], null, s37, v10, v[0:1]
	v_mov_b32_e32 v0, v7
	s_cbranch_scc1 .LBB73_20
.LBB73_21:                              ;   in Loop: Header=BB73_3 Depth=1
	s_set_inst_prefetch_distance 0x2
	s_delay_alu instid0(VALU_DEP_1)
	v_mad_u64_u32 v[7:8], null, s22, v9, v[0:1]
	v_mov_b32_e32 v8, v4
.LBB73_22:                              ;   in Loop: Header=BB73_3 Depth=1
	s_or_b32 exec_lo, exec_lo, s34
	v_mov_b32_e32 v9, 0
	v_mov_b32_e32 v10, 0
	s_delay_alu instid0(VALU_DEP_1)
	v_dual_mov_b32 v14, v10 :: v_dual_mov_b32 v13, v9
	s_and_saveexec_b32 s18, s0
	s_cbranch_execz .LBB73_24
; %bb.23:                               ;   in Loop: Header=BB73_3 Depth=1
	v_mul_hi_u32 v0, v12, v30
	s_delay_alu instid0(VALU_DEP_1) | instskip(NEXT) | instid1(VALU_DEP_1)
	v_mul_lo_u32 v13, v0, s21
	v_sub_nc_u32_e32 v13, v12, v13
	s_delay_alu instid0(VALU_DEP_1) | instskip(SKIP_1) | instid1(VALU_DEP_2)
	v_subrev_nc_u32_e32 v15, s21, v13
	v_cmp_le_u32_e32 vcc_lo, s21, v13
	v_dual_cndmask_b32 v13, v13, v15 :: v_dual_add_nc_u32 v14, 1, v0
	s_delay_alu instid0(VALU_DEP_1) | instskip(NEXT) | instid1(VALU_DEP_2)
	v_cndmask_b32_e32 v0, v0, v14, vcc_lo
	v_cmp_le_u32_e32 vcc_lo, s21, v13
	s_delay_alu instid0(VALU_DEP_2) | instskip(NEXT) | instid1(VALU_DEP_1)
	v_add_nc_u32_e32 v14, 1, v0
	v_cndmask_b32_e32 v15, v0, v14, vcc_lo
	s_delay_alu instid0(VALU_DEP_1) | instskip(NEXT) | instid1(VALU_DEP_1)
	v_mul_lo_u32 v0, v15, s21
	v_sub_nc_u32_e32 v0, v12, v0
	s_delay_alu instid0(VALU_DEP_1) | instskip(NEXT) | instid1(VALU_DEP_1)
	v_mul_lo_u32 v0, v0, s3
	v_mad_u64_u32 v[13:14], null, v15, s2, v[0:1]
	v_mov_b32_e32 v14, v4
.LBB73_24:                              ;   in Loop: Header=BB73_3 Depth=1
	s_or_b32 exec_lo, exec_lo, s18
	v_or_b32_e32 v12, 3, v28
	v_cmp_lt_i32_e64 s0, 3, v31
	s_delay_alu instid0(VALU_DEP_1)
	s_and_saveexec_b32 s34, s0
	s_cbranch_execz .LBB73_29
; %bb.25:                               ;   in Loop: Header=BB73_3 Depth=1
	s_delay_alu instid0(VALU_DEP_2)
	v_dual_mov_b32 v0, 0 :: v_dual_mov_b32 v15, v12
	s_and_not1_b32 vcc_lo, exec_lo, s23
	s_cbranch_vccnz .LBB73_28
; %bb.26:                               ;   in Loop: Header=BB73_3 Depth=1
	v_dual_mov_b32 v0, 0 :: v_dual_mov_b32 v15, v12
	s_mov_b64 s[18:19], s[16:17]
	s_mov_b32 s35, s12
	s_set_inst_prefetch_distance 0x1
	.p2align	6
.LBB73_27:                              ;   Parent Loop BB73_3 Depth=1
                                        ; =>  This Inner Loop Header: Depth=2
	s_clause 0x1
	s_load_b32 s36, s[18:19], 0x0
	s_load_b32 s37, s[18:19], 0x64
	s_add_i32 s35, s35, -1
	v_mov_b32_e32 v16, v15
	s_waitcnt lgkmcnt(0)
	v_cvt_f32_u32_e32 v9, s36
	s_sub_i32 s38, 0, s36
	s_add_u32 s18, s18, -4
	s_addc_u32 s19, s19, -1
	s_cmp_gt_u32 s35, 2
	v_rcp_iflag_f32_e32 v9, v9
	s_waitcnt_depctr 0xfff
	v_mul_f32_e32 v9, 0x4f7ffffe, v9
	s_delay_alu instid0(VALU_DEP_1) | instskip(NEXT) | instid1(VALU_DEP_1)
	v_cvt_u32_f32_e32 v9, v9
	v_mul_lo_u32 v10, s38, v9
	s_delay_alu instid0(VALU_DEP_1) | instskip(NEXT) | instid1(VALU_DEP_1)
	v_mul_hi_u32 v10, v9, v10
	v_add_nc_u32_e32 v9, v9, v10
	s_delay_alu instid0(VALU_DEP_1) | instskip(NEXT) | instid1(VALU_DEP_1)
	v_mul_hi_u32 v9, v16, v9
	v_mul_lo_u32 v10, v9, s36
	v_add_nc_u32_e32 v15, 1, v9
	s_delay_alu instid0(VALU_DEP_2) | instskip(NEXT) | instid1(VALU_DEP_1)
	v_sub_nc_u32_e32 v10, v16, v10
	v_subrev_nc_u32_e32 v17, s36, v10
	v_cmp_le_u32_e32 vcc_lo, s36, v10
	s_delay_alu instid0(VALU_DEP_2) | instskip(NEXT) | instid1(VALU_DEP_1)
	v_dual_cndmask_b32 v9, v9, v15 :: v_dual_cndmask_b32 v10, v10, v17
	v_add_nc_u32_e32 v15, 1, v9
	s_delay_alu instid0(VALU_DEP_2) | instskip(NEXT) | instid1(VALU_DEP_2)
	v_cmp_le_u32_e32 vcc_lo, s36, v10
	v_cndmask_b32_e32 v15, v9, v15, vcc_lo
	s_delay_alu instid0(VALU_DEP_1) | instskip(NEXT) | instid1(VALU_DEP_1)
	v_mul_lo_u32 v9, v15, s36
	v_sub_nc_u32_e32 v16, v16, v9
	s_delay_alu instid0(VALU_DEP_1) | instskip(NEXT) | instid1(VALU_DEP_1)
	v_mad_u64_u32 v[9:10], null, s37, v16, v[0:1]
	v_mov_b32_e32 v0, v9
	s_cbranch_scc1 .LBB73_27
.LBB73_28:                              ;   in Loop: Header=BB73_3 Depth=1
	s_set_inst_prefetch_distance 0x2
	s_delay_alu instid0(VALU_DEP_1)
	v_mad_u64_u32 v[9:10], null, s22, v15, v[0:1]
	v_mov_b32_e32 v10, v4
.LBB73_29:                              ;   in Loop: Header=BB73_3 Depth=1
	s_or_b32 exec_lo, exec_lo, s34
	v_mov_b32_e32 v15, 0
	v_mov_b32_e32 v16, 0
	s_and_saveexec_b32 s18, s0
	s_cbranch_execz .LBB73_31
; %bb.30:                               ;   in Loop: Header=BB73_3 Depth=1
	v_mul_hi_u32 v0, v12, v30
	s_delay_alu instid0(VALU_DEP_1) | instskip(NEXT) | instid1(VALU_DEP_1)
	v_mul_lo_u32 v15, v0, s21
	v_sub_nc_u32_e32 v15, v12, v15
	s_delay_alu instid0(VALU_DEP_1) | instskip(SKIP_1) | instid1(VALU_DEP_2)
	v_subrev_nc_u32_e32 v17, s21, v15
	v_cmp_le_u32_e32 vcc_lo, s21, v15
	v_dual_cndmask_b32 v15, v15, v17 :: v_dual_add_nc_u32 v16, 1, v0
	s_delay_alu instid0(VALU_DEP_1) | instskip(NEXT) | instid1(VALU_DEP_2)
	v_cndmask_b32_e32 v0, v0, v16, vcc_lo
	v_cmp_le_u32_e32 vcc_lo, s21, v15
	s_delay_alu instid0(VALU_DEP_2) | instskip(NEXT) | instid1(VALU_DEP_1)
	v_add_nc_u32_e32 v16, 1, v0
	v_cndmask_b32_e32 v17, v0, v16, vcc_lo
	s_delay_alu instid0(VALU_DEP_1) | instskip(NEXT) | instid1(VALU_DEP_1)
	v_mul_lo_u32 v0, v17, s21
	v_sub_nc_u32_e32 v0, v12, v0
	s_delay_alu instid0(VALU_DEP_1) | instskip(NEXT) | instid1(VALU_DEP_1)
	v_mul_lo_u32 v0, v0, s3
	v_mad_u64_u32 v[15:16], null, v17, s2, v[0:1]
	v_mov_b32_e32 v16, v4
.LBB73_31:                              ;   in Loop: Header=BB73_3 Depth=1
	s_or_b32 exec_lo, exec_lo, s18
	v_mov_b32_e32 v12, v4
	v_lshlrev_b64 v[17:18], 2, v[3:4]
	v_lshlrev_b64 v[13:14], 2, v[13:14]
	;; [unrolled: 1-line block ×3, first 2 shown]
	s_delay_alu instid0(VALU_DEP_4) | instskip(NEXT) | instid1(VALU_DEP_4)
	v_lshlrev_b64 v[11:12], 2, v[11:12]
	v_add_co_u32 v17, vcc_lo, s8, v17
	v_add_co_ci_u32_e32 v18, vcc_lo, s9, v18, vcc_lo
	s_delay_alu instid0(VALU_DEP_3) | instskip(NEXT) | instid1(VALU_DEP_4)
	v_add_co_u32 v11, vcc_lo, s8, v11
	v_add_co_ci_u32_e32 v12, vcc_lo, s9, v12, vcc_lo
	v_add_co_u32 v13, vcc_lo, s8, v13
	v_add_co_ci_u32_e32 v14, vcc_lo, s9, v14, vcc_lo
	;; [unrolled: 2-line block ×3, first 2 shown]
	s_clause 0x3
	global_load_b32 v0, v[17:18], off
	global_load_b32 v3, v[11:12], off
	;; [unrolled: 1-line block ×4, first 2 shown]
	s_waitcnt lgkmcnt(0)
	v_mov_b32_e32 v16, s7
	v_dual_mov_b32 v18, s5 :: v_dual_mov_b32 v17, s4
	v_mov_b32_e32 v15, s6
	s_and_not1_b32 vcc_lo, exec_lo, s24
	s_cbranch_vccnz .LBB73_33
; %bb.32:                               ;   in Loop: Header=BB73_3 Depth=1
	v_dual_mov_b32 v12, s7 :: v_dual_mov_b32 v11, s6
	v_dual_mov_b32 v14, s5 :: v_dual_mov_b32 v13, s4
	flat_load_b64 v[11:12], v[11:12]
	flat_load_b64 v[17:18], v[13:14]
	s_waitcnt vmcnt(1) lgkmcnt(1)
	v_add_co_u32 v15, vcc_lo, v11, s10
	v_add_co_ci_u32_e32 v16, vcc_lo, s11, v12, vcc_lo
.LBB73_33:                              ;   in Loop: Header=BB73_3 Depth=1
	s_delay_alu instid0(VALU_DEP_1)
	v_alignbit_b32 v14, v16, v15, 2
	v_lshrrev_b32_e32 v13, 2, v16
	s_waitcnt vmcnt(0) lgkmcnt(0)
	v_add_nc_u32_e32 v35, 0xbb67ae85, v18
	v_add_nc_u32_e32 v36, 0x76cf5d0a, v18
	;; [unrolled: 1-line block ×3, first 2 shown]
	v_add_co_u32 v16, vcc_lo, v14, 1
	s_delay_alu instid0(VALU_DEP_1) | instskip(SKIP_4) | instid1(VALU_DEP_4)
	v_cndmask_b32_e64 v11, 0, 1, vcc_lo
	v_add_co_ci_u32_e32 v25, vcc_lo, 0, v13, vcc_lo
	v_xor3_b32 v21, v29, v17, v13
	v_add_nc_u32_e32 v38, 0x32370b8f, v18
	v_add_nc_u32_e32 v39, 0xed9eba14, v18
	v_cmp_eq_u32_e32 vcc_lo, 0, v25
	v_add_nc_u32_e32 v40, 0x1715609d, v17
	v_add_nc_u32_e32 v41, 0xa9066899, v18
	s_mov_b32 s0, exec_lo
	v_dual_cndmask_b32 v19, 0, v11 :: v_dual_add_nc_u32 v34, 0x9e3779b9, v17
	v_mad_u64_u32 v[11:12], null, 0xd2511f53, v16, 0
	s_delay_alu instid0(VALU_DEP_2) | instskip(NEXT) | instid1(VALU_DEP_2)
	v_add_nc_u32_e32 v16, v19, v1
	v_xor_b32_e32 v20, v12, v18
	s_delay_alu instid0(VALU_DEP_2) | instskip(SKIP_2) | instid1(VALU_DEP_1)
	v_cmp_eq_u32_e32 vcc_lo, 0, v16
	v_mad_u64_u32 v[12:13], null, 0xd2511f53, v14, 0
	v_cndmask_b32_e32 v19, 0, v19, vcc_lo
	v_xor_b32_e32 v14, v19, v20
	v_mad_u64_u32 v[19:20], null, 0xd2511f53, v21, 0
	v_mad_u64_u32 v[21:22], null, 0xcd9e8d57, v16, 0
	s_delay_alu instid0(VALU_DEP_3) | instskip(SKIP_3) | instid1(VALU_DEP_3)
	v_mad_u64_u32 v[23:24], null, 0xcd9e8d57, v14, 0
	v_xor_b32_e32 v14, v13, v18
	v_add_nc_u32_e32 v16, 0x3c6ef372, v17
	v_xor3_b32 v26, v35, v20, v12
	v_mad_u64_u32 v[12:13], null, 0xcd9e8d57, v14, 0
	v_xor3_b32 v14, v22, v17, v25
	v_xor3_b32 v22, v34, v24, v21
	s_delay_alu instid0(VALU_DEP_4) | instskip(NEXT) | instid1(VALU_DEP_3)
	v_mad_u64_u32 v[20:21], null, 0xcd9e8d57, v26, 0
	v_mad_u64_u32 v[24:25], null, 0xd2511f53, v14, 0
	s_delay_alu instid0(VALU_DEP_3) | instskip(SKIP_1) | instid1(VALU_DEP_4)
	v_mad_u64_u32 v[26:27], null, 0xd2511f53, v22, 0
	v_xor3_b32 v14, v2, v13, v34
	v_xor3_b32 v34, v16, v21, v12
	s_delay_alu instid0(VALU_DEP_4) | instskip(NEXT) | instid1(VALU_DEP_3)
	v_xor3_b32 v11, v35, v25, v11
	v_mad_u64_u32 v[12:13], null, 0xd2511f53, v14, 0
	v_xor3_b32 v14, v36, v27, v24
	s_delay_alu instid0(VALU_DEP_4) | instskip(NEXT) | instid1(VALU_DEP_4)
	v_mad_u64_u32 v[21:22], null, 0xd2511f53, v34, 0
	v_mad_u64_u32 v[24:25], null, 0xcd9e8d57, v11, 0
	s_delay_alu instid0(VALU_DEP_3) | instskip(SKIP_4) | instid1(VALU_DEP_4)
	v_mad_u64_u32 v[34:35], null, 0xcd9e8d57, v14, 0
	v_xor3_b32 v13, v36, v13, v19
	v_add_nc_u32_e32 v27, 0x78dde6e4, v17
	v_xor3_b32 v19, v38, v22, v12
	v_xor3_b32 v16, v16, v25, v23
	v_mad_u64_u32 v[11:12], null, 0xcd9e8d57, v13, 0
	v_xor3_b32 v35, v37, v35, v24
	s_delay_alu instid0(VALU_DEP_4) | instskip(NEXT) | instid1(VALU_DEP_4)
	v_mad_u64_u32 v[13:14], null, 0xcd9e8d57, v19, 0
	v_mad_u64_u32 v[22:23], null, 0xd2511f53, v16, 0
	s_delay_alu instid0(VALU_DEP_3) | instskip(SKIP_1) | instid1(VALU_DEP_4)
	v_mad_u64_u32 v[24:25], null, 0xd2511f53, v35, 0
	v_xor3_b32 v16, v37, v12, v20
	v_xor3_b32 v14, v27, v14, v11
	s_delay_alu instid0(VALU_DEP_2) | instskip(SKIP_2) | instid1(VALU_DEP_4)
	v_mad_u64_u32 v[11:12], null, 0xd2511f53, v16, 0
	v_xor3_b32 v16, v38, v23, v26
	v_xor3_b32 v22, v39, v25, v22
	v_mad_u64_u32 v[25:26], null, 0xd2511f53, v14, 0
	s_delay_alu instid0(VALU_DEP_3) | instskip(NEXT) | instid1(VALU_DEP_3)
	v_mad_u64_u32 v[19:20], null, 0xcd9e8d57, v16, 0
	v_mad_u64_u32 v[35:36], null, 0xcd9e8d57, v22, 0
	v_xor3_b32 v14, v39, v12, v21
	s_delay_alu instid0(VALU_DEP_4) | instskip(SKIP_2) | instid1(VALU_DEP_4)
	v_xor3_b32 v22, v41, v26, v11
	v_add_nc_u32_e32 v16, 0xb54cda56, v17
	v_add_nc_u32_e32 v21, 0x646e171e, v18
	v_mad_u64_u32 v[11:12], null, 0xcd9e8d57, v14, 0
	v_xor3_b32 v14, v27, v20, v34
	v_xor3_b32 v23, v40, v36, v19
	v_mad_u64_u32 v[36:37], null, 0xcd9e8d57, v22, 0
	v_add_nc_u32_e32 v27, 0x5384540f, v17
	s_delay_alu instid0(VALU_DEP_4) | instskip(NEXT) | instid1(VALU_DEP_4)
	v_mad_u64_u32 v[19:20], null, 0xd2511f53, v14, 0
	v_mad_u64_u32 v[38:39], null, 0xd2511f53, v23, 0
	v_xor3_b32 v13, v40, v12, v13
	v_xor3_b32 v14, v16, v37, v11
	v_add_nc_u32_e32 v40, 0x1fd5c5a3, v18
	v_add_co_u32 v34, null, 0xf1bbcdc8, v17
	v_xor3_b32 v22, v41, v20, v24
	v_xor3_b32 v24, v21, v39, v19
	v_mad_u64_u32 v[11:12], null, 0xd2511f53, v13, 0
	v_mad_u64_u32 v[19:20], null, 0xd2511f53, v14, 0
	s_delay_alu instid0(VALU_DEP_4) | instskip(NEXT) | instid1(VALU_DEP_4)
	v_mad_u64_u32 v[13:14], null, 0xcd9e8d57, v22, 0
	v_mad_u64_u32 v[22:23], null, 0xcd9e8d57, v24, 0
	s_delay_alu instid0(VALU_DEP_4) | instskip(NEXT) | instid1(VALU_DEP_4)
	v_xor3_b32 v21, v21, v12, v25
	v_xor3_b32 v24, v40, v20, v11
	s_delay_alu instid0(VALU_DEP_4) | instskip(NEXT) | instid1(VALU_DEP_3)
	v_xor3_b32 v16, v16, v14, v35
	v_mad_u64_u32 v[11:12], null, 0xcd9e8d57, v21, 0
	v_xor3_b32 v23, v27, v23, v13
	s_delay_alu instid0(VALU_DEP_4) | instskip(NEXT) | instid1(VALU_DEP_4)
	v_mad_u64_u32 v[20:21], null, 0xcd9e8d57, v24, 0
	v_mad_u64_u32 v[13:14], null, 0xd2511f53, v16, 0
	s_delay_alu instid0(VALU_DEP_3)
	v_mad_u64_u32 v[25:26], null, 0xd2511f53, v23, 0
	v_add_nc_u32_e32 v35, 0xdb3d7428, v18
	v_xor3_b32 v12, v27, v12, v36
	v_xor3_b32 v16, v34, v21, v11
	v_add_nc_u32_e32 v36, 0x96a522ad, v18
	v_xor3_b32 v14, v40, v14, v38
	v_and_b32_e32 v18, 3, v15
	v_xor3_b32 v21, v35, v26, v13
	v_mad_u64_u32 v[23:24], null, 0xd2511f53, v12, 0
	v_mad_u64_u32 v[11:12], null, 0xd2511f53, v16, 0
	;; [unrolled: 1-line block ×3, first 2 shown]
	s_delay_alu instid0(VALU_DEP_4) | instskip(SKIP_1) | instid1(VALU_DEP_4)
	v_mad_u64_u32 v[13:14], null, 0xcd9e8d57, v21, 0
	v_add_nc_u32_e32 v21, 0x8ff34781, v17
                                        ; implicit-def: $vgpr16
	v_xor3_b32 v17, v12, v23, v36
	s_delay_alu instid0(VALU_DEP_2)
	v_xor3_b32 v12, v14, v26, v21
	v_cmpx_lt_i32_e32 1, v18
	s_xor_b32 s0, exec_lo, s0
	s_cbranch_execz .LBB73_39
; %bb.34:                               ;   in Loop: Header=BB73_3 Depth=1
	s_mov_b32 s18, exec_lo
                                        ; implicit-def: $vgpr16
	v_cmpx_lt_i32_e32 2, v18
	s_xor_b32 s18, exec_lo, s18
; %bb.35:                               ;   in Loop: Header=BB73_3 Depth=1
	v_xor3_b32 v14, v34, v27, v22
                                        ; implicit-def: $vgpr17
	s_delay_alu instid0(VALU_DEP_1) | instskip(NEXT) | instid1(VALU_DEP_1)
	v_mul_hi_u32 v14, 0xd2511f53, v14
	v_xor3_b32 v16, v14, v25, v36
; %bb.36:                               ;   in Loop: Header=BB73_3 Depth=1
	s_and_not1_saveexec_b32 s18, s18
; %bb.37:                               ;   in Loop: Header=BB73_3 Depth=1
	v_dual_mov_b32 v16, v13 :: v_dual_mov_b32 v13, v12
	v_dual_mov_b32 v12, v11 :: v_dual_mov_b32 v11, v17
; %bb.38:                               ;   in Loop: Header=BB73_3 Depth=1
	s_or_b32 exec_lo, exec_lo, s18
                                        ; implicit-def: $vgpr19_vgpr20
                                        ; implicit-def: $vgpr18
                                        ; implicit-def: $vgpr17
                                        ; implicit-def: $vgpr35
                                        ; implicit-def: $vgpr23_vgpr24
                                        ; implicit-def: $vgpr20_vgpr21
                                        ; implicit-def: $vgpr21
.LBB73_39:                              ;   in Loop: Header=BB73_3 Depth=1
	s_and_not1_saveexec_b32 s0, s0
	s_cbranch_execz .LBB73_43
; %bb.40:                               ;   in Loop: Header=BB73_3 Depth=1
	v_xor3_b32 v13, v35, v24, v19
	v_cmp_eq_u32_e32 vcc_lo, 1, v18
	v_mov_b32_e32 v16, v11
	s_delay_alu instid0(VALU_DEP_3) | instskip(SKIP_1) | instid1(VALU_DEP_2)
	v_mad_u64_u32 v[14:15], null, 0xcd9e8d57, v13, 0
	v_mov_b32_e32 v13, v17
	v_xor3_b32 v18, v15, v20, v21
	s_delay_alu instid0(VALU_DEP_3)
	v_mov_b32_e32 v15, v14
	s_and_saveexec_b32 s18, vcc_lo
; %bb.41:                               ;   in Loop: Header=BB73_3 Depth=1
	v_dual_mov_b32 v16, v12 :: v_dual_mov_b32 v13, v11
	v_dual_mov_b32 v15, v17 :: v_dual_mov_b32 v18, v14
; %bb.42:                               ;   in Loop: Header=BB73_3 Depth=1
	s_or_b32 exec_lo, exec_lo, s18
	s_delay_alu instid0(VALU_DEP_1)
	v_dual_mov_b32 v11, v18 :: v_dual_mov_b32 v12, v15
.LBB73_43:                              ;   in Loop: Header=BB73_3 Depth=1
	s_or_b32 exec_lo, exec_lo, s0
	v_min_i32_e32 v14, 4, v31
	s_mov_b32 s18, 0
	s_mov_b32 s38, 0
	;; [unrolled: 1-line block ×3, first 2 shown]
                                        ; implicit-def: $sgpr34
                                        ; implicit-def: $sgpr35
                                        ; implicit-def: $sgpr36
	s_mov_b32 s0, exec_lo
	v_cmpx_lt_i32_e32 2, v14
	s_xor_b32 s37, exec_lo, s0
	s_cbranch_execz .LBB73_55
; %bb.44:                               ;   in Loop: Header=BB73_3 Depth=1
	s_mov_b32 s0, -1
	s_mov_b32 s39, 0
	s_mov_b32 s35, exec_lo
                                        ; implicit-def: $sgpr19
                                        ; implicit-def: $sgpr34
	v_cmpx_lt_i32_e32 3, v14
	s_cbranch_execz .LBB73_50
; %bb.45:                               ;   in Loop: Header=BB73_3 Depth=1
	s_mov_b32 s0, 0
	s_mov_b32 s39, -1
	s_mov_b32 s36, exec_lo
                                        ; implicit-def: $sgpr19
                                        ; implicit-def: $sgpr34
	v_cmpx_eq_u32_e32 4, v14
	s_cbranch_execz .LBB73_49
; %bb.46:                               ;   in Loop: Header=BB73_3 Depth=1
	v_cmp_le_f32_e32 vcc_lo, 0, v33
	v_cmp_ge_f32_e64 s0, 1.0, v33
	s_mov_b32 s19, 0
	s_delay_alu instid0(VALU_DEP_1)
	s_and_b32 s39, vcc_lo, s0
	s_mov_b32 s0, 0
	s_and_saveexec_b32 s34, s39
	s_cbranch_execz .LBB73_48
; %bb.47:                               ;   in Loop: Header=BB73_3 Depth=1
	v_cvt_f32_u32_e32 v15, v16
	v_lshlrev_b64 v[9:10], 3, v[9:10]
	s_mov_b32 s0, exec_lo
	s_delay_alu instid0(VALU_DEP_2) | instskip(NEXT) | instid1(VALU_DEP_2)
	v_fmaak_f32 v15, 0x2f800000, v15, 0x2f800000
	v_add_co_u32 v9, vcc_lo, s14, v9
	s_delay_alu instid0(VALU_DEP_3) | instskip(NEXT) | instid1(VALU_DEP_3)
	v_add_co_ci_u32_e32 v10, vcc_lo, s15, v10, vcc_lo
	v_cmp_le_f32_e32 vcc_lo, v15, v33
	v_mov_b32_e32 v15, v4
	v_cndmask_b32_e64 v16, 0, 0x3ff00000, vcc_lo
	global_store_b64 v[9:10], v[15:16], off
.LBB73_48:                              ;   in Loop: Header=BB73_3 Depth=1
	s_or_b32 exec_lo, exec_lo, s34
	s_mov_b32 s34, -1
	s_xor_b32 s39, exec_lo, -1
	s_and_b32 s0, s0, exec_lo
.LBB73_49:                              ;   in Loop: Header=BB73_3 Depth=1
	s_or_b32 exec_lo, exec_lo, s36
	s_delay_alu instid0(SALU_CYCLE_1)
	s_and_b32 s39, s39, exec_lo
	s_or_not1_b32 s0, s0, exec_lo
.LBB73_50:                              ;   in Loop: Header=BB73_3 Depth=1
	s_or_b32 exec_lo, exec_lo, s35
	s_mov_b32 s36, s19
	s_and_saveexec_b32 s35, s0
	s_cbranch_execz .LBB73_54
; %bb.51:                               ;   in Loop: Header=BB73_3 Depth=1
	v_cmp_le_f32_e32 vcc_lo, 0, v32
	v_cmp_ge_f32_e64 s0, 1.0, v32
	s_delay_alu instid0(VALU_DEP_1) | instskip(SKIP_2) | instid1(SALU_CYCLE_1)
	s_and_b32 s36, vcc_lo, s0
	s_mov_b32 s0, 0
	s_and_saveexec_b32 s38, s36
	s_xor_b32 s36, exec_lo, s38
	s_cbranch_execz .LBB73_53
; %bb.52:                               ;   in Loop: Header=BB73_3 Depth=1
	v_cvt_f32_u32_e32 v9, v13
	v_lshlrev_b64 v[7:8], 3, v[7:8]
	s_mov_b32 s0, exec_lo
	s_delay_alu instid0(VALU_DEP_2) | instskip(NEXT) | instid1(VALU_DEP_2)
	v_fmaak_f32 v9, 0x2f800000, v9, 0x2f800000
	v_add_co_u32 v7, vcc_lo, s14, v7
	s_delay_alu instid0(VALU_DEP_3) | instskip(NEXT) | instid1(VALU_DEP_3)
	v_add_co_ci_u32_e32 v8, vcc_lo, s15, v8, vcc_lo
	v_cmp_le_f32_e32 vcc_lo, v9, v32
	v_mov_b32_e32 v9, v4
	v_cndmask_b32_e64 v10, 0, 0x3ff00000, vcc_lo
	global_store_b64 v[7:8], v[9:10], off
.LBB73_53:                              ;   in Loop: Header=BB73_3 Depth=1
	s_or_b32 exec_lo, exec_lo, s36
	s_delay_alu instid0(SALU_CYCLE_1)
	s_and_not1_b32 s36, s19, exec_lo
	s_or_b32 s19, s19, exec_lo
	s_and_not1_b32 s34, s34, exec_lo
	s_and_b32 s38, s0, exec_lo
.LBB73_54:                              ;   in Loop: Header=BB73_3 Depth=1
	s_or_b32 exec_lo, exec_lo, s35
	s_delay_alu instid0(SALU_CYCLE_1)
	s_and_b32 s36, s36, exec_lo
	s_and_b32 s35, s19, exec_lo
	;; [unrolled: 1-line block ×5, first 2 shown]
.LBB73_55:                              ;   in Loop: Header=BB73_3 Depth=1
	s_and_not1_saveexec_b32 s0, s37
; %bb.56:                               ;   in Loop: Header=BB73_3 Depth=1
	v_cmp_lt_i32_e32 vcc_lo, 1, v14
	s_and_not1_b32 s37, s38, exec_lo
	s_mov_b32 s18, exec_lo
	s_and_not1_b32 s36, s36, exec_lo
	s_and_not1_b32 s35, s35, exec_lo
	s_and_b32 s38, vcc_lo, exec_lo
	s_and_not1_b32 s34, s34, exec_lo
	s_or_b32 s38, s37, s38
; %bb.57:                               ;   in Loop: Header=BB73_3 Depth=1
	s_or_b32 exec_lo, exec_lo, s0
	s_mov_b32 s0, 0
	s_mov_b32 s37, s36
	s_and_saveexec_b32 s39, s38
	s_cbranch_execnz .LBB73_60
; %bb.58:                               ;   in Loop: Header=BB73_3 Depth=1
	s_or_b32 exec_lo, exec_lo, s39
	s_and_saveexec_b32 s38, s18
	s_cbranch_execnz .LBB73_63
.LBB73_59:                              ;   in Loop: Header=BB73_3 Depth=1
	s_or_b32 exec_lo, exec_lo, s38
	s_and_saveexec_b32 s18, s0
	s_cbranch_execnz .LBB73_64
	s_branch .LBB73_67
.LBB73_60:                              ;   in Loop: Header=BB73_3 Depth=1
	v_cmp_le_f32_e32 vcc_lo, 0, v3
	v_cmp_ge_f32_e64 s0, 1.0, v3
	s_delay_alu instid0(VALU_DEP_1) | instskip(SKIP_2) | instid1(SALU_CYCLE_1)
	s_and_b32 s37, vcc_lo, s0
	s_mov_b32 s0, 0
	s_and_saveexec_b32 s38, s37
	s_xor_b32 s37, exec_lo, s38
	s_cbranch_execz .LBB73_62
; %bb.61:                               ;   in Loop: Header=BB73_3 Depth=1
	v_cvt_f32_u32_e32 v8, v12
	v_mov_b32_e32 v7, v4
	s_mov_b32 s0, exec_lo
	s_delay_alu instid0(VALU_DEP_2) | instskip(NEXT) | instid1(VALU_DEP_2)
	v_fmaak_f32 v8, 0x2f800000, v8, 0x2f800000
	v_lshlrev_b64 v[6:7], 3, v[6:7]
	s_delay_alu instid0(VALU_DEP_2) | instskip(SKIP_1) | instid1(VALU_DEP_3)
	v_cmp_le_f32_e32 vcc_lo, v8, v3
	v_cndmask_b32_e64 v8, 0, 0x3ff00000, vcc_lo
	v_add_co_u32 v9, vcc_lo, s14, v6
	s_delay_alu instid0(VALU_DEP_4)
	v_add_co_ci_u32_e32 v10, vcc_lo, s15, v7, vcc_lo
	v_mov_b32_e32 v7, v4
	global_store_b64 v[9:10], v[7:8], off
.LBB73_62:                              ;   in Loop: Header=BB73_3 Depth=1
	s_or_b32 exec_lo, exec_lo, s37
	s_delay_alu instid0(SALU_CYCLE_1)
	s_and_not1_b32 s37, s36, exec_lo
	s_or_b32 s36, s36, exec_lo
	s_and_not1_b32 s35, s35, exec_lo
	s_and_not1_b32 s34, s34, exec_lo
	s_and_b32 s0, s0, exec_lo
	s_and_not1_b32 s18, s18, exec_lo
	s_or_b32 exec_lo, exec_lo, s39
	s_and_saveexec_b32 s38, s18
	s_cbranch_execz .LBB73_59
.LBB73_63:                              ;   in Loop: Header=BB73_3 Depth=1
	v_cmp_eq_u32_e32 vcc_lo, 1, v14
	s_and_not1_b32 s0, s0, exec_lo
	s_and_not1_b32 s37, s37, exec_lo
	;; [unrolled: 1-line block ×4, first 2 shown]
	s_and_b32 s18, vcc_lo, exec_lo
	s_and_not1_b32 s34, s34, exec_lo
	s_or_b32 s19, s19, exec_lo
	s_or_b32 s0, s0, s18
	s_or_b32 exec_lo, exec_lo, s38
	s_and_saveexec_b32 s18, s0
	s_cbranch_execz .LBB73_67
.LBB73_64:                              ;   in Loop: Header=BB73_3 Depth=1
	v_cmp_le_f32_e32 vcc_lo, 0, v0
	v_cmp_ge_f32_e64 s0, 1.0, v0
	s_delay_alu instid0(VALU_DEP_1)
	s_and_b32 s39, vcc_lo, s0
	s_mov_b32 s0, 0
	s_and_saveexec_b32 s38, s39
	s_cbranch_execz .LBB73_66
; %bb.65:                               ;   in Loop: Header=BB73_3 Depth=1
	v_cvt_f32_u32_e32 v3, v11
	v_mov_b32_e32 v6, v4
	s_mov_b32 s0, exec_lo
	s_delay_alu instid0(VALU_DEP_2) | instskip(NEXT) | instid1(VALU_DEP_2)
	v_fmaak_f32 v3, 0x2f800000, v3, 0x2f800000
	v_lshlrev_b64 v[5:6], 3, v[5:6]
	s_delay_alu instid0(VALU_DEP_2) | instskip(SKIP_1) | instid1(VALU_DEP_3)
	v_cmp_le_f32_e32 vcc_lo, v3, v0
	v_cndmask_b32_e64 v7, 0, 0x3ff00000, vcc_lo
	v_add_co_u32 v8, vcc_lo, s14, v5
	s_delay_alu instid0(VALU_DEP_4)
	v_add_co_ci_u32_e32 v9, vcc_lo, s15, v6, vcc_lo
	v_mov_b32_e32 v6, v4
	global_store_b64 v[8:9], v[6:7], off
.LBB73_66:                              ;   in Loop: Header=BB73_3 Depth=1
	s_or_b32 exec_lo, exec_lo, s38
	s_delay_alu instid0(SALU_CYCLE_1)
	s_and_not1_b32 s19, s19, exec_lo
	s_and_b32 s0, s0, exec_lo
	s_or_b32 s37, s37, exec_lo
	s_and_not1_b32 s36, s36, exec_lo
	s_and_not1_b32 s35, s35, exec_lo
	;; [unrolled: 1-line block ×3, first 2 shown]
	s_or_b32 s19, s19, s0
.LBB73_67:                              ;   in Loop: Header=BB73_3 Depth=1
	s_or_b32 exec_lo, exec_lo, s18
	s_delay_alu instid0(SALU_CYCLE_1)
	s_and_not1_b32 s18, s33, exec_lo
	s_and_b32 s33, s37, exec_lo
	s_and_not1_b32 s30, s30, exec_lo
	s_and_b32 s36, s36, exec_lo
	s_or_b32 s33, s18, s33
	s_and_not1_b32 s18, s31, exec_lo
	s_and_b32 s31, s35, exec_lo
	s_and_not1_b32 s29, s29, exec_lo
	s_and_b32 s34, s34, exec_lo
	s_mov_b32 s0, -1
	s_or_b32 s30, s30, s36
	s_or_b32 s31, s18, s31
	;; [unrolled: 1-line block ×3, first 2 shown]
	s_and_saveexec_b32 s18, s19
	s_cbranch_execz .LBB73_2
; %bb.68:                               ;   in Loop: Header=BB73_3 Depth=1
	v_add_nc_u32_e32 v28, s25, v28
	s_and_not1_b32 s33, s33, exec_lo
	s_and_not1_b32 s30, s30, exec_lo
	;; [unrolled: 1-line block ×4, first 2 shown]
	v_cmp_le_u32_e32 vcc_lo, s20, v28
	s_or_not1_b32 s0, vcc_lo, exec_lo
	s_branch .LBB73_2
.LBB73_69:
	s_or_b32 exec_lo, exec_lo, s13
	s_xor_b32 s4, s27, -1
	s_xor_b32 s5, s28, -1
	;; [unrolled: 1-line block ×3, first 2 shown]
	s_mov_b32 s2, 0
	s_and_saveexec_b32 s3, s0
	s_delay_alu instid0(SALU_CYCLE_1)
	s_xor_b32 s0, exec_lo, s3
	s_cbranch_execz .LBB73_78
; %bb.70:
	s_mov_b32 s3, 0
	s_and_saveexec_b32 s2, s5
	s_delay_alu instid0(SALU_CYCLE_1)
	s_xor_b32 s2, exec_lo, s2
	s_cbranch_execz .LBB73_76
; %bb.71:
	s_and_saveexec_b32 s5, s4
	s_delay_alu instid0(SALU_CYCLE_1)
	s_xor_b32 s4, exec_lo, s5
	s_cbranch_execz .LBB73_74
; %bb.72:
	s_and_saveexec_b32 s5, s1
	s_delay_alu instid0(SALU_CYCLE_1)
	s_xor_b32 s1, exec_lo, s5
	s_cbranch_execnz .LBB73_92
.LBB73_73:
	s_or_b32 exec_lo, exec_lo, s1
	s_delay_alu instid0(SALU_CYCLE_1)
	s_and_b32 s3, s3, exec_lo
.LBB73_74:
	s_and_not1_saveexec_b32 s1, s4
	s_cbranch_execnz .LBB73_88
.LBB73_75:
	s_or_b32 exec_lo, exec_lo, s1
	s_delay_alu instid0(SALU_CYCLE_1)
	s_and_b32 s3, s3, exec_lo
.LBB73_76:
	s_and_not1_saveexec_b32 s1, s2
	s_cbranch_execnz .LBB73_84
.LBB73_77:
	s_or_b32 exec_lo, exec_lo, s1
	s_delay_alu instid0(SALU_CYCLE_1)
	s_and_b32 s2, s3, exec_lo
.LBB73_78:
	s_and_not1_saveexec_b32 s0, s0
	s_cbranch_execnz .LBB73_82
; %bb.79:
	s_or_b32 exec_lo, exec_lo, s0
	s_delay_alu instid0(SALU_CYCLE_1)
	s_and_b32 exec_lo, exec_lo, s2
.LBB73_80:
	; divergent unreachable
.LBB73_81:
	s_nop 0
	s_sendmsg sendmsg(MSG_DEALLOC_VGPRS)
	s_endpgm
.LBB73_82:
	s_cbranch_execnz .LBB73_86
; %bb.83:
	s_or_b32 s2, s2, exec_lo
	s_or_b32 exec_lo, exec_lo, s0
	s_delay_alu instid0(SALU_CYCLE_1)
	s_and_b32 exec_lo, exec_lo, s2
	s_cbranch_execnz .LBB73_80
	s_branch .LBB73_81
.LBB73_84:
	s_cbranch_execnz .LBB73_90
; %bb.85:
	s_or_b32 s3, s3, exec_lo
	s_branch .LBB73_77
.LBB73_86:
	s_trap 2
	s_sendmsg_rtn_b32 s0, sendmsg(MSG_RTN_GET_DOORBELL)
	s_mov_b32 ttmp2, m0
	s_waitcnt lgkmcnt(0)
	s_and_b32 s0, s0, 0x3ff
	s_delay_alu instid0(SALU_CYCLE_1) | instskip(NEXT) | instid1(SALU_CYCLE_1)
	s_bitset1_b32 s0, 10
	s_mov_b32 m0, s0
	s_sendmsg sendmsg(MSG_INTERRUPT)
	s_mov_b32 m0, ttmp2
.LBB73_87:                              ; =>This Inner Loop Header: Depth=1
	s_sethalt 5
	s_branch .LBB73_87
.LBB73_88:
	s_cbranch_execnz .LBB73_94
; %bb.89:
	s_or_b32 s3, s3, exec_lo
	s_branch .LBB73_75
.LBB73_90:
	s_trap 2
	s_sendmsg_rtn_b32 s0, sendmsg(MSG_RTN_GET_DOORBELL)
	s_mov_b32 ttmp2, m0
	s_waitcnt lgkmcnt(0)
	s_and_b32 s0, s0, 0x3ff
	s_delay_alu instid0(SALU_CYCLE_1) | instskip(NEXT) | instid1(SALU_CYCLE_1)
	s_bitset1_b32 s0, 10
	s_mov_b32 m0, s0
	s_sendmsg sendmsg(MSG_INTERRUPT)
	s_mov_b32 m0, ttmp2
.LBB73_91:                              ; =>This Inner Loop Header: Depth=1
	s_sethalt 5
	s_branch .LBB73_91
.LBB73_92:
	s_cbranch_execnz .LBB73_96
; %bb.93:
	s_mov_b32 s3, exec_lo
	s_branch .LBB73_73
.LBB73_94:
	s_trap 2
	s_sendmsg_rtn_b32 s0, sendmsg(MSG_RTN_GET_DOORBELL)
	s_mov_b32 ttmp2, m0
	s_waitcnt lgkmcnt(0)
	s_and_b32 s0, s0, 0x3ff
	s_delay_alu instid0(SALU_CYCLE_1) | instskip(NEXT) | instid1(SALU_CYCLE_1)
	s_bitset1_b32 s0, 10
	s_mov_b32 m0, s0
	s_sendmsg sendmsg(MSG_INTERRUPT)
	s_mov_b32 m0, ttmp2
.LBB73_95:                              ; =>This Inner Loop Header: Depth=1
	s_sethalt 5
	s_branch .LBB73_95
.LBB73_96:
	s_trap 2
	s_sendmsg_rtn_b32 s0, sendmsg(MSG_RTN_GET_DOORBELL)
	s_mov_b32 ttmp2, m0
	s_waitcnt lgkmcnt(0)
	s_and_b32 s0, s0, 0x3ff
	s_delay_alu instid0(SALU_CYCLE_1) | instskip(NEXT) | instid1(SALU_CYCLE_1)
	s_bitset1_b32 s0, 10
	s_mov_b32 m0, s0
	s_sendmsg sendmsg(MSG_INTERRUPT)
	s_mov_b32 m0, ttmp2
.LBB73_97:                              ; =>This Inner Loop Header: Depth=1
	s_sethalt 5
	s_branch .LBB73_97
	.section	.rodata,"a",@progbits
	.p2align	6, 0x0
	.amdhsa_kernel _ZN2at4cuda12_GLOBAL__N_121kernelPointwiseApply2IZNS_6native9templates4cuda28bernoulli_tensor_cuda_kernelIdfEEvRKNS_10TensorBaseES9_NS_15PhiloxCudaStateEEUliRdSB_SB_SB_RKfSD_SD_SD_E_dSC_jLin1ELi2ELi4ELi512ELi2EEEvNS0_6detail10TensorInfoIT0_T2_EENSG_IT1_SI_EESI_T_
		.amdhsa_group_segment_fixed_size 0
		.amdhsa_private_segment_fixed_size 0
		.amdhsa_kernarg_size 728
		.amdhsa_user_sgpr_count 15
		.amdhsa_user_sgpr_dispatch_ptr 0
		.amdhsa_user_sgpr_queue_ptr 0
		.amdhsa_user_sgpr_kernarg_segment_ptr 1
		.amdhsa_user_sgpr_dispatch_id 0
		.amdhsa_user_sgpr_private_segment_size 0
		.amdhsa_wavefront_size32 1
		.amdhsa_uses_dynamic_stack 0
		.amdhsa_enable_private_segment 0
		.amdhsa_system_sgpr_workgroup_id_x 1
		.amdhsa_system_sgpr_workgroup_id_y 0
		.amdhsa_system_sgpr_workgroup_id_z 0
		.amdhsa_system_sgpr_workgroup_info 0
		.amdhsa_system_vgpr_workitem_id 0
		.amdhsa_next_free_vgpr 42
		.amdhsa_next_free_sgpr 40
		.amdhsa_reserve_vcc 1
		.amdhsa_float_round_mode_32 0
		.amdhsa_float_round_mode_16_64 0
		.amdhsa_float_denorm_mode_32 3
		.amdhsa_float_denorm_mode_16_64 3
		.amdhsa_dx10_clamp 1
		.amdhsa_ieee_mode 1
		.amdhsa_fp16_overflow 0
		.amdhsa_workgroup_processor_mode 1
		.amdhsa_memory_ordered 1
		.amdhsa_forward_progress 0
		.amdhsa_shared_vgpr_count 0
		.amdhsa_exception_fp_ieee_invalid_op 0
		.amdhsa_exception_fp_denorm_src 0
		.amdhsa_exception_fp_ieee_div_zero 0
		.amdhsa_exception_fp_ieee_overflow 0
		.amdhsa_exception_fp_ieee_underflow 0
		.amdhsa_exception_fp_ieee_inexact 0
		.amdhsa_exception_int_div_zero 0
	.end_amdhsa_kernel
	.section	.text._ZN2at4cuda12_GLOBAL__N_121kernelPointwiseApply2IZNS_6native9templates4cuda28bernoulli_tensor_cuda_kernelIdfEEvRKNS_10TensorBaseES9_NS_15PhiloxCudaStateEEUliRdSB_SB_SB_RKfSD_SD_SD_E_dSC_jLin1ELi2ELi4ELi512ELi2EEEvNS0_6detail10TensorInfoIT0_T2_EENSG_IT1_SI_EESI_T_,"axG",@progbits,_ZN2at4cuda12_GLOBAL__N_121kernelPointwiseApply2IZNS_6native9templates4cuda28bernoulli_tensor_cuda_kernelIdfEEvRKNS_10TensorBaseES9_NS_15PhiloxCudaStateEEUliRdSB_SB_SB_RKfSD_SD_SD_E_dSC_jLin1ELi2ELi4ELi512ELi2EEEvNS0_6detail10TensorInfoIT0_T2_EENSG_IT1_SI_EESI_T_,comdat
.Lfunc_end73:
	.size	_ZN2at4cuda12_GLOBAL__N_121kernelPointwiseApply2IZNS_6native9templates4cuda28bernoulli_tensor_cuda_kernelIdfEEvRKNS_10TensorBaseES9_NS_15PhiloxCudaStateEEUliRdSB_SB_SB_RKfSD_SD_SD_E_dSC_jLin1ELi2ELi4ELi512ELi2EEEvNS0_6detail10TensorInfoIT0_T2_EENSG_IT1_SI_EESI_T_, .Lfunc_end73-_ZN2at4cuda12_GLOBAL__N_121kernelPointwiseApply2IZNS_6native9templates4cuda28bernoulli_tensor_cuda_kernelIdfEEvRKNS_10TensorBaseES9_NS_15PhiloxCudaStateEEUliRdSB_SB_SB_RKfSD_SD_SD_E_dSC_jLin1ELi2ELi4ELi512ELi2EEEvNS0_6detail10TensorInfoIT0_T2_EENSG_IT1_SI_EESI_T_
                                        ; -- End function
	.section	.AMDGPU.csdata,"",@progbits
; Kernel info:
; codeLenInByte = 4860
; NumSgprs: 42
; NumVgprs: 42
; ScratchSize: 0
; MemoryBound: 0
; FloatMode: 240
; IeeeMode: 1
; LDSByteSize: 0 bytes/workgroup (compile time only)
; SGPRBlocks: 5
; VGPRBlocks: 5
; NumSGPRsForWavesPerEU: 42
; NumVGPRsForWavesPerEU: 42
; Occupancy: 16
; WaveLimiterHint : 1
; COMPUTE_PGM_RSRC2:SCRATCH_EN: 0
; COMPUTE_PGM_RSRC2:USER_SGPR: 15
; COMPUTE_PGM_RSRC2:TRAP_HANDLER: 0
; COMPUTE_PGM_RSRC2:TGID_X_EN: 1
; COMPUTE_PGM_RSRC2:TGID_Y_EN: 0
; COMPUTE_PGM_RSRC2:TGID_Z_EN: 0
; COMPUTE_PGM_RSRC2:TIDIG_COMP_CNT: 0
	.section	.text._ZN2at4cuda12_GLOBAL__N_121kernelPointwiseApply2IZNS_6native9templates4cuda28bernoulli_tensor_cuda_kernelIdfEEvRKNS_10TensorBaseES9_NS_15PhiloxCudaStateEEUliRdSB_SB_SB_RKfSD_SD_SD_E_dSC_jLin1ELin1ELi4ELi512ELi2EEEvNS0_6detail10TensorInfoIT0_T2_EENSG_IT1_SI_EESI_T_,"axG",@progbits,_ZN2at4cuda12_GLOBAL__N_121kernelPointwiseApply2IZNS_6native9templates4cuda28bernoulli_tensor_cuda_kernelIdfEEvRKNS_10TensorBaseES9_NS_15PhiloxCudaStateEEUliRdSB_SB_SB_RKfSD_SD_SD_E_dSC_jLin1ELin1ELi4ELi512ELi2EEEvNS0_6detail10TensorInfoIT0_T2_EENSG_IT1_SI_EESI_T_,comdat
	.globl	_ZN2at4cuda12_GLOBAL__N_121kernelPointwiseApply2IZNS_6native9templates4cuda28bernoulli_tensor_cuda_kernelIdfEEvRKNS_10TensorBaseES9_NS_15PhiloxCudaStateEEUliRdSB_SB_SB_RKfSD_SD_SD_E_dSC_jLin1ELin1ELi4ELi512ELi2EEEvNS0_6detail10TensorInfoIT0_T2_EENSG_IT1_SI_EESI_T_ ; -- Begin function _ZN2at4cuda12_GLOBAL__N_121kernelPointwiseApply2IZNS_6native9templates4cuda28bernoulli_tensor_cuda_kernelIdfEEvRKNS_10TensorBaseES9_NS_15PhiloxCudaStateEEUliRdSB_SB_SB_RKfSD_SD_SD_E_dSC_jLin1ELin1ELi4ELi512ELi2EEEvNS0_6detail10TensorInfoIT0_T2_EENSG_IT1_SI_EESI_T_
	.p2align	8
	.type	_ZN2at4cuda12_GLOBAL__N_121kernelPointwiseApply2IZNS_6native9templates4cuda28bernoulli_tensor_cuda_kernelIdfEEvRKNS_10TensorBaseES9_NS_15PhiloxCudaStateEEUliRdSB_SB_SB_RKfSD_SD_SD_E_dSC_jLin1ELin1ELi4ELi512ELi2EEEvNS0_6detail10TensorInfoIT0_T2_EENSG_IT1_SI_EESI_T_,@function
_ZN2at4cuda12_GLOBAL__N_121kernelPointwiseApply2IZNS_6native9templates4cuda28bernoulli_tensor_cuda_kernelIdfEEvRKNS_10TensorBaseES9_NS_15PhiloxCudaStateEEUliRdSB_SB_SB_RKfSD_SD_SD_E_dSC_jLin1ELin1ELi4ELi512ELi2EEEvNS0_6detail10TensorInfoIT0_T2_EENSG_IT1_SI_EESI_T_: ; @_ZN2at4cuda12_GLOBAL__N_121kernelPointwiseApply2IZNS_6native9templates4cuda28bernoulli_tensor_cuda_kernelIdfEEvRKNS_10TensorBaseES9_NS_15PhiloxCudaStateEEUliRdSB_SB_SB_RKfSD_SD_SD_E_dSC_jLin1ELin1ELi4ELi512ELi2EEEvNS0_6detail10TensorInfoIT0_T2_EENSG_IT1_SI_EESI_T_
; %bb.0:
	s_clause 0x1
	s_load_b32 s4, s[0:1], 0x1e4
	s_load_b32 s20, s[0:1], 0x1b0
	s_add_u32 s2, s0, 0x1d8
	s_addc_u32 s3, s1, 0
	s_waitcnt lgkmcnt(0)
	s_and_b32 s12, s4, 0xffff
	s_mov_b32 s4, exec_lo
	v_mad_u64_u32 v[1:2], null, s15, s12, v[0:1]
	s_delay_alu instid0(VALU_DEP_1) | instskip(NEXT) | instid1(VALU_DEP_1)
	v_lshlrev_b32_e32 v27, 2, v1
	v_cmpx_gt_u32_e64 s20, v27
	s_cbranch_execz .LBB74_93
; %bb.1:
	s_clause 0x2
	s_load_b32 s16, s[0:1], 0xd0
	s_load_b32 s17, s[0:1], 0x1a8
	;; [unrolled: 1-line block ×4, first 2 shown]
	s_clause 0x1
	s_load_b64 s[2:3], s[0:1], 0x1c8
	s_load_b128 s[4:7], s[0:1], 0x1b8
	s_add_u32 s18, s0, 0xd8
	s_addc_u32 s19, s1, 0
	s_clause 0x3
	s_load_b32 s21, s[0:1], 0x144
	s_load_b64 s[8:9], s[0:1], 0xd8
	s_load_b32 s22, s[0:1], 0x6c
	s_load_b64 s[10:11], s[0:1], 0x0
	s_mov_b32 s13, 0
	v_mad_u64_u32 v[2:3], null, 0xcd9e8d57, v1, 0
	v_mov_b32_e32 v4, 0
                                        ; implicit-def: $sgpr29
                                        ; implicit-def: $sgpr31
                                        ; implicit-def: $sgpr30
                                        ; implicit-def: $sgpr33
                                        ; implicit-def: $sgpr35
                                        ; implicit-def: $sgpr34
                                        ; implicit-def: $sgpr36
	s_delay_alu instid0(VALU_DEP_2)
	v_mov_b32_e32 v28, v3
	s_waitcnt lgkmcnt(0)
	s_cmp_gt_i32 s16, 1
	s_cselect_b32 s23, -1, 0
	s_cmp_gt_i32 s17, 1
	s_mul_i32 s15, s15, s12
	s_cselect_b32 s24, -1, 0
	s_bitcmp1_b32 s14, 0
	s_cselect_b32 s25, -1, 0
	s_add_i32 s12, s16, -1
	s_lshl_b32 s26, s15, 2
	s_lshl_b64 s[14:15], s[12:13], 2
	s_add_i32 s27, s16, 1
	s_add_u32 s0, s14, s0
	s_addc_u32 s1, s15, s1
	s_add_u32 s14, s0, 8
	s_addc_u32 s15, s1, 0
	s_add_i32 s12, s17, -1
	s_add_i32 s28, s17, 1
	s_lshl_b64 s[0:1], s[12:13], 2
                                        ; implicit-def: $sgpr12
	s_delay_alu instid0(SALU_CYCLE_1)
	s_add_u32 s0, s0, s18
	s_addc_u32 s1, s1, s19
	s_add_u32 s16, s0, 8
	s_addc_u32 s17, s1, 0
	s_branch .LBB74_3
.LBB74_2:                               ;   in Loop: Header=BB74_3 Depth=1
	s_or_b32 exec_lo, exec_lo, s1
	s_delay_alu instid0(SALU_CYCLE_1) | instskip(NEXT) | instid1(SALU_CYCLE_1)
	s_and_b32 s0, exec_lo, s0
	s_or_b32 s13, s0, s13
	s_and_not1_b32 s0, s12, exec_lo
	s_and_b32 s1, s36, exec_lo
	s_and_not1_b32 s18, s30, exec_lo
	s_and_b32 s19, s34, exec_lo
	s_or_b32 s12, s0, s1
	s_or_b32 s30, s18, s19
	s_and_not1_b32 s0, s31, exec_lo
	s_and_b32 s1, s35, exec_lo
	s_and_not1_b32 s18, s29, exec_lo
	s_and_b32 s19, s33, exec_lo
	s_or_b32 s31, s0, s1
	s_or_b32 s29, s18, s19
	s_and_not1_b32 exec_lo, exec_lo, s13
	s_cbranch_execz .LBB74_81
.LBB74_3:                               ; =>This Loop Header: Depth=1
                                        ;     Child Loop BB74_6 Depth 2
                                        ;     Child Loop BB74_11 Depth 2
	;; [unrolled: 1-line block ×8, first 2 shown]
	v_sub_nc_u32_e32 v29, s20, v27
	v_mov_b32_e32 v5, 0
	s_delay_alu instid0(VALU_DEP_2) | instskip(NEXT) | instid1(VALU_DEP_1)
	v_cmp_lt_i32_e64 s0, 0, v29
	s_and_saveexec_b32 s1, s0
	s_cbranch_execz .LBB74_8
; %bb.4:                                ;   in Loop: Header=BB74_3 Depth=1
	v_dual_mov_b32 v0, 0 :: v_dual_mov_b32 v3, v27
	s_and_not1_b32 vcc_lo, exec_lo, s23
	s_cbranch_vccnz .LBB74_7
; %bb.5:                                ;   in Loop: Header=BB74_3 Depth=1
	v_dual_mov_b32 v0, 0 :: v_dual_mov_b32 v3, v27
	s_mov_b64 s[18:19], s[14:15]
	s_mov_b32 s37, s27
	s_set_inst_prefetch_distance 0x1
	.p2align	6
.LBB74_6:                               ;   Parent Loop BB74_3 Depth=1
                                        ; =>  This Inner Loop Header: Depth=2
	s_clause 0x1
	s_load_b32 s38, s[18:19], 0x0
	s_load_b32 s39, s[18:19], 0x64
	v_mov_b32_e32 v7, v3
	s_add_i32 s37, s37, -1
	s_waitcnt lgkmcnt(0)
	v_cvt_f32_u32_e32 v5, s38
	s_sub_i32 s40, 0, s38
	s_add_u32 s18, s18, -4
	s_addc_u32 s19, s19, -1
	s_cmp_gt_u32 s37, 2
	v_rcp_iflag_f32_e32 v5, v5
	s_waitcnt_depctr 0xfff
	v_mul_f32_e32 v5, 0x4f7ffffe, v5
	s_delay_alu instid0(VALU_DEP_1) | instskip(NEXT) | instid1(VALU_DEP_1)
	v_cvt_u32_f32_e32 v5, v5
	v_mul_lo_u32 v6, s40, v5
	s_delay_alu instid0(VALU_DEP_1) | instskip(NEXT) | instid1(VALU_DEP_1)
	v_mul_hi_u32 v6, v5, v6
	v_add_nc_u32_e32 v3, v5, v6
	s_delay_alu instid0(VALU_DEP_1) | instskip(NEXT) | instid1(VALU_DEP_1)
	v_mul_hi_u32 v3, v7, v3
	v_add_nc_u32_e32 v6, 1, v3
	v_mul_lo_u32 v5, v3, s38
	s_delay_alu instid0(VALU_DEP_1) | instskip(NEXT) | instid1(VALU_DEP_1)
	v_sub_nc_u32_e32 v5, v7, v5
	v_subrev_nc_u32_e32 v8, s38, v5
	v_cmp_le_u32_e32 vcc_lo, s38, v5
	v_cndmask_b32_e32 v3, v3, v6, vcc_lo
	s_delay_alu instid0(VALU_DEP_1) | instskip(NEXT) | instid1(VALU_DEP_1)
	v_dual_cndmask_b32 v5, v5, v8 :: v_dual_add_nc_u32 v6, 1, v3
	v_cmp_le_u32_e32 vcc_lo, s38, v5
	s_delay_alu instid0(VALU_DEP_2) | instskip(NEXT) | instid1(VALU_DEP_1)
	v_cndmask_b32_e32 v3, v3, v6, vcc_lo
	v_mul_lo_u32 v5, v3, s38
	s_delay_alu instid0(VALU_DEP_1) | instskip(NEXT) | instid1(VALU_DEP_1)
	v_sub_nc_u32_e32 v7, v7, v5
	v_mad_u64_u32 v[5:6], null, s39, v7, v[0:1]
	s_delay_alu instid0(VALU_DEP_1)
	v_mov_b32_e32 v0, v5
	s_cbranch_scc1 .LBB74_6
.LBB74_7:                               ;   in Loop: Header=BB74_3 Depth=1
	s_set_inst_prefetch_distance 0x2
	s_delay_alu instid0(VALU_DEP_1)
	v_mad_u64_u32 v[5:6], null, s22, v3, v[0:1]
.LBB74_8:                               ;   in Loop: Header=BB74_3 Depth=1
	s_or_b32 exec_lo, exec_lo, s1
	v_mov_b32_e32 v3, 0
	s_and_saveexec_b32 s18, s0
	s_cbranch_execz .LBB74_13
; %bb.9:                                ;   in Loop: Header=BB74_3 Depth=1
	v_dual_mov_b32 v0, 0 :: v_dual_mov_b32 v3, v27
	s_and_not1_b32 vcc_lo, exec_lo, s24
	s_cbranch_vccnz .LBB74_12
; %bb.10:                               ;   in Loop: Header=BB74_3 Depth=1
	v_dual_mov_b32 v0, 0 :: v_dual_mov_b32 v3, v27
	s_mov_b64 s[0:1], s[16:17]
	s_mov_b32 s19, s28
	s_set_inst_prefetch_distance 0x1
	.p2align	6
.LBB74_11:                              ;   Parent Loop BB74_3 Depth=1
                                        ; =>  This Inner Loop Header: Depth=2
	s_clause 0x1
	s_load_b32 s37, s[0:1], 0x0
	s_load_b32 s38, s[0:1], 0x64
	s_add_i32 s19, s19, -1
	s_waitcnt lgkmcnt(0)
	v_cvt_f32_u32_e32 v6, s37
	s_sub_i32 s39, 0, s37
	s_add_u32 s0, s0, -4
	s_addc_u32 s1, s1, -1
	s_cmp_gt_u32 s19, 2
	v_rcp_iflag_f32_e32 v6, v6
	s_waitcnt_depctr 0xfff
	v_mul_f32_e32 v6, 0x4f7ffffe, v6
	s_delay_alu instid0(VALU_DEP_1) | instskip(NEXT) | instid1(VALU_DEP_1)
	v_cvt_u32_f32_e32 v6, v6
	v_mul_lo_u32 v7, s39, v6
	s_delay_alu instid0(VALU_DEP_1) | instskip(NEXT) | instid1(VALU_DEP_1)
	v_mul_hi_u32 v7, v6, v7
	v_dual_mov_b32 v8, v3 :: v_dual_add_nc_u32 v3, v6, v7
	s_delay_alu instid0(VALU_DEP_1) | instskip(NEXT) | instid1(VALU_DEP_1)
	v_mul_hi_u32 v3, v8, v3
	v_mul_lo_u32 v6, v3, s37
	v_add_nc_u32_e32 v7, 1, v3
	s_delay_alu instid0(VALU_DEP_2) | instskip(NEXT) | instid1(VALU_DEP_1)
	v_sub_nc_u32_e32 v6, v8, v6
	v_subrev_nc_u32_e32 v9, s37, v6
	v_cmp_le_u32_e32 vcc_lo, s37, v6
	s_delay_alu instid0(VALU_DEP_2) | instskip(NEXT) | instid1(VALU_DEP_1)
	v_dual_cndmask_b32 v3, v3, v7 :: v_dual_cndmask_b32 v6, v6, v9
	v_add_nc_u32_e32 v7, 1, v3
	s_delay_alu instid0(VALU_DEP_2) | instskip(NEXT) | instid1(VALU_DEP_2)
	v_cmp_le_u32_e32 vcc_lo, s37, v6
	v_cndmask_b32_e32 v3, v3, v7, vcc_lo
	s_delay_alu instid0(VALU_DEP_1) | instskip(NEXT) | instid1(VALU_DEP_1)
	v_mul_lo_u32 v6, v3, s37
	v_sub_nc_u32_e32 v8, v8, v6
	s_delay_alu instid0(VALU_DEP_1) | instskip(NEXT) | instid1(VALU_DEP_1)
	v_mad_u64_u32 v[6:7], null, s38, v8, v[0:1]
	v_mov_b32_e32 v0, v6
	s_cbranch_scc1 .LBB74_11
.LBB74_12:                              ;   in Loop: Header=BB74_3 Depth=1
	s_set_inst_prefetch_distance 0x2
	s_delay_alu instid0(VALU_DEP_1) | instskip(NEXT) | instid1(VALU_DEP_1)
	v_mad_u64_u32 v[6:7], null, s21, v3, v[0:1]
	v_mov_b32_e32 v3, v6
.LBB74_13:                              ;   in Loop: Header=BB74_3 Depth=1
	s_or_b32 exec_lo, exec_lo, s18
	v_or_b32_e32 v8, 1, v27
	v_cmp_lt_i32_e64 s0, 1, v29
	v_mov_b32_e32 v6, 0
	s_delay_alu instid0(VALU_DEP_2)
	s_and_saveexec_b32 s1, s0
	s_cbranch_execz .LBB74_18
; %bb.14:                               ;   in Loop: Header=BB74_3 Depth=1
	v_dual_mov_b32 v0, 0 :: v_dual_mov_b32 v9, v8
	s_and_not1_b32 vcc_lo, exec_lo, s23
	s_cbranch_vccnz .LBB74_17
; %bb.15:                               ;   in Loop: Header=BB74_3 Depth=1
	v_dual_mov_b32 v0, 0 :: v_dual_mov_b32 v9, v8
	s_mov_b64 s[18:19], s[14:15]
	s_mov_b32 s37, s27
	s_set_inst_prefetch_distance 0x1
	.p2align	6
.LBB74_16:                              ;   Parent Loop BB74_3 Depth=1
                                        ; =>  This Inner Loop Header: Depth=2
	s_clause 0x1
	s_load_b32 s38, s[18:19], 0x0
	s_load_b32 s39, s[18:19], 0x64
	v_mov_b32_e32 v10, v9
	s_add_i32 s37, s37, -1
	s_waitcnt lgkmcnt(0)
	v_cvt_f32_u32_e32 v6, s38
	s_sub_i32 s40, 0, s38
	s_add_u32 s18, s18, -4
	s_addc_u32 s19, s19, -1
	s_cmp_gt_u32 s37, 2
	v_rcp_iflag_f32_e32 v6, v6
	s_waitcnt_depctr 0xfff
	v_mul_f32_e32 v6, 0x4f7ffffe, v6
	s_delay_alu instid0(VALU_DEP_1) | instskip(NEXT) | instid1(VALU_DEP_1)
	v_cvt_u32_f32_e32 v6, v6
	v_mul_lo_u32 v7, s40, v6
	s_delay_alu instid0(VALU_DEP_1) | instskip(NEXT) | instid1(VALU_DEP_1)
	v_mul_hi_u32 v7, v6, v7
	v_add_nc_u32_e32 v6, v6, v7
	s_delay_alu instid0(VALU_DEP_1) | instskip(NEXT) | instid1(VALU_DEP_1)
	v_mul_hi_u32 v6, v10, v6
	v_mul_lo_u32 v7, v6, s38
	v_add_nc_u32_e32 v9, 1, v6
	s_delay_alu instid0(VALU_DEP_2) | instskip(NEXT) | instid1(VALU_DEP_1)
	v_sub_nc_u32_e32 v7, v10, v7
	v_subrev_nc_u32_e32 v11, s38, v7
	v_cmp_le_u32_e32 vcc_lo, s38, v7
	s_delay_alu instid0(VALU_DEP_2) | instskip(NEXT) | instid1(VALU_DEP_1)
	v_dual_cndmask_b32 v7, v7, v11 :: v_dual_cndmask_b32 v6, v6, v9
	v_cmp_le_u32_e32 vcc_lo, s38, v7
	s_delay_alu instid0(VALU_DEP_2) | instskip(NEXT) | instid1(VALU_DEP_1)
	v_add_nc_u32_e32 v9, 1, v6
	v_cndmask_b32_e32 v9, v6, v9, vcc_lo
	s_delay_alu instid0(VALU_DEP_1) | instskip(NEXT) | instid1(VALU_DEP_1)
	v_mul_lo_u32 v6, v9, s38
	v_sub_nc_u32_e32 v10, v10, v6
	s_delay_alu instid0(VALU_DEP_1) | instskip(NEXT) | instid1(VALU_DEP_1)
	v_mad_u64_u32 v[6:7], null, s39, v10, v[0:1]
	v_mov_b32_e32 v0, v6
	s_cbranch_scc1 .LBB74_16
.LBB74_17:                              ;   in Loop: Header=BB74_3 Depth=1
	s_set_inst_prefetch_distance 0x2
	s_delay_alu instid0(VALU_DEP_1)
	v_mad_u64_u32 v[6:7], null, s22, v9, v[0:1]
.LBB74_18:                              ;   in Loop: Header=BB74_3 Depth=1
	s_or_b32 exec_lo, exec_lo, s1
	v_mov_b32_e32 v10, 0
	s_and_saveexec_b32 s18, s0
	s_cbranch_execz .LBB74_23
; %bb.19:                               ;   in Loop: Header=BB74_3 Depth=1
	v_mov_b32_e32 v0, 0
	s_and_not1_b32 vcc_lo, exec_lo, s24
	s_cbranch_vccnz .LBB74_22
; %bb.20:                               ;   in Loop: Header=BB74_3 Depth=1
	v_mov_b32_e32 v0, 0
	s_mov_b64 s[0:1], s[16:17]
	s_mov_b32 s19, s28
	s_set_inst_prefetch_distance 0x1
	.p2align	6
.LBB74_21:                              ;   Parent Loop BB74_3 Depth=1
                                        ; =>  This Inner Loop Header: Depth=2
	s_clause 0x1
	s_load_b32 s37, s[0:1], 0x0
	s_load_b32 s38, s[0:1], 0x64
	s_add_i32 s19, s19, -1
	v_mov_b32_e32 v10, v8
	s_waitcnt lgkmcnt(0)
	v_cvt_f32_u32_e32 v7, s37
	s_sub_i32 s39, 0, s37
	s_add_u32 s0, s0, -4
	s_addc_u32 s1, s1, -1
	s_cmp_gt_u32 s19, 2
	v_rcp_iflag_f32_e32 v7, v7
	s_waitcnt_depctr 0xfff
	v_mul_f32_e32 v7, 0x4f7ffffe, v7
	s_delay_alu instid0(VALU_DEP_1) | instskip(NEXT) | instid1(VALU_DEP_1)
	v_cvt_u32_f32_e32 v7, v7
	v_mul_lo_u32 v9, s39, v7
	s_delay_alu instid0(VALU_DEP_1) | instskip(NEXT) | instid1(VALU_DEP_1)
	v_mul_hi_u32 v9, v7, v9
	v_add_nc_u32_e32 v7, v7, v9
	s_delay_alu instid0(VALU_DEP_1) | instskip(NEXT) | instid1(VALU_DEP_1)
	v_mul_hi_u32 v7, v10, v7
	v_mul_lo_u32 v8, v7, s37
	v_add_nc_u32_e32 v9, 1, v7
	s_delay_alu instid0(VALU_DEP_2) | instskip(NEXT) | instid1(VALU_DEP_1)
	v_sub_nc_u32_e32 v8, v10, v8
	v_subrev_nc_u32_e32 v11, s37, v8
	v_cmp_le_u32_e32 vcc_lo, s37, v8
	s_delay_alu instid0(VALU_DEP_2) | instskip(NEXT) | instid1(VALU_DEP_1)
	v_dual_cndmask_b32 v8, v8, v11 :: v_dual_cndmask_b32 v7, v7, v9
	v_cmp_le_u32_e32 vcc_lo, s37, v8
	s_delay_alu instid0(VALU_DEP_2) | instskip(NEXT) | instid1(VALU_DEP_1)
	v_add_nc_u32_e32 v9, 1, v7
	v_cndmask_b32_e32 v8, v7, v9, vcc_lo
	s_delay_alu instid0(VALU_DEP_1) | instskip(NEXT) | instid1(VALU_DEP_1)
	v_mul_lo_u32 v7, v8, s37
	v_sub_nc_u32_e32 v7, v10, v7
	s_delay_alu instid0(VALU_DEP_1) | instskip(NEXT) | instid1(VALU_DEP_1)
	v_mad_u64_u32 v[9:10], null, s38, v7, v[0:1]
	v_mov_b32_e32 v0, v9
	s_cbranch_scc1 .LBB74_21
.LBB74_22:                              ;   in Loop: Header=BB74_3 Depth=1
	s_set_inst_prefetch_distance 0x2
	s_delay_alu instid0(VALU_DEP_1)
	v_mad_u64_u32 v[10:11], null, s21, v8, v[0:1]
.LBB74_23:                              ;   in Loop: Header=BB74_3 Depth=1
	s_or_b32 exec_lo, exec_lo, s18
	v_or_b32_e32 v9, 2, v27
	v_cmp_lt_i32_e64 s0, 2, v29
	v_mov_b32_e32 v7, 0
	s_delay_alu instid0(VALU_DEP_2)
	s_and_saveexec_b32 s1, s0
	s_cbranch_execz .LBB74_28
; %bb.24:                               ;   in Loop: Header=BB74_3 Depth=1
	v_dual_mov_b32 v0, 0 :: v_dual_mov_b32 v11, v9
	s_and_not1_b32 vcc_lo, exec_lo, s23
	s_cbranch_vccnz .LBB74_27
; %bb.25:                               ;   in Loop: Header=BB74_3 Depth=1
	v_dual_mov_b32 v0, 0 :: v_dual_mov_b32 v11, v9
	s_mov_b64 s[18:19], s[14:15]
	s_mov_b32 s37, s27
	s_set_inst_prefetch_distance 0x1
	.p2align	6
.LBB74_26:                              ;   Parent Loop BB74_3 Depth=1
                                        ; =>  This Inner Loop Header: Depth=2
	s_clause 0x1
	s_load_b32 s38, s[18:19], 0x0
	s_load_b32 s39, s[18:19], 0x64
	s_add_i32 s37, s37, -1
	v_mov_b32_e32 v12, v11
	s_waitcnt lgkmcnt(0)
	v_cvt_f32_u32_e32 v7, s38
	s_sub_i32 s40, 0, s38
	s_add_u32 s18, s18, -4
	s_addc_u32 s19, s19, -1
	s_cmp_gt_u32 s37, 2
	v_rcp_iflag_f32_e32 v7, v7
	s_waitcnt_depctr 0xfff
	v_mul_f32_e32 v7, 0x4f7ffffe, v7
	s_delay_alu instid0(VALU_DEP_1) | instskip(NEXT) | instid1(VALU_DEP_1)
	v_cvt_u32_f32_e32 v7, v7
	v_mul_lo_u32 v8, s40, v7
	s_delay_alu instid0(VALU_DEP_1) | instskip(NEXT) | instid1(VALU_DEP_1)
	v_mul_hi_u32 v8, v7, v8
	v_add_nc_u32_e32 v7, v7, v8
	s_delay_alu instid0(VALU_DEP_1) | instskip(NEXT) | instid1(VALU_DEP_1)
	v_mul_hi_u32 v7, v12, v7
	v_mul_lo_u32 v8, v7, s38
	v_add_nc_u32_e32 v11, 1, v7
	s_delay_alu instid0(VALU_DEP_2) | instskip(NEXT) | instid1(VALU_DEP_1)
	v_sub_nc_u32_e32 v8, v12, v8
	v_subrev_nc_u32_e32 v13, s38, v8
	v_cmp_le_u32_e32 vcc_lo, s38, v8
	s_delay_alu instid0(VALU_DEP_2) | instskip(NEXT) | instid1(VALU_DEP_1)
	v_dual_cndmask_b32 v7, v7, v11 :: v_dual_cndmask_b32 v8, v8, v13
	v_add_nc_u32_e32 v11, 1, v7
	s_delay_alu instid0(VALU_DEP_2) | instskip(NEXT) | instid1(VALU_DEP_2)
	v_cmp_le_u32_e32 vcc_lo, s38, v8
	v_cndmask_b32_e32 v11, v7, v11, vcc_lo
	s_delay_alu instid0(VALU_DEP_1) | instskip(NEXT) | instid1(VALU_DEP_1)
	v_mul_lo_u32 v7, v11, s38
	v_sub_nc_u32_e32 v12, v12, v7
	s_delay_alu instid0(VALU_DEP_1) | instskip(NEXT) | instid1(VALU_DEP_1)
	v_mad_u64_u32 v[7:8], null, s39, v12, v[0:1]
	v_mov_b32_e32 v0, v7
	s_cbranch_scc1 .LBB74_26
.LBB74_27:                              ;   in Loop: Header=BB74_3 Depth=1
	s_set_inst_prefetch_distance 0x2
	s_delay_alu instid0(VALU_DEP_1)
	v_mad_u64_u32 v[7:8], null, s22, v11, v[0:1]
.LBB74_28:                              ;   in Loop: Header=BB74_3 Depth=1
	s_or_b32 exec_lo, exec_lo, s1
	v_mov_b32_e32 v12, 0
	v_mov_b32_e32 v13, 0
	s_and_saveexec_b32 s18, s0
	s_cbranch_execz .LBB74_33
; %bb.29:                               ;   in Loop: Header=BB74_3 Depth=1
	v_mov_b32_e32 v0, 0
	s_and_not1_b32 vcc_lo, exec_lo, s24
	s_cbranch_vccnz .LBB74_32
; %bb.30:                               ;   in Loop: Header=BB74_3 Depth=1
	v_mov_b32_e32 v0, 0
	s_mov_b64 s[0:1], s[16:17]
	s_mov_b32 s19, s28
	s_set_inst_prefetch_distance 0x1
	.p2align	6
.LBB74_31:                              ;   Parent Loop BB74_3 Depth=1
                                        ; =>  This Inner Loop Header: Depth=2
	s_clause 0x1
	s_load_b32 s37, s[0:1], 0x0
	s_load_b32 s38, s[0:1], 0x64
	v_mov_b32_e32 v12, v9
	s_add_i32 s19, s19, -1
	s_waitcnt lgkmcnt(0)
	v_cvt_f32_u32_e32 v8, s37
	s_sub_i32 s39, 0, s37
	s_add_u32 s0, s0, -4
	s_addc_u32 s1, s1, -1
	s_cmp_gt_u32 s19, 2
	v_rcp_iflag_f32_e32 v8, v8
	s_waitcnt_depctr 0xfff
	v_mul_f32_e32 v8, 0x4f7ffffe, v8
	s_delay_alu instid0(VALU_DEP_1) | instskip(NEXT) | instid1(VALU_DEP_1)
	v_cvt_u32_f32_e32 v8, v8
	v_mul_lo_u32 v11, s39, v8
	s_delay_alu instid0(VALU_DEP_1) | instskip(NEXT) | instid1(VALU_DEP_1)
	v_mul_hi_u32 v11, v8, v11
	v_add_nc_u32_e32 v8, v8, v11
	s_delay_alu instid0(VALU_DEP_1) | instskip(NEXT) | instid1(VALU_DEP_1)
	v_mul_hi_u32 v8, v12, v8
	v_mul_lo_u32 v9, v8, s37
	v_add_nc_u32_e32 v11, 1, v8
	s_delay_alu instid0(VALU_DEP_2) | instskip(NEXT) | instid1(VALU_DEP_1)
	v_sub_nc_u32_e32 v9, v12, v9
	v_subrev_nc_u32_e32 v13, s37, v9
	v_cmp_le_u32_e32 vcc_lo, s37, v9
	s_delay_alu instid0(VALU_DEP_2) | instskip(NEXT) | instid1(VALU_DEP_1)
	v_dual_cndmask_b32 v9, v9, v13 :: v_dual_cndmask_b32 v8, v8, v11
	v_cmp_le_u32_e32 vcc_lo, s37, v9
	s_delay_alu instid0(VALU_DEP_2) | instskip(NEXT) | instid1(VALU_DEP_1)
	v_add_nc_u32_e32 v11, 1, v8
	v_cndmask_b32_e32 v9, v8, v11, vcc_lo
	s_delay_alu instid0(VALU_DEP_1) | instskip(NEXT) | instid1(VALU_DEP_1)
	v_mul_lo_u32 v8, v9, s37
	v_sub_nc_u32_e32 v8, v12, v8
	s_delay_alu instid0(VALU_DEP_1) | instskip(NEXT) | instid1(VALU_DEP_1)
	v_mad_u64_u32 v[11:12], null, s38, v8, v[0:1]
	v_mov_b32_e32 v0, v11
	s_cbranch_scc1 .LBB74_31
.LBB74_32:                              ;   in Loop: Header=BB74_3 Depth=1
	s_set_inst_prefetch_distance 0x2
	s_delay_alu instid0(VALU_DEP_1)
	v_mad_u64_u32 v[12:13], null, s21, v9, v[0:1]
	v_mov_b32_e32 v13, v4
.LBB74_33:                              ;   in Loop: Header=BB74_3 Depth=1
	s_or_b32 exec_lo, exec_lo, s18
	v_mov_b32_e32 v8, 0
	v_or_b32_e32 v11, 3, v27
	v_mov_b32_e32 v9, 0
	v_cmp_lt_i32_e64 s0, 3, v29
	s_delay_alu instid0(VALU_DEP_1)
	s_and_saveexec_b32 s1, s0
	s_cbranch_execz .LBB74_38
; %bb.34:                               ;   in Loop: Header=BB74_3 Depth=1
	v_mov_b32_e32 v0, 0
	v_mov_b32_e32 v14, v11
	s_and_not1_b32 vcc_lo, exec_lo, s23
	s_cbranch_vccnz .LBB74_37
; %bb.35:                               ;   in Loop: Header=BB74_3 Depth=1
	v_mov_b32_e32 v0, 0
	v_mov_b32_e32 v14, v11
	s_mov_b64 s[18:19], s[14:15]
	s_mov_b32 s37, s27
	s_set_inst_prefetch_distance 0x1
	.p2align	6
.LBB74_36:                              ;   Parent Loop BB74_3 Depth=1
                                        ; =>  This Inner Loop Header: Depth=2
	s_clause 0x1
	s_load_b32 s38, s[18:19], 0x0
	s_load_b32 s39, s[18:19], 0x64
	s_add_i32 s37, s37, -1
	v_mov_b32_e32 v15, v14
	s_waitcnt lgkmcnt(0)
	v_cvt_f32_u32_e32 v8, s38
	s_sub_i32 s40, 0, s38
	s_add_u32 s18, s18, -4
	s_addc_u32 s19, s19, -1
	s_cmp_gt_u32 s37, 2
	v_rcp_iflag_f32_e32 v8, v8
	s_waitcnt_depctr 0xfff
	v_mul_f32_e32 v8, 0x4f7ffffe, v8
	s_delay_alu instid0(VALU_DEP_1) | instskip(NEXT) | instid1(VALU_DEP_1)
	v_cvt_u32_f32_e32 v8, v8
	v_mul_lo_u32 v9, s40, v8
	s_delay_alu instid0(VALU_DEP_1) | instskip(NEXT) | instid1(VALU_DEP_1)
	v_mul_hi_u32 v9, v8, v9
	v_add_nc_u32_e32 v8, v8, v9
	s_delay_alu instid0(VALU_DEP_1) | instskip(NEXT) | instid1(VALU_DEP_1)
	v_mul_hi_u32 v8, v15, v8
	v_mul_lo_u32 v9, v8, s38
	v_add_nc_u32_e32 v14, 1, v8
	s_delay_alu instid0(VALU_DEP_2) | instskip(NEXT) | instid1(VALU_DEP_1)
	v_sub_nc_u32_e32 v9, v15, v9
	v_subrev_nc_u32_e32 v16, s38, v9
	v_cmp_le_u32_e32 vcc_lo, s38, v9
	s_delay_alu instid0(VALU_DEP_2) | instskip(NEXT) | instid1(VALU_DEP_1)
	v_dual_cndmask_b32 v9, v9, v16 :: v_dual_cndmask_b32 v8, v8, v14
	v_cmp_le_u32_e32 vcc_lo, s38, v9
	s_delay_alu instid0(VALU_DEP_2) | instskip(NEXT) | instid1(VALU_DEP_1)
	v_add_nc_u32_e32 v14, 1, v8
	v_cndmask_b32_e32 v14, v8, v14, vcc_lo
	s_delay_alu instid0(VALU_DEP_1) | instskip(NEXT) | instid1(VALU_DEP_1)
	v_mul_lo_u32 v8, v14, s38
	v_sub_nc_u32_e32 v15, v15, v8
	s_delay_alu instid0(VALU_DEP_1) | instskip(NEXT) | instid1(VALU_DEP_1)
	v_mad_u64_u32 v[8:9], null, s39, v15, v[0:1]
	v_mov_b32_e32 v0, v8
	s_cbranch_scc1 .LBB74_36
.LBB74_37:                              ;   in Loop: Header=BB74_3 Depth=1
	s_set_inst_prefetch_distance 0x2
	s_delay_alu instid0(VALU_DEP_1)
	v_mad_u64_u32 v[8:9], null, s22, v14, v[0:1]
	v_mov_b32_e32 v9, v4
.LBB74_38:                              ;   in Loop: Header=BB74_3 Depth=1
	s_or_b32 exec_lo, exec_lo, s1
	v_mov_b32_e32 v14, 0
	v_mov_b32_e32 v15, 0
	s_and_saveexec_b32 s18, s0
	s_cbranch_execz .LBB74_43
; %bb.39:                               ;   in Loop: Header=BB74_3 Depth=1
	v_mov_b32_e32 v0, 0
	s_and_not1_b32 vcc_lo, exec_lo, s24
	s_cbranch_vccnz .LBB74_42
; %bb.40:                               ;   in Loop: Header=BB74_3 Depth=1
	v_mov_b32_e32 v0, 0
	s_mov_b64 s[0:1], s[16:17]
	s_mov_b32 s19, s28
	s_set_inst_prefetch_distance 0x1
	.p2align	6
.LBB74_41:                              ;   Parent Loop BB74_3 Depth=1
                                        ; =>  This Inner Loop Header: Depth=2
	s_clause 0x1
	s_load_b32 s37, s[0:1], 0x0
	s_load_b32 s38, s[0:1], 0x64
	s_add_i32 s19, s19, -1
	s_waitcnt lgkmcnt(0)
	v_cvt_f32_u32_e32 v14, s37
	s_sub_i32 s39, 0, s37
	s_add_u32 s0, s0, -4
	s_addc_u32 s1, s1, -1
	s_cmp_gt_u32 s19, 2
	v_rcp_iflag_f32_e32 v14, v14
	s_waitcnt_depctr 0xfff
	v_mul_f32_e32 v14, 0x4f7ffffe, v14
	s_delay_alu instid0(VALU_DEP_1) | instskip(NEXT) | instid1(VALU_DEP_1)
	v_cvt_u32_f32_e32 v14, v14
	v_mul_lo_u32 v15, s39, v14
	s_delay_alu instid0(VALU_DEP_1) | instskip(NEXT) | instid1(VALU_DEP_1)
	v_mul_hi_u32 v15, v14, v15
	v_dual_mov_b32 v16, v11 :: v_dual_add_nc_u32 v11, v14, v15
	s_delay_alu instid0(VALU_DEP_1) | instskip(NEXT) | instid1(VALU_DEP_1)
	v_mul_hi_u32 v11, v16, v11
	v_mul_lo_u32 v14, v11, s37
	v_add_nc_u32_e32 v15, 1, v11
	s_delay_alu instid0(VALU_DEP_2) | instskip(NEXT) | instid1(VALU_DEP_1)
	v_sub_nc_u32_e32 v14, v16, v14
	v_subrev_nc_u32_e32 v17, s37, v14
	v_cmp_le_u32_e32 vcc_lo, s37, v14
	s_delay_alu instid0(VALU_DEP_2) | instskip(NEXT) | instid1(VALU_DEP_1)
	v_dual_cndmask_b32 v11, v11, v15 :: v_dual_cndmask_b32 v14, v14, v17
	v_add_nc_u32_e32 v15, 1, v11
	s_delay_alu instid0(VALU_DEP_2) | instskip(NEXT) | instid1(VALU_DEP_2)
	v_cmp_le_u32_e32 vcc_lo, s37, v14
	v_cndmask_b32_e32 v11, v11, v15, vcc_lo
	s_delay_alu instid0(VALU_DEP_1) | instskip(NEXT) | instid1(VALU_DEP_1)
	v_mul_lo_u32 v14, v11, s37
	v_sub_nc_u32_e32 v16, v16, v14
	s_delay_alu instid0(VALU_DEP_1) | instskip(NEXT) | instid1(VALU_DEP_1)
	v_mad_u64_u32 v[14:15], null, s38, v16, v[0:1]
	v_mov_b32_e32 v0, v14
	s_cbranch_scc1 .LBB74_41
.LBB74_42:                              ;   in Loop: Header=BB74_3 Depth=1
	s_set_inst_prefetch_distance 0x2
	s_delay_alu instid0(VALU_DEP_1)
	v_mad_u64_u32 v[14:15], null, s21, v11, v[0:1]
	v_mov_b32_e32 v15, v4
.LBB74_43:                              ;   in Loop: Header=BB74_3 Depth=1
	s_or_b32 exec_lo, exec_lo, s18
	v_mov_b32_e32 v11, v4
	v_lshlrev_b64 v[16:17], 2, v[3:4]
	v_lshlrev_b64 v[12:13], 2, v[12:13]
	;; [unrolled: 1-line block ×3, first 2 shown]
	s_delay_alu instid0(VALU_DEP_4) | instskip(NEXT) | instid1(VALU_DEP_4)
	v_lshlrev_b64 v[10:11], 2, v[10:11]
	v_add_co_u32 v16, vcc_lo, s8, v16
	v_add_co_ci_u32_e32 v17, vcc_lo, s9, v17, vcc_lo
	s_delay_alu instid0(VALU_DEP_3) | instskip(NEXT) | instid1(VALU_DEP_4)
	v_add_co_u32 v10, vcc_lo, s8, v10
	v_add_co_ci_u32_e32 v11, vcc_lo, s9, v11, vcc_lo
	v_add_co_u32 v12, vcc_lo, s8, v12
	v_add_co_ci_u32_e32 v13, vcc_lo, s9, v13, vcc_lo
	;; [unrolled: 2-line block ×3, first 2 shown]
	s_clause 0x3
	global_load_b32 v0, v[16:17], off
	global_load_b32 v3, v[10:11], off
	;; [unrolled: 1-line block ×4, first 2 shown]
	v_mov_b32_e32 v15, s7
	v_dual_mov_b32 v17, s5 :: v_dual_mov_b32 v16, s4
	v_mov_b32_e32 v14, s6
	s_and_not1_b32 vcc_lo, exec_lo, s25
	s_cbranch_vccnz .LBB74_45
; %bb.44:                               ;   in Loop: Header=BB74_3 Depth=1
	v_dual_mov_b32 v11, s7 :: v_dual_mov_b32 v10, s6
	v_dual_mov_b32 v13, s5 :: v_dual_mov_b32 v12, s4
	flat_load_b64 v[10:11], v[10:11]
	flat_load_b64 v[16:17], v[12:13]
	s_waitcnt vmcnt(1) lgkmcnt(1)
	v_add_co_u32 v14, vcc_lo, v10, s2
	v_add_co_ci_u32_e32 v15, vcc_lo, s3, v11, vcc_lo
.LBB74_45:                              ;   in Loop: Header=BB74_3 Depth=1
	s_delay_alu instid0(VALU_DEP_1)
	v_alignbit_b32 v13, v15, v14, 2
	v_lshrrev_b32_e32 v12, 2, v15
	s_waitcnt vmcnt(0) lgkmcnt(0)
	v_add_nc_u32_e32 v32, 0x9e3779b9, v16
	v_add_nc_u32_e32 v34, 0x76cf5d0a, v17
	v_add_nc_u32_e32 v35, 0xdaa66d2b, v16
	v_add_co_u32 v15, vcc_lo, v13, 1
	s_delay_alu instid0(VALU_DEP_1) | instskip(SKIP_4) | instid1(VALU_DEP_4)
	v_cndmask_b32_e64 v10, 0, 1, vcc_lo
	v_add_co_ci_u32_e32 v24, vcc_lo, 0, v12, vcc_lo
	v_xor3_b32 v20, v28, v16, v12
	v_add_nc_u32_e32 v36, 0x32370b8f, v17
	v_add_nc_u32_e32 v37, 0xed9eba14, v17
	v_cmp_eq_u32_e32 vcc_lo, 0, v24
	v_add_nc_u32_e32 v38, 0x1715609d, v16
	v_add_nc_u32_e32 v39, 0xa9066899, v17
	s_mov_b32 s0, exec_lo
	v_dual_cndmask_b32 v18, 0, v10 :: v_dual_add_nc_u32 v33, 0xbb67ae85, v17
	v_mad_u64_u32 v[10:11], null, 0xd2511f53, v15, 0
	s_delay_alu instid0(VALU_DEP_2) | instskip(NEXT) | instid1(VALU_DEP_2)
	v_add_nc_u32_e32 v15, v18, v1
	v_xor_b32_e32 v19, v11, v17
	s_delay_alu instid0(VALU_DEP_2) | instskip(SKIP_2) | instid1(VALU_DEP_1)
	v_cmp_eq_u32_e32 vcc_lo, 0, v15
	v_mad_u64_u32 v[11:12], null, 0xd2511f53, v13, 0
	v_cndmask_b32_e32 v18, 0, v18, vcc_lo
	v_xor_b32_e32 v13, v18, v19
	v_mad_u64_u32 v[18:19], null, 0xd2511f53, v20, 0
	v_mad_u64_u32 v[20:21], null, 0xcd9e8d57, v15, 0
	s_delay_alu instid0(VALU_DEP_3) | instskip(SKIP_3) | instid1(VALU_DEP_3)
	v_mad_u64_u32 v[22:23], null, 0xcd9e8d57, v13, 0
	v_xor_b32_e32 v13, v12, v17
	v_add_nc_u32_e32 v15, 0x3c6ef372, v16
	v_xor3_b32 v25, v33, v19, v11
	v_mad_u64_u32 v[11:12], null, 0xcd9e8d57, v13, 0
	v_xor3_b32 v13, v21, v16, v24
	v_xor3_b32 v21, v32, v23, v20
	s_delay_alu instid0(VALU_DEP_4) | instskip(NEXT) | instid1(VALU_DEP_3)
	v_mad_u64_u32 v[19:20], null, 0xcd9e8d57, v25, 0
	v_mad_u64_u32 v[23:24], null, 0xd2511f53, v13, 0
	s_delay_alu instid0(VALU_DEP_3) | instskip(SKIP_1) | instid1(VALU_DEP_4)
	v_mad_u64_u32 v[25:26], null, 0xd2511f53, v21, 0
	v_xor3_b32 v13, v2, v12, v32
	v_xor3_b32 v32, v15, v20, v11
	s_delay_alu instid0(VALU_DEP_4) | instskip(NEXT) | instid1(VALU_DEP_3)
	v_xor3_b32 v10, v33, v24, v10
	v_mad_u64_u32 v[11:12], null, 0xd2511f53, v13, 0
	v_xor3_b32 v13, v34, v26, v23
	s_delay_alu instid0(VALU_DEP_4) | instskip(NEXT) | instid1(VALU_DEP_4)
	v_mad_u64_u32 v[20:21], null, 0xd2511f53, v32, 0
	v_mad_u64_u32 v[23:24], null, 0xcd9e8d57, v10, 0
	s_delay_alu instid0(VALU_DEP_3) | instskip(SKIP_4) | instid1(VALU_DEP_4)
	v_mad_u64_u32 v[32:33], null, 0xcd9e8d57, v13, 0
	v_xor3_b32 v12, v34, v12, v18
	v_add_nc_u32_e32 v26, 0x78dde6e4, v16
	v_xor3_b32 v18, v36, v21, v11
	v_xor3_b32 v15, v15, v24, v22
	v_mad_u64_u32 v[10:11], null, 0xcd9e8d57, v12, 0
	v_xor3_b32 v33, v35, v33, v23
	s_delay_alu instid0(VALU_DEP_4) | instskip(NEXT) | instid1(VALU_DEP_4)
	v_mad_u64_u32 v[12:13], null, 0xcd9e8d57, v18, 0
	v_mad_u64_u32 v[21:22], null, 0xd2511f53, v15, 0
	s_delay_alu instid0(VALU_DEP_3) | instskip(SKIP_1) | instid1(VALU_DEP_4)
	v_mad_u64_u32 v[23:24], null, 0xd2511f53, v33, 0
	v_xor3_b32 v15, v35, v11, v19
	v_xor3_b32 v13, v26, v13, v10
	s_delay_alu instid0(VALU_DEP_2) | instskip(SKIP_2) | instid1(VALU_DEP_4)
	v_mad_u64_u32 v[10:11], null, 0xd2511f53, v15, 0
	v_xor3_b32 v15, v36, v22, v25
	v_xor3_b32 v21, v37, v24, v21
	v_mad_u64_u32 v[24:25], null, 0xd2511f53, v13, 0
	s_delay_alu instid0(VALU_DEP_3) | instskip(NEXT) | instid1(VALU_DEP_3)
	v_mad_u64_u32 v[18:19], null, 0xcd9e8d57, v15, 0
	v_mad_u64_u32 v[33:34], null, 0xcd9e8d57, v21, 0
	v_xor3_b32 v13, v37, v11, v20
	s_delay_alu instid0(VALU_DEP_4) | instskip(SKIP_2) | instid1(VALU_DEP_4)
	v_xor3_b32 v21, v39, v25, v10
	v_add_nc_u32_e32 v15, 0xb54cda56, v16
	v_add_nc_u32_e32 v20, 0x646e171e, v17
	v_mad_u64_u32 v[10:11], null, 0xcd9e8d57, v13, 0
	v_xor3_b32 v13, v26, v19, v32
	v_xor3_b32 v22, v38, v34, v18
	v_mad_u64_u32 v[34:35], null, 0xcd9e8d57, v21, 0
	v_add_nc_u32_e32 v26, 0x5384540f, v16
	s_delay_alu instid0(VALU_DEP_4) | instskip(NEXT) | instid1(VALU_DEP_4)
	v_mad_u64_u32 v[18:19], null, 0xd2511f53, v13, 0
	v_mad_u64_u32 v[36:37], null, 0xd2511f53, v22, 0
	v_xor3_b32 v12, v38, v11, v12
	v_xor3_b32 v13, v15, v35, v10
	v_add_nc_u32_e32 v38, 0x1fd5c5a3, v17
	v_add_co_u32 v32, null, 0xf1bbcdc8, v16
	v_xor3_b32 v21, v39, v19, v23
	v_xor3_b32 v23, v20, v37, v18
	v_mad_u64_u32 v[10:11], null, 0xd2511f53, v12, 0
	v_mad_u64_u32 v[18:19], null, 0xd2511f53, v13, 0
	s_delay_alu instid0(VALU_DEP_4) | instskip(NEXT) | instid1(VALU_DEP_4)
	v_mad_u64_u32 v[12:13], null, 0xcd9e8d57, v21, 0
	v_mad_u64_u32 v[21:22], null, 0xcd9e8d57, v23, 0
	s_delay_alu instid0(VALU_DEP_4) | instskip(NEXT) | instid1(VALU_DEP_4)
	v_xor3_b32 v20, v20, v11, v24
	v_xor3_b32 v23, v38, v19, v10
	s_delay_alu instid0(VALU_DEP_4) | instskip(NEXT) | instid1(VALU_DEP_3)
	v_xor3_b32 v15, v15, v13, v33
	v_mad_u64_u32 v[10:11], null, 0xcd9e8d57, v20, 0
	v_xor3_b32 v22, v26, v22, v12
	s_delay_alu instid0(VALU_DEP_4) | instskip(NEXT) | instid1(VALU_DEP_4)
	v_mad_u64_u32 v[19:20], null, 0xcd9e8d57, v23, 0
	v_mad_u64_u32 v[12:13], null, 0xd2511f53, v15, 0
	s_delay_alu instid0(VALU_DEP_3)
	v_mad_u64_u32 v[24:25], null, 0xd2511f53, v22, 0
	v_add_nc_u32_e32 v33, 0xdb3d7428, v17
	v_xor3_b32 v11, v26, v11, v34
	v_xor3_b32 v15, v32, v20, v10
	v_add_nc_u32_e32 v34, 0x96a522ad, v17
	v_xor3_b32 v13, v38, v13, v36
	v_and_b32_e32 v17, 3, v14
	v_xor3_b32 v20, v33, v25, v12
	v_mad_u64_u32 v[22:23], null, 0xd2511f53, v11, 0
	v_mad_u64_u32 v[10:11], null, 0xd2511f53, v15, 0
	v_mad_u64_u32 v[25:26], null, 0xcd9e8d57, v13, 0
	s_delay_alu instid0(VALU_DEP_4) | instskip(SKIP_1) | instid1(VALU_DEP_4)
	v_mad_u64_u32 v[12:13], null, 0xcd9e8d57, v20, 0
	v_add_nc_u32_e32 v20, 0x8ff34781, v16
                                        ; implicit-def: $vgpr15
	v_xor3_b32 v16, v11, v22, v34
	s_delay_alu instid0(VALU_DEP_2)
	v_xor3_b32 v11, v13, v25, v20
	v_cmpx_lt_i32_e32 1, v17
	s_xor_b32 s0, exec_lo, s0
	s_cbranch_execz .LBB74_51
; %bb.46:                               ;   in Loop: Header=BB74_3 Depth=1
	s_mov_b32 s1, exec_lo
                                        ; implicit-def: $vgpr15
	v_cmpx_lt_i32_e32 2, v17
	s_xor_b32 s1, exec_lo, s1
; %bb.47:                               ;   in Loop: Header=BB74_3 Depth=1
	v_xor3_b32 v13, v32, v26, v21
                                        ; implicit-def: $vgpr16
	s_delay_alu instid0(VALU_DEP_1) | instskip(NEXT) | instid1(VALU_DEP_1)
	v_mul_hi_u32 v13, 0xd2511f53, v13
	v_xor3_b32 v15, v13, v24, v34
; %bb.48:                               ;   in Loop: Header=BB74_3 Depth=1
	s_and_not1_saveexec_b32 s1, s1
; %bb.49:                               ;   in Loop: Header=BB74_3 Depth=1
	v_dual_mov_b32 v15, v12 :: v_dual_mov_b32 v12, v11
	v_dual_mov_b32 v11, v10 :: v_dual_mov_b32 v10, v16
; %bb.50:                               ;   in Loop: Header=BB74_3 Depth=1
	s_or_b32 exec_lo, exec_lo, s1
                                        ; implicit-def: $vgpr18_vgpr19
                                        ; implicit-def: $vgpr17
                                        ; implicit-def: $vgpr16
                                        ; implicit-def: $vgpr33
                                        ; implicit-def: $vgpr22_vgpr23
                                        ; implicit-def: $vgpr19_vgpr20
                                        ; implicit-def: $vgpr20
.LBB74_51:                              ;   in Loop: Header=BB74_3 Depth=1
	s_and_not1_saveexec_b32 s0, s0
	s_cbranch_execz .LBB74_55
; %bb.52:                               ;   in Loop: Header=BB74_3 Depth=1
	v_xor3_b32 v12, v33, v23, v18
	v_cmp_eq_u32_e32 vcc_lo, 1, v17
	v_mov_b32_e32 v15, v10
	s_delay_alu instid0(VALU_DEP_3) | instskip(SKIP_1) | instid1(VALU_DEP_2)
	v_mad_u64_u32 v[13:14], null, 0xcd9e8d57, v12, 0
	v_mov_b32_e32 v12, v16
	v_xor3_b32 v17, v14, v19, v20
	s_delay_alu instid0(VALU_DEP_3)
	v_mov_b32_e32 v14, v13
	s_and_saveexec_b32 s1, vcc_lo
; %bb.53:                               ;   in Loop: Header=BB74_3 Depth=1
	v_dual_mov_b32 v15, v11 :: v_dual_mov_b32 v12, v10
	v_dual_mov_b32 v14, v16 :: v_dual_mov_b32 v17, v13
; %bb.54:                               ;   in Loop: Header=BB74_3 Depth=1
	s_or_b32 exec_lo, exec_lo, s1
	s_delay_alu instid0(VALU_DEP_1)
	v_dual_mov_b32 v10, v17 :: v_dual_mov_b32 v11, v14
.LBB74_55:                              ;   in Loop: Header=BB74_3 Depth=1
	s_or_b32 exec_lo, exec_lo, s0
	v_min_i32_e32 v13, 4, v29
	s_mov_b32 s1, 0
	s_mov_b32 s40, 0
	;; [unrolled: 1-line block ×3, first 2 shown]
                                        ; implicit-def: $sgpr19
                                        ; implicit-def: $sgpr37
                                        ; implicit-def: $sgpr38
	s_mov_b32 s0, exec_lo
	v_cmpx_lt_i32_e32 2, v13
	s_xor_b32 s39, exec_lo, s0
	s_cbranch_execz .LBB74_67
; %bb.56:                               ;   in Loop: Header=BB74_3 Depth=1
	s_mov_b32 s0, -1
	s_mov_b32 s41, 0
	s_mov_b32 s37, exec_lo
                                        ; implicit-def: $sgpr18
                                        ; implicit-def: $sgpr19
	v_cmpx_lt_i32_e32 3, v13
	s_cbranch_execz .LBB74_62
; %bb.57:                               ;   in Loop: Header=BB74_3 Depth=1
	s_mov_b32 s0, 0
	s_mov_b32 s41, -1
	s_mov_b32 s38, exec_lo
                                        ; implicit-def: $sgpr18
                                        ; implicit-def: $sgpr19
	v_cmpx_eq_u32_e32 4, v13
	s_cbranch_execz .LBB74_61
; %bb.58:                               ;   in Loop: Header=BB74_3 Depth=1
	v_cmp_le_f32_e32 vcc_lo, 0, v31
	v_cmp_ge_f32_e64 s0, 1.0, v31
	s_mov_b32 s18, 0
	s_delay_alu instid0(VALU_DEP_1)
	s_and_b32 s41, vcc_lo, s0
	s_mov_b32 s0, 0
	s_and_saveexec_b32 s19, s41
	s_cbranch_execz .LBB74_60
; %bb.59:                               ;   in Loop: Header=BB74_3 Depth=1
	v_cvt_f32_u32_e32 v14, v15
	v_lshlrev_b64 v[8:9], 3, v[8:9]
	s_mov_b32 s0, exec_lo
	s_delay_alu instid0(VALU_DEP_2) | instskip(NEXT) | instid1(VALU_DEP_2)
	v_fmaak_f32 v14, 0x2f800000, v14, 0x2f800000
	v_add_co_u32 v8, vcc_lo, s10, v8
	s_delay_alu instid0(VALU_DEP_3) | instskip(NEXT) | instid1(VALU_DEP_3)
	v_add_co_ci_u32_e32 v9, vcc_lo, s11, v9, vcc_lo
	v_cmp_le_f32_e32 vcc_lo, v14, v31
	v_mov_b32_e32 v14, v4
	v_cndmask_b32_e64 v15, 0, 0x3ff00000, vcc_lo
	global_store_b64 v[8:9], v[14:15], off
.LBB74_60:                              ;   in Loop: Header=BB74_3 Depth=1
	s_or_b32 exec_lo, exec_lo, s19
	s_mov_b32 s19, -1
	s_xor_b32 s41, exec_lo, -1
	s_and_b32 s0, s0, exec_lo
.LBB74_61:                              ;   in Loop: Header=BB74_3 Depth=1
	s_or_b32 exec_lo, exec_lo, s38
	s_delay_alu instid0(SALU_CYCLE_1)
	s_and_b32 s41, s41, exec_lo
	s_or_not1_b32 s0, s0, exec_lo
.LBB74_62:                              ;   in Loop: Header=BB74_3 Depth=1
	s_or_b32 exec_lo, exec_lo, s37
	s_mov_b32 s38, s18
	s_and_saveexec_b32 s37, s0
	s_cbranch_execz .LBB74_66
; %bb.63:                               ;   in Loop: Header=BB74_3 Depth=1
	v_cmp_le_f32_e32 vcc_lo, 0, v30
	v_cmp_ge_f32_e64 s0, 1.0, v30
	s_delay_alu instid0(VALU_DEP_1) | instskip(SKIP_2) | instid1(SALU_CYCLE_1)
	s_and_b32 s38, vcc_lo, s0
	s_mov_b32 s0, 0
	s_and_saveexec_b32 s40, s38
	s_xor_b32 s38, exec_lo, s40
	s_cbranch_execz .LBB74_65
; %bb.64:                               ;   in Loop: Header=BB74_3 Depth=1
	v_cvt_f32_u32_e32 v9, v12
	v_mov_b32_e32 v8, v4
	s_mov_b32 s0, exec_lo
	s_delay_alu instid0(VALU_DEP_2) | instskip(NEXT) | instid1(VALU_DEP_2)
	v_fmaak_f32 v9, 0x2f800000, v9, 0x2f800000
	v_lshlrev_b64 v[7:8], 3, v[7:8]
	s_delay_alu instid0(VALU_DEP_2) | instskip(SKIP_1) | instid1(VALU_DEP_3)
	v_cmp_le_f32_e32 vcc_lo, v9, v30
	v_cndmask_b32_e64 v9, 0, 0x3ff00000, vcc_lo
	v_add_co_u32 v14, vcc_lo, s10, v7
	s_delay_alu instid0(VALU_DEP_4)
	v_add_co_ci_u32_e32 v15, vcc_lo, s11, v8, vcc_lo
	v_mov_b32_e32 v8, v4
	global_store_b64 v[14:15], v[8:9], off
.LBB74_65:                              ;   in Loop: Header=BB74_3 Depth=1
	s_or_b32 exec_lo, exec_lo, s38
	s_delay_alu instid0(SALU_CYCLE_1)
	s_and_not1_b32 s38, s18, exec_lo
	s_or_b32 s18, s18, exec_lo
	s_and_not1_b32 s19, s19, exec_lo
	s_and_b32 s40, s0, exec_lo
.LBB74_66:                              ;   in Loop: Header=BB74_3 Depth=1
	s_or_b32 exec_lo, exec_lo, s37
	s_delay_alu instid0(SALU_CYCLE_1)
	s_and_b32 s38, s38, exec_lo
	s_and_b32 s37, s18, exec_lo
	;; [unrolled: 1-line block ×5, first 2 shown]
.LBB74_67:                              ;   in Loop: Header=BB74_3 Depth=1
	s_and_not1_saveexec_b32 s0, s39
; %bb.68:                               ;   in Loop: Header=BB74_3 Depth=1
	v_cmp_lt_i32_e32 vcc_lo, 1, v13
	s_and_not1_b32 s39, s40, exec_lo
	s_mov_b32 s1, exec_lo
	s_and_not1_b32 s38, s38, exec_lo
	s_and_not1_b32 s37, s37, exec_lo
	s_and_b32 s40, vcc_lo, exec_lo
	s_and_not1_b32 s19, s19, exec_lo
	s_or_b32 s40, s39, s40
; %bb.69:                               ;   in Loop: Header=BB74_3 Depth=1
	s_or_b32 exec_lo, exec_lo, s0
	s_mov_b32 s0, 0
	s_mov_b32 s39, s38
	s_and_saveexec_b32 s41, s40
	s_cbranch_execnz .LBB74_72
; %bb.70:                               ;   in Loop: Header=BB74_3 Depth=1
	s_or_b32 exec_lo, exec_lo, s41
	s_and_saveexec_b32 s40, s1
	s_cbranch_execnz .LBB74_75
.LBB74_71:                              ;   in Loop: Header=BB74_3 Depth=1
	s_or_b32 exec_lo, exec_lo, s40
	s_and_saveexec_b32 s1, s0
	s_cbranch_execnz .LBB74_76
	s_branch .LBB74_79
.LBB74_72:                              ;   in Loop: Header=BB74_3 Depth=1
	v_cmp_le_f32_e32 vcc_lo, 0, v3
	v_cmp_ge_f32_e64 s0, 1.0, v3
	s_delay_alu instid0(VALU_DEP_1) | instskip(SKIP_2) | instid1(SALU_CYCLE_1)
	s_and_b32 s39, vcc_lo, s0
	s_mov_b32 s0, 0
	s_and_saveexec_b32 s40, s39
	s_xor_b32 s39, exec_lo, s40
	s_cbranch_execz .LBB74_74
; %bb.73:                               ;   in Loop: Header=BB74_3 Depth=1
	v_cvt_f32_u32_e32 v8, v11
	v_mov_b32_e32 v7, v4
	s_mov_b32 s0, exec_lo
	s_delay_alu instid0(VALU_DEP_2) | instskip(NEXT) | instid1(VALU_DEP_2)
	v_fmaak_f32 v8, 0x2f800000, v8, 0x2f800000
	v_lshlrev_b64 v[6:7], 3, v[6:7]
	s_delay_alu instid0(VALU_DEP_2) | instskip(SKIP_1) | instid1(VALU_DEP_3)
	v_cmp_le_f32_e32 vcc_lo, v8, v3
	v_cndmask_b32_e64 v8, 0, 0x3ff00000, vcc_lo
	v_add_co_u32 v11, vcc_lo, s10, v6
	s_delay_alu instid0(VALU_DEP_4)
	v_add_co_ci_u32_e32 v12, vcc_lo, s11, v7, vcc_lo
	v_mov_b32_e32 v7, v4
	global_store_b64 v[11:12], v[7:8], off
.LBB74_74:                              ;   in Loop: Header=BB74_3 Depth=1
	s_or_b32 exec_lo, exec_lo, s39
	s_delay_alu instid0(SALU_CYCLE_1)
	s_and_not1_b32 s39, s38, exec_lo
	s_or_b32 s38, s38, exec_lo
	s_and_not1_b32 s37, s37, exec_lo
	s_and_not1_b32 s19, s19, exec_lo
	s_and_b32 s0, s0, exec_lo
	s_and_not1_b32 s1, s1, exec_lo
	s_or_b32 exec_lo, exec_lo, s41
	s_and_saveexec_b32 s40, s1
	s_cbranch_execz .LBB74_71
.LBB74_75:                              ;   in Loop: Header=BB74_3 Depth=1
	v_cmp_eq_u32_e32 vcc_lo, 1, v13
	s_and_not1_b32 s0, s0, exec_lo
	s_and_not1_b32 s39, s39, exec_lo
	;; [unrolled: 1-line block ×4, first 2 shown]
	s_and_b32 s1, vcc_lo, exec_lo
	s_and_not1_b32 s19, s19, exec_lo
	s_or_b32 s18, s18, exec_lo
	s_or_b32 s0, s0, s1
	s_or_b32 exec_lo, exec_lo, s40
	s_and_saveexec_b32 s1, s0
	s_cbranch_execz .LBB74_79
.LBB74_76:                              ;   in Loop: Header=BB74_3 Depth=1
	v_cmp_le_f32_e32 vcc_lo, 0, v0
	v_cmp_ge_f32_e64 s0, 1.0, v0
	s_delay_alu instid0(VALU_DEP_1)
	s_and_b32 s41, vcc_lo, s0
	s_mov_b32 s0, 0
	s_and_saveexec_b32 s40, s41
	s_cbranch_execz .LBB74_78
; %bb.77:                               ;   in Loop: Header=BB74_3 Depth=1
	v_cvt_f32_u32_e32 v3, v10
	v_mov_b32_e32 v6, v4
	s_mov_b32 s0, exec_lo
	s_delay_alu instid0(VALU_DEP_2) | instskip(NEXT) | instid1(VALU_DEP_2)
	v_fmaak_f32 v3, 0x2f800000, v3, 0x2f800000
	v_lshlrev_b64 v[5:6], 3, v[5:6]
	s_delay_alu instid0(VALU_DEP_2) | instskip(SKIP_1) | instid1(VALU_DEP_3)
	v_cmp_le_f32_e32 vcc_lo, v3, v0
	v_cndmask_b32_e64 v7, 0, 0x3ff00000, vcc_lo
	v_add_co_u32 v8, vcc_lo, s10, v5
	s_delay_alu instid0(VALU_DEP_4)
	v_add_co_ci_u32_e32 v9, vcc_lo, s11, v6, vcc_lo
	v_mov_b32_e32 v6, v4
	global_store_b64 v[8:9], v[6:7], off
.LBB74_78:                              ;   in Loop: Header=BB74_3 Depth=1
	s_or_b32 exec_lo, exec_lo, s40
	s_delay_alu instid0(SALU_CYCLE_1)
	s_and_not1_b32 s18, s18, exec_lo
	s_and_b32 s0, s0, exec_lo
	s_or_b32 s39, s39, exec_lo
	s_and_not1_b32 s38, s38, exec_lo
	s_and_not1_b32 s37, s37, exec_lo
	;; [unrolled: 1-line block ×3, first 2 shown]
	s_or_b32 s18, s18, s0
.LBB74_79:                              ;   in Loop: Header=BB74_3 Depth=1
	s_or_b32 exec_lo, exec_lo, s1
	s_delay_alu instid0(SALU_CYCLE_1)
	s_and_not1_b32 s1, s36, exec_lo
	s_and_b32 s36, s39, exec_lo
	s_and_not1_b32 s34, s34, exec_lo
	s_and_b32 s38, s38, exec_lo
	s_or_b32 s36, s1, s36
	s_and_not1_b32 s1, s35, exec_lo
	s_and_b32 s35, s37, exec_lo
	s_and_not1_b32 s33, s33, exec_lo
	s_and_b32 s19, s19, exec_lo
	s_mov_b32 s0, -1
	s_or_b32 s34, s34, s38
	s_or_b32 s35, s1, s35
	;; [unrolled: 1-line block ×3, first 2 shown]
	s_and_saveexec_b32 s1, s18
	s_cbranch_execz .LBB74_2
; %bb.80:                               ;   in Loop: Header=BB74_3 Depth=1
	v_add_nc_u32_e32 v27, s26, v27
	s_and_not1_b32 s36, s36, exec_lo
	s_and_not1_b32 s34, s34, exec_lo
	;; [unrolled: 1-line block ×4, first 2 shown]
	v_cmp_le_u32_e32 vcc_lo, s20, v27
	s_or_not1_b32 s0, vcc_lo, exec_lo
	s_branch .LBB74_2
.LBB74_81:
	s_or_b32 exec_lo, exec_lo, s13
	s_xor_b32 s3, s30, -1
	s_xor_b32 s4, s31, -1
	;; [unrolled: 1-line block ×3, first 2 shown]
	s_mov_b32 s1, 0
	s_and_saveexec_b32 s2, s0
	s_delay_alu instid0(SALU_CYCLE_1)
	s_xor_b32 s0, exec_lo, s2
	s_cbranch_execz .LBB74_90
; %bb.82:
	s_mov_b32 s2, 0
	s_and_saveexec_b32 s1, s4
	s_delay_alu instid0(SALU_CYCLE_1)
	s_xor_b32 s1, exec_lo, s1
	s_cbranch_execz .LBB74_88
; %bb.83:
	s_and_saveexec_b32 s4, s3
	s_delay_alu instid0(SALU_CYCLE_1)
	s_xor_b32 s3, exec_lo, s4
	s_cbranch_execz .LBB74_86
; %bb.84:
	s_and_saveexec_b32 s4, s12
	s_delay_alu instid0(SALU_CYCLE_1)
	s_xor_b32 s4, exec_lo, s4
	s_cbranch_execnz .LBB74_104
.LBB74_85:
	s_or_b32 exec_lo, exec_lo, s4
	s_delay_alu instid0(SALU_CYCLE_1)
	s_and_b32 s2, s2, exec_lo
.LBB74_86:
	s_and_not1_saveexec_b32 s3, s3
	s_cbranch_execnz .LBB74_100
.LBB74_87:
	s_or_b32 exec_lo, exec_lo, s3
	s_delay_alu instid0(SALU_CYCLE_1)
	s_and_b32 s2, s2, exec_lo
.LBB74_88:
	s_and_not1_saveexec_b32 s1, s1
	s_cbranch_execnz .LBB74_96
.LBB74_89:
	s_or_b32 exec_lo, exec_lo, s1
	s_delay_alu instid0(SALU_CYCLE_1)
	s_and_b32 s1, s2, exec_lo
.LBB74_90:
	s_and_not1_saveexec_b32 s0, s0
	s_cbranch_execnz .LBB74_94
; %bb.91:
	s_or_b32 exec_lo, exec_lo, s0
	s_delay_alu instid0(SALU_CYCLE_1)
	s_and_b32 exec_lo, exec_lo, s1
.LBB74_92:
	; divergent unreachable
.LBB74_93:
	s_nop 0
	s_sendmsg sendmsg(MSG_DEALLOC_VGPRS)
	s_endpgm
.LBB74_94:
	s_cbranch_execnz .LBB74_98
; %bb.95:
	s_or_b32 s1, s1, exec_lo
	s_or_b32 exec_lo, exec_lo, s0
	s_delay_alu instid0(SALU_CYCLE_1)
	s_and_b32 exec_lo, exec_lo, s1
	s_cbranch_execnz .LBB74_92
	s_branch .LBB74_93
.LBB74_96:
	s_cbranch_execnz .LBB74_102
; %bb.97:
	s_or_b32 s2, s2, exec_lo
	s_branch .LBB74_89
.LBB74_98:
	s_trap 2
	s_sendmsg_rtn_b32 s0, sendmsg(MSG_RTN_GET_DOORBELL)
	s_mov_b32 ttmp2, m0
	s_waitcnt lgkmcnt(0)
	s_and_b32 s0, s0, 0x3ff
	s_delay_alu instid0(SALU_CYCLE_1) | instskip(NEXT) | instid1(SALU_CYCLE_1)
	s_bitset1_b32 s0, 10
	s_mov_b32 m0, s0
	s_sendmsg sendmsg(MSG_INTERRUPT)
	s_mov_b32 m0, ttmp2
.LBB74_99:                              ; =>This Inner Loop Header: Depth=1
	s_sethalt 5
	s_branch .LBB74_99
.LBB74_100:
	s_cbranch_execnz .LBB74_106
; %bb.101:
	s_or_b32 s2, s2, exec_lo
	s_branch .LBB74_87
.LBB74_102:
	s_trap 2
	s_sendmsg_rtn_b32 s0, sendmsg(MSG_RTN_GET_DOORBELL)
	s_mov_b32 ttmp2, m0
	s_waitcnt lgkmcnt(0)
	s_and_b32 s0, s0, 0x3ff
	s_delay_alu instid0(SALU_CYCLE_1) | instskip(NEXT) | instid1(SALU_CYCLE_1)
	s_bitset1_b32 s0, 10
	s_mov_b32 m0, s0
	s_sendmsg sendmsg(MSG_INTERRUPT)
	s_mov_b32 m0, ttmp2
.LBB74_103:                             ; =>This Inner Loop Header: Depth=1
	s_sethalt 5
	s_branch .LBB74_103
.LBB74_104:
	s_cbranch_execnz .LBB74_108
; %bb.105:
	s_mov_b32 s2, exec_lo
	s_branch .LBB74_85
.LBB74_106:
	s_trap 2
	s_sendmsg_rtn_b32 s0, sendmsg(MSG_RTN_GET_DOORBELL)
	s_mov_b32 ttmp2, m0
	s_waitcnt lgkmcnt(0)
	s_and_b32 s0, s0, 0x3ff
	s_delay_alu instid0(SALU_CYCLE_1) | instskip(NEXT) | instid1(SALU_CYCLE_1)
	s_bitset1_b32 s0, 10
	s_mov_b32 m0, s0
	s_sendmsg sendmsg(MSG_INTERRUPT)
	s_mov_b32 m0, ttmp2
.LBB74_107:                             ; =>This Inner Loop Header: Depth=1
	s_sethalt 5
	s_branch .LBB74_107
.LBB74_108:
	s_trap 2
	s_sendmsg_rtn_b32 s0, sendmsg(MSG_RTN_GET_DOORBELL)
	s_mov_b32 ttmp2, m0
	s_waitcnt lgkmcnt(0)
	s_and_b32 s0, s0, 0x3ff
	s_delay_alu instid0(SALU_CYCLE_1) | instskip(NEXT) | instid1(SALU_CYCLE_1)
	s_bitset1_b32 s0, 10
	s_mov_b32 m0, s0
	s_sendmsg sendmsg(MSG_INTERRUPT)
	s_mov_b32 m0, ttmp2
.LBB74_109:                             ; =>This Inner Loop Header: Depth=1
	s_sethalt 5
	s_branch .LBB74_109
	.section	.rodata,"a",@progbits
	.p2align	6, 0x0
	.amdhsa_kernel _ZN2at4cuda12_GLOBAL__N_121kernelPointwiseApply2IZNS_6native9templates4cuda28bernoulli_tensor_cuda_kernelIdfEEvRKNS_10TensorBaseES9_NS_15PhiloxCudaStateEEUliRdSB_SB_SB_RKfSD_SD_SD_E_dSC_jLin1ELin1ELi4ELi512ELi2EEEvNS0_6detail10TensorInfoIT0_T2_EENSG_IT1_SI_EESI_T_
		.amdhsa_group_segment_fixed_size 0
		.amdhsa_private_segment_fixed_size 0
		.amdhsa_kernarg_size 728
		.amdhsa_user_sgpr_count 15
		.amdhsa_user_sgpr_dispatch_ptr 0
		.amdhsa_user_sgpr_queue_ptr 0
		.amdhsa_user_sgpr_kernarg_segment_ptr 1
		.amdhsa_user_sgpr_dispatch_id 0
		.amdhsa_user_sgpr_private_segment_size 0
		.amdhsa_wavefront_size32 1
		.amdhsa_uses_dynamic_stack 0
		.amdhsa_enable_private_segment 0
		.amdhsa_system_sgpr_workgroup_id_x 1
		.amdhsa_system_sgpr_workgroup_id_y 0
		.amdhsa_system_sgpr_workgroup_id_z 0
		.amdhsa_system_sgpr_workgroup_info 0
		.amdhsa_system_vgpr_workitem_id 0
		.amdhsa_next_free_vgpr 40
		.amdhsa_next_free_sgpr 42
		.amdhsa_reserve_vcc 1
		.amdhsa_float_round_mode_32 0
		.amdhsa_float_round_mode_16_64 0
		.amdhsa_float_denorm_mode_32 3
		.amdhsa_float_denorm_mode_16_64 3
		.amdhsa_dx10_clamp 1
		.amdhsa_ieee_mode 1
		.amdhsa_fp16_overflow 0
		.amdhsa_workgroup_processor_mode 1
		.amdhsa_memory_ordered 1
		.amdhsa_forward_progress 0
		.amdhsa_shared_vgpr_count 0
		.amdhsa_exception_fp_ieee_invalid_op 0
		.amdhsa_exception_fp_denorm_src 0
		.amdhsa_exception_fp_ieee_div_zero 0
		.amdhsa_exception_fp_ieee_overflow 0
		.amdhsa_exception_fp_ieee_underflow 0
		.amdhsa_exception_fp_ieee_inexact 0
		.amdhsa_exception_int_div_zero 0
	.end_amdhsa_kernel
	.section	.text._ZN2at4cuda12_GLOBAL__N_121kernelPointwiseApply2IZNS_6native9templates4cuda28bernoulli_tensor_cuda_kernelIdfEEvRKNS_10TensorBaseES9_NS_15PhiloxCudaStateEEUliRdSB_SB_SB_RKfSD_SD_SD_E_dSC_jLin1ELin1ELi4ELi512ELi2EEEvNS0_6detail10TensorInfoIT0_T2_EENSG_IT1_SI_EESI_T_,"axG",@progbits,_ZN2at4cuda12_GLOBAL__N_121kernelPointwiseApply2IZNS_6native9templates4cuda28bernoulli_tensor_cuda_kernelIdfEEvRKNS_10TensorBaseES9_NS_15PhiloxCudaStateEEUliRdSB_SB_SB_RKfSD_SD_SD_E_dSC_jLin1ELin1ELi4ELi512ELi2EEEvNS0_6detail10TensorInfoIT0_T2_EENSG_IT1_SI_EESI_T_,comdat
.Lfunc_end74:
	.size	_ZN2at4cuda12_GLOBAL__N_121kernelPointwiseApply2IZNS_6native9templates4cuda28bernoulli_tensor_cuda_kernelIdfEEvRKNS_10TensorBaseES9_NS_15PhiloxCudaStateEEUliRdSB_SB_SB_RKfSD_SD_SD_E_dSC_jLin1ELin1ELi4ELi512ELi2EEEvNS0_6detail10TensorInfoIT0_T2_EENSG_IT1_SI_EESI_T_, .Lfunc_end74-_ZN2at4cuda12_GLOBAL__N_121kernelPointwiseApply2IZNS_6native9templates4cuda28bernoulli_tensor_cuda_kernelIdfEEvRKNS_10TensorBaseES9_NS_15PhiloxCudaStateEEUliRdSB_SB_SB_RKfSD_SD_SD_E_dSC_jLin1ELin1ELi4ELi512ELi2EEEvNS0_6detail10TensorInfoIT0_T2_EENSG_IT1_SI_EESI_T_
                                        ; -- End function
	.section	.AMDGPU.csdata,"",@progbits
; Kernel info:
; codeLenInByte = 5416
; NumSgprs: 44
; NumVgprs: 40
; ScratchSize: 0
; MemoryBound: 0
; FloatMode: 240
; IeeeMode: 1
; LDSByteSize: 0 bytes/workgroup (compile time only)
; SGPRBlocks: 5
; VGPRBlocks: 4
; NumSGPRsForWavesPerEU: 44
; NumVGPRsForWavesPerEU: 40
; Occupancy: 16
; WaveLimiterHint : 1
; COMPUTE_PGM_RSRC2:SCRATCH_EN: 0
; COMPUTE_PGM_RSRC2:USER_SGPR: 15
; COMPUTE_PGM_RSRC2:TRAP_HANDLER: 0
; COMPUTE_PGM_RSRC2:TGID_X_EN: 1
; COMPUTE_PGM_RSRC2:TGID_Y_EN: 0
; COMPUTE_PGM_RSRC2:TGID_Z_EN: 0
; COMPUTE_PGM_RSRC2:TIDIG_COMP_CNT: 0
	.section	.text._ZN2at4cuda12_GLOBAL__N_121kernelPointwiseApply2IZNS_6native9templates4cuda28bernoulli_tensor_cuda_kernelIdfEEvRKNS_10TensorBaseES9_NS_15PhiloxCudaStateEEUliRdSB_SB_SB_RKfSD_SD_SD_E_dSC_mLi1ELi1ELi4ELi512ELi2EEEvNS0_6detail10TensorInfoIT0_T2_EENSG_IT1_SI_EESI_T_,"axG",@progbits,_ZN2at4cuda12_GLOBAL__N_121kernelPointwiseApply2IZNS_6native9templates4cuda28bernoulli_tensor_cuda_kernelIdfEEvRKNS_10TensorBaseES9_NS_15PhiloxCudaStateEEUliRdSB_SB_SB_RKfSD_SD_SD_E_dSC_mLi1ELi1ELi4ELi512ELi2EEEvNS0_6detail10TensorInfoIT0_T2_EENSG_IT1_SI_EESI_T_,comdat
	.globl	_ZN2at4cuda12_GLOBAL__N_121kernelPointwiseApply2IZNS_6native9templates4cuda28bernoulli_tensor_cuda_kernelIdfEEvRKNS_10TensorBaseES9_NS_15PhiloxCudaStateEEUliRdSB_SB_SB_RKfSD_SD_SD_E_dSC_mLi1ELi1ELi4ELi512ELi2EEEvNS0_6detail10TensorInfoIT0_T2_EENSG_IT1_SI_EESI_T_ ; -- Begin function _ZN2at4cuda12_GLOBAL__N_121kernelPointwiseApply2IZNS_6native9templates4cuda28bernoulli_tensor_cuda_kernelIdfEEvRKNS_10TensorBaseES9_NS_15PhiloxCudaStateEEUliRdSB_SB_SB_RKfSD_SD_SD_E_dSC_mLi1ELi1ELi4ELi512ELi2EEEvNS0_6detail10TensorInfoIT0_T2_EENSG_IT1_SI_EESI_T_
	.p2align	8
	.type	_ZN2at4cuda12_GLOBAL__N_121kernelPointwiseApply2IZNS_6native9templates4cuda28bernoulli_tensor_cuda_kernelIdfEEvRKNS_10TensorBaseES9_NS_15PhiloxCudaStateEEUliRdSB_SB_SB_RKfSD_SD_SD_E_dSC_mLi1ELi1ELi4ELi512ELi2EEEvNS0_6detail10TensorInfoIT0_T2_EENSG_IT1_SI_EESI_T_,@function
_ZN2at4cuda12_GLOBAL__N_121kernelPointwiseApply2IZNS_6native9templates4cuda28bernoulli_tensor_cuda_kernelIdfEEvRKNS_10TensorBaseES9_NS_15PhiloxCudaStateEEUliRdSB_SB_SB_RKfSD_SD_SD_E_dSC_mLi1ELi1ELi4ELi512ELi2EEEvNS0_6detail10TensorInfoIT0_T2_EENSG_IT1_SI_EESI_T_: ; @_ZN2at4cuda12_GLOBAL__N_121kernelPointwiseApply2IZNS_6native9templates4cuda28bernoulli_tensor_cuda_kernelIdfEEvRKNS_10TensorBaseES9_NS_15PhiloxCudaStateEEUliRdSB_SB_SB_RKfSD_SD_SD_E_dSC_mLi1ELi1ELi4ELi512ELi2EEEvNS0_6detail10TensorInfoIT0_T2_EENSG_IT1_SI_EESI_T_
; %bb.0:
	s_clause 0x1
	s_load_b32 s4, s[0:1], 0x374
	s_load_b256 s[16:23], s[0:1], 0x340
	s_add_u32 s2, s0, 0x368
	s_addc_u32 s3, s1, 0
	s_mov_b32 s5, exec_lo
	s_waitcnt lgkmcnt(0)
	s_and_b32 s4, s4, 0xffff
	s_delay_alu instid0(SALU_CYCLE_1) | instskip(SKIP_1) | instid1(VALU_DEP_1)
	v_mad_u64_u32 v[1:2], null, s15, s4, v[0:1]
	v_mov_b32_e32 v2, 0
	v_dual_mov_b32 v5, v2 :: v_dual_lshlrev_b32 v4, 2, v1
	s_delay_alu instid0(VALU_DEP_1)
	v_cmpx_gt_u64_e64 s[16:17], v[4:5]
	s_cbranch_execz .LBB75_51
; %bb.1:
	s_load_b64 s[10:11], s[0:1], 0xd0
	s_load_b32 s2, s[2:3], 0x0
	s_clause 0x3
	s_load_b32 s3, s[0:1], 0x360
	s_load_b64 s[6:7], s[0:1], 0x0
	s_load_b64 s[8:9], s[0:1], 0x1a0
	s_load_b64 s[0:1], s[0:1], 0x270
	v_mad_u64_u32 v[6:7], null, 0xcd9e8d57, v1, 0
	v_add_co_u32 v17, s12, v4, 2
	s_delay_alu instid0(VALU_DEP_1) | instskip(SKIP_1) | instid1(VALU_DEP_4)
	v_add_co_ci_u32_e64 v18, null, 0, 0, s12
	v_add_co_u32 v19, s12, v4, 3
	v_mov_b32_e32 v36, v7
	v_add_co_ci_u32_e64 v20, null, 0, 0, s12
	v_sub_nc_u32_e32 v0, s16, v4
	s_mov_b32 s5, 0
	s_mov_b64 s[12:13], 0
	s_waitcnt lgkmcnt(0)
	v_mad_u64_u32 v[7:8], null, s10, v4, 0
	v_mul_lo_u32 v21, s11, v17
	v_mul_lo_u32 v22, s10, v18
	v_mad_u64_u32 v[9:10], null, s10, v17, 0
	v_mad_u64_u32 v[11:12], null, s0, v4, 0
	v_mov_b32_e32 v3, v8
	v_mul_lo_u32 v23, s11, v19
	v_mul_lo_u32 v24, s10, v20
	v_mad_u64_u32 v[13:14], null, s10, v19, 0
	s_delay_alu instid0(VALU_DEP_4)
	v_mad_u64_u32 v[15:16], null, s11, v4, v[3:4]
	v_mov_b32_e32 v3, v12
	v_add3_u32 v10, v10, v22, v21
	v_mul_lo_u32 v21, s0, v18
	v_mul_lo_u32 v22, s1, v19
	;; [unrolled: 1-line block ×3, first 2 shown]
	s_mul_i32 s2, s2, s4
	v_mov_b32_e32 v8, v15
	v_mad_u64_u32 v[15:16], null, s1, v4, v[3:4]
	v_mul_lo_u32 v3, s1, v17
	s_bitcmp1_b32 s3, 0
	v_add_co_u32 v12, vcc_lo, v7, s10
	s_cselect_b32 s14, -1, 0
	s_lshl_b32 s15, s2, 2
	s_delay_alu instid0(VALU_DEP_3)
	v_mov_b32_e32 v38, v15
	v_mad_u64_u32 v[15:16], null, s0, v17, 0
	v_mad_u64_u32 v[17:18], null, s0, v19, 0
	v_add_co_ci_u32_e32 v37, vcc_lo, s11, v8, vcc_lo
	v_add_co_u32 v39, vcc_lo, v11, s0
	s_mul_i32 s2, s11, s15
	s_mul_hi_u32 s3, s10, s15
	v_add3_u32 v14, v14, v24, v23
	v_add_co_ci_u32_e32 v40, vcc_lo, s1, v38, vcc_lo
	v_add3_u32 v16, v16, v21, v3
	v_add3_u32 v18, v18, v20, v22
	s_add_i32 s24, s3, s2
	s_mul_i32 s2, s1, s15
	s_mul_hi_u32 s3, s0, s15
	s_mul_i32 s25, s10, s15
	s_add_i32 s27, s3, s2
	s_mul_i32 s28, s0, s15
	s_mov_b64 s[10:11], 0
                                        ; implicit-def: $sgpr29
                                        ; implicit-def: $sgpr31
                                        ; implicit-def: $sgpr30
                                        ; implicit-def: $sgpr26
                                        ; implicit-def: $sgpr33
                                        ; implicit-def: $sgpr35
                                        ; implicit-def: $sgpr34
                                        ; implicit-def: $sgpr36
	s_branch .LBB75_3
.LBB75_2:                               ;   in Loop: Header=BB75_3 Depth=1
	s_or_b32 exec_lo, exec_lo, s1
	s_delay_alu instid0(SALU_CYCLE_1) | instskip(NEXT) | instid1(SALU_CYCLE_1)
	s_and_b32 s0, exec_lo, s0
	s_or_b32 s5, s0, s5
	s_and_not1_b32 s0, s26, exec_lo
	s_and_b32 s1, s36, exec_lo
	s_and_not1_b32 s2, s30, exec_lo
	s_and_b32 s3, s34, exec_lo
	s_or_b32 s26, s0, s1
	s_or_b32 s30, s2, s3
	s_and_not1_b32 s0, s31, exec_lo
	s_and_b32 s1, s35, exec_lo
	s_and_not1_b32 s2, s29, exec_lo
	s_and_b32 s3, s33, exec_lo
	s_or_b32 s31, s0, s1
	s_or_b32 s29, s2, s3
	s_and_not1_b32 exec_lo, exec_lo, s5
	s_cbranch_execz .LBB75_39
.LBB75_3:                               ; =>This Inner Loop Header: Depth=1
	v_add_co_u32 v3, vcc_lo, v11, s10
	v_add_co_ci_u32_e32 v19, vcc_lo, s11, v38, vcc_lo
	v_cmp_lt_i32_e64 s0, 0, v0
	v_add_co_u32 v21, vcc_lo, v39, s10
	v_add_co_ci_u32_e32 v22, vcc_lo, s11, v40, vcc_lo
	v_cmp_lt_i32_e64 s1, 1, v0
	s_delay_alu instid0(VALU_DEP_4)
	v_cndmask_b32_e64 v20, 0, v19, s0
	v_cndmask_b32_e64 v19, 0, v3, s0
	v_add_co_u32 v3, vcc_lo, v15, s10
	v_add_co_ci_u32_e32 v23, vcc_lo, s11, v16, vcc_lo
	v_cmp_lt_i32_e64 s2, 2, v0
	v_add_co_u32 v25, vcc_lo, v17, s10
	v_cndmask_b32_e64 v22, 0, v22, s1
	v_cndmask_b32_e64 v21, 0, v21, s1
	v_add_co_ci_u32_e32 v26, vcc_lo, s11, v18, vcc_lo
	v_cmp_lt_i32_e64 s3, 3, v0
	v_lshlrev_b64 v[19:20], 2, v[19:20]
	v_cndmask_b32_e64 v24, 0, v23, s2
	v_cndmask_b32_e64 v23, 0, v3, s2
	v_lshlrev_b64 v[21:22], 2, v[21:22]
	v_cndmask_b32_e64 v26, 0, v26, s3
	v_cndmask_b32_e64 v25, 0, v25, s3
	v_add_co_u32 v19, vcc_lo, s8, v19
	v_lshlrev_b64 v[23:24], 2, v[23:24]
	v_add_co_ci_u32_e32 v20, vcc_lo, s9, v20, vcc_lo
	v_add_co_u32 v21, vcc_lo, s8, v21
	v_lshlrev_b64 v[25:26], 2, v[25:26]
	v_add_co_ci_u32_e32 v22, vcc_lo, s9, v22, vcc_lo
	v_add_co_u32 v23, vcc_lo, s8, v23
	v_add_co_ci_u32_e32 v24, vcc_lo, s9, v24, vcc_lo
	s_delay_alu instid0(VALU_DEP_4)
	v_add_co_u32 v25, vcc_lo, s8, v25
	v_add_co_ci_u32_e32 v26, vcc_lo, s9, v26, vcc_lo
	s_clause 0x3
	global_load_b32 v41, v[19:20], off
	global_load_b32 v42, v[21:22], off
	;; [unrolled: 1-line block ×4, first 2 shown]
	v_dual_mov_b32 v24, s21 :: v_dual_mov_b32 v23, s20
	v_dual_mov_b32 v26, s19 :: v_dual_mov_b32 v25, s18
	s_and_not1_b32 vcc_lo, exec_lo, s14
	s_cbranch_vccnz .LBB75_5
; %bb.4:                                ;   in Loop: Header=BB75_3 Depth=1
	v_dual_mov_b32 v19, s20 :: v_dual_mov_b32 v20, s21
	v_dual_mov_b32 v22, s19 :: v_dual_mov_b32 v21, s18
	flat_load_b64 v[19:20], v[19:20]
	flat_load_b64 v[25:26], v[21:22]
	s_waitcnt vmcnt(1) lgkmcnt(1)
	v_add_co_u32 v23, vcc_lo, v19, s22
	v_add_co_ci_u32_e32 v24, vcc_lo, s23, v20, vcc_lo
.LBB75_5:                               ;   in Loop: Header=BB75_3 Depth=1
	s_delay_alu instid0(VALU_DEP_1)
	v_alignbit_b32 v22, v24, v23, 2
	v_lshrrev_b32_e32 v21, 2, v24
	s_waitcnt vmcnt(0) lgkmcnt(0)
	v_add_nc_u32_e32 v45, 0xbb67ae85, v26
	v_add_nc_u32_e32 v46, 0x76cf5d0a, v26
	;; [unrolled: 1-line block ×3, first 2 shown]
	v_add_co_u32 v24, vcc_lo, v22, 1
	s_delay_alu instid0(VALU_DEP_1) | instskip(SKIP_4) | instid1(VALU_DEP_4)
	v_cndmask_b32_e64 v19, 0, 1, vcc_lo
	v_add_co_ci_u32_e32 v33, vcc_lo, 0, v21, vcc_lo
	v_xor3_b32 v29, v36, v25, v21
	v_add_nc_u32_e32 v48, 0x32370b8f, v26
	v_add_nc_u32_e32 v49, 0xed9eba14, v26
	v_cmp_eq_u32_e32 vcc_lo, 0, v33
	v_add_nc_u32_e32 v50, 0x1715609d, v25
	v_add_nc_u32_e32 v51, 0xa9066899, v26
	s_mov_b32 s4, exec_lo
	v_dual_cndmask_b32 v27, 0, v19 :: v_dual_add_nc_u32 v44, 0x9e3779b9, v25
	v_mad_u64_u32 v[19:20], null, 0xd2511f53, v24, 0
	s_delay_alu instid0(VALU_DEP_2) | instskip(NEXT) | instid1(VALU_DEP_2)
	v_add_nc_u32_e32 v24, v27, v1
	v_xor_b32_e32 v28, v20, v26
	s_delay_alu instid0(VALU_DEP_2) | instskip(SKIP_2) | instid1(VALU_DEP_1)
	v_cmp_eq_u32_e32 vcc_lo, 0, v24
	v_mad_u64_u32 v[20:21], null, 0xd2511f53, v22, 0
	v_cndmask_b32_e32 v27, 0, v27, vcc_lo
	v_xor_b32_e32 v22, v27, v28
	v_mad_u64_u32 v[27:28], null, 0xd2511f53, v29, 0
	v_mad_u64_u32 v[29:30], null, 0xcd9e8d57, v24, 0
	s_delay_alu instid0(VALU_DEP_3) | instskip(SKIP_3) | instid1(VALU_DEP_3)
	v_mad_u64_u32 v[31:32], null, 0xcd9e8d57, v22, 0
	v_xor_b32_e32 v22, v21, v26
	v_add_nc_u32_e32 v24, 0x3c6ef372, v25
	v_xor3_b32 v34, v45, v28, v20
	v_mad_u64_u32 v[20:21], null, 0xcd9e8d57, v22, 0
	v_xor3_b32 v22, v30, v25, v33
	v_xor3_b32 v30, v44, v32, v29
	s_delay_alu instid0(VALU_DEP_4) | instskip(NEXT) | instid1(VALU_DEP_3)
	v_mad_u64_u32 v[28:29], null, 0xcd9e8d57, v34, 0
	v_mad_u64_u32 v[32:33], null, 0xd2511f53, v22, 0
	s_delay_alu instid0(VALU_DEP_3) | instskip(SKIP_1) | instid1(VALU_DEP_4)
	v_mad_u64_u32 v[34:35], null, 0xd2511f53, v30, 0
	v_xor3_b32 v22, v6, v21, v44
	v_xor3_b32 v44, v24, v29, v20
	s_delay_alu instid0(VALU_DEP_4) | instskip(NEXT) | instid1(VALU_DEP_3)
	v_xor3_b32 v19, v45, v33, v19
	v_mad_u64_u32 v[20:21], null, 0xd2511f53, v22, 0
	v_xor3_b32 v22, v46, v35, v32
	s_delay_alu instid0(VALU_DEP_4) | instskip(NEXT) | instid1(VALU_DEP_4)
	v_mad_u64_u32 v[29:30], null, 0xd2511f53, v44, 0
	v_mad_u64_u32 v[32:33], null, 0xcd9e8d57, v19, 0
	s_delay_alu instid0(VALU_DEP_3) | instskip(SKIP_4) | instid1(VALU_DEP_4)
	v_mad_u64_u32 v[44:45], null, 0xcd9e8d57, v22, 0
	v_xor3_b32 v21, v46, v21, v27
	v_add_nc_u32_e32 v35, 0x78dde6e4, v25
	v_xor3_b32 v27, v48, v30, v20
	v_xor3_b32 v24, v24, v33, v31
	v_mad_u64_u32 v[19:20], null, 0xcd9e8d57, v21, 0
	v_xor3_b32 v45, v47, v45, v32
	s_delay_alu instid0(VALU_DEP_4) | instskip(NEXT) | instid1(VALU_DEP_4)
	v_mad_u64_u32 v[21:22], null, 0xcd9e8d57, v27, 0
	v_mad_u64_u32 v[30:31], null, 0xd2511f53, v24, 0
	s_delay_alu instid0(VALU_DEP_3) | instskip(SKIP_1) | instid1(VALU_DEP_4)
	v_mad_u64_u32 v[32:33], null, 0xd2511f53, v45, 0
	v_xor3_b32 v24, v47, v20, v28
	v_xor3_b32 v22, v35, v22, v19
	s_delay_alu instid0(VALU_DEP_2) | instskip(SKIP_2) | instid1(VALU_DEP_4)
	v_mad_u64_u32 v[19:20], null, 0xd2511f53, v24, 0
	v_xor3_b32 v24, v48, v31, v34
	v_xor3_b32 v30, v49, v33, v30
	v_mad_u64_u32 v[33:34], null, 0xd2511f53, v22, 0
	s_delay_alu instid0(VALU_DEP_3) | instskip(NEXT) | instid1(VALU_DEP_3)
	v_mad_u64_u32 v[27:28], null, 0xcd9e8d57, v24, 0
	v_mad_u64_u32 v[45:46], null, 0xcd9e8d57, v30, 0
	v_xor3_b32 v22, v49, v20, v29
	s_delay_alu instid0(VALU_DEP_4) | instskip(SKIP_2) | instid1(VALU_DEP_4)
	v_xor3_b32 v30, v51, v34, v19
	v_add_nc_u32_e32 v24, 0xb54cda56, v25
	v_add_nc_u32_e32 v29, 0x646e171e, v26
	v_mad_u64_u32 v[19:20], null, 0xcd9e8d57, v22, 0
	v_xor3_b32 v22, v35, v28, v44
	v_xor3_b32 v31, v50, v46, v27
	v_mad_u64_u32 v[46:47], null, 0xcd9e8d57, v30, 0
	v_add_nc_u32_e32 v35, 0x5384540f, v25
	s_delay_alu instid0(VALU_DEP_4) | instskip(NEXT) | instid1(VALU_DEP_4)
	v_mad_u64_u32 v[27:28], null, 0xd2511f53, v22, 0
	v_mad_u64_u32 v[48:49], null, 0xd2511f53, v31, 0
	v_xor3_b32 v21, v50, v20, v21
	v_xor3_b32 v22, v24, v47, v19
	v_add_nc_u32_e32 v50, 0x1fd5c5a3, v26
	v_add_co_u32 v44, null, 0xf1bbcdc8, v25
	v_xor3_b32 v30, v51, v28, v32
	v_xor3_b32 v32, v29, v49, v27
	v_mad_u64_u32 v[19:20], null, 0xd2511f53, v21, 0
	v_mad_u64_u32 v[27:28], null, 0xd2511f53, v22, 0
	s_delay_alu instid0(VALU_DEP_4) | instskip(NEXT) | instid1(VALU_DEP_4)
	v_mad_u64_u32 v[21:22], null, 0xcd9e8d57, v30, 0
	v_mad_u64_u32 v[30:31], null, 0xcd9e8d57, v32, 0
	s_delay_alu instid0(VALU_DEP_4) | instskip(NEXT) | instid1(VALU_DEP_4)
	v_xor3_b32 v29, v29, v20, v33
	v_xor3_b32 v32, v50, v28, v19
	s_delay_alu instid0(VALU_DEP_4) | instskip(NEXT) | instid1(VALU_DEP_3)
	v_xor3_b32 v24, v24, v22, v45
	v_mad_u64_u32 v[19:20], null, 0xcd9e8d57, v29, 0
	v_xor3_b32 v31, v35, v31, v21
	s_delay_alu instid0(VALU_DEP_4) | instskip(NEXT) | instid1(VALU_DEP_4)
	v_mad_u64_u32 v[28:29], null, 0xcd9e8d57, v32, 0
	v_mad_u64_u32 v[21:22], null, 0xd2511f53, v24, 0
	s_delay_alu instid0(VALU_DEP_3)
	v_mad_u64_u32 v[33:34], null, 0xd2511f53, v31, 0
	v_add_nc_u32_e32 v45, 0xdb3d7428, v26
	v_xor3_b32 v20, v35, v20, v46
	v_xor3_b32 v24, v44, v29, v19
	v_add_nc_u32_e32 v46, 0x96a522ad, v26
	v_xor3_b32 v22, v50, v22, v48
	v_and_b32_e32 v26, 3, v23
	v_xor3_b32 v29, v45, v34, v21
	v_mad_u64_u32 v[31:32], null, 0xd2511f53, v20, 0
	v_mad_u64_u32 v[19:20], null, 0xd2511f53, v24, 0
	;; [unrolled: 1-line block ×3, first 2 shown]
	s_delay_alu instid0(VALU_DEP_4) | instskip(SKIP_1) | instid1(VALU_DEP_4)
	v_mad_u64_u32 v[21:22], null, 0xcd9e8d57, v29, 0
	v_add_nc_u32_e32 v29, 0x8ff34781, v25
                                        ; implicit-def: $vgpr24
	v_xor3_b32 v25, v20, v31, v46
	s_delay_alu instid0(VALU_DEP_2)
	v_xor3_b32 v20, v22, v34, v29
	v_cmpx_lt_i32_e32 1, v26
	s_xor_b32 s4, exec_lo, s4
	s_cbranch_execz .LBB75_11
; %bb.6:                                ;   in Loop: Header=BB75_3 Depth=1
	s_mov_b32 s37, exec_lo
                                        ; implicit-def: $vgpr24
	v_cmpx_lt_i32_e32 2, v26
	s_xor_b32 s37, exec_lo, s37
; %bb.7:                                ;   in Loop: Header=BB75_3 Depth=1
	v_xor3_b32 v22, v44, v35, v30
                                        ; implicit-def: $vgpr25
	s_delay_alu instid0(VALU_DEP_1) | instskip(NEXT) | instid1(VALU_DEP_1)
	v_mul_hi_u32 v22, 0xd2511f53, v22
	v_xor3_b32 v24, v22, v33, v46
; %bb.8:                                ;   in Loop: Header=BB75_3 Depth=1
	s_and_not1_saveexec_b32 s37, s37
; %bb.9:                                ;   in Loop: Header=BB75_3 Depth=1
	v_dual_mov_b32 v24, v21 :: v_dual_mov_b32 v21, v20
	v_dual_mov_b32 v20, v19 :: v_dual_mov_b32 v19, v25
; %bb.10:                               ;   in Loop: Header=BB75_3 Depth=1
	s_or_b32 exec_lo, exec_lo, s37
                                        ; implicit-def: $vgpr27_vgpr28
                                        ; implicit-def: $vgpr26
                                        ; implicit-def: $vgpr25
                                        ; implicit-def: $vgpr45
                                        ; implicit-def: $vgpr31_vgpr32
                                        ; implicit-def: $vgpr28_vgpr29
                                        ; implicit-def: $vgpr29
.LBB75_11:                              ;   in Loop: Header=BB75_3 Depth=1
	s_and_not1_saveexec_b32 s4, s4
	s_cbranch_execz .LBB75_15
; %bb.12:                               ;   in Loop: Header=BB75_3 Depth=1
	v_xor3_b32 v21, v45, v32, v27
	v_cmp_eq_u32_e32 vcc_lo, 1, v26
	v_mov_b32_e32 v24, v19
	s_delay_alu instid0(VALU_DEP_3) | instskip(SKIP_1) | instid1(VALU_DEP_2)
	v_mad_u64_u32 v[22:23], null, 0xcd9e8d57, v21, 0
	v_mov_b32_e32 v21, v25
	v_xor3_b32 v26, v23, v28, v29
	s_delay_alu instid0(VALU_DEP_3)
	v_mov_b32_e32 v23, v22
	s_and_saveexec_b32 s37, vcc_lo
; %bb.13:                               ;   in Loop: Header=BB75_3 Depth=1
	v_dual_mov_b32 v24, v20 :: v_dual_mov_b32 v21, v19
	v_dual_mov_b32 v23, v25 :: v_dual_mov_b32 v26, v22
; %bb.14:                               ;   in Loop: Header=BB75_3 Depth=1
	s_or_b32 exec_lo, exec_lo, s37
	s_delay_alu instid0(VALU_DEP_1)
	v_dual_mov_b32 v19, v26 :: v_dual_mov_b32 v20, v23
.LBB75_15:                              ;   in Loop: Header=BB75_3 Depth=1
	s_or_b32 exec_lo, exec_lo, s4
	v_min_i32_e32 v22, 4, v0
	s_mov_b32 s37, 0
	s_mov_b32 s42, 0
	s_mov_b32 s40, exec_lo
                                        ; implicit-def: $sgpr4
                                        ; implicit-def: $sgpr38
                                        ; implicit-def: $sgpr39
	s_delay_alu instid0(VALU_DEP_1)
	v_cmpx_lt_i32_e32 2, v22
	s_xor_b32 s40, exec_lo, s40
	s_cbranch_execz .LBB75_25
; %bb.16:                               ;   in Loop: Header=BB75_3 Depth=1
	s_mov_b32 s41, -1
	s_mov_b32 s39, exec_lo
                                        ; implicit-def: $sgpr38
                                        ; implicit-def: $sgpr4
	v_cmpx_lt_i32_e32 3, v22
	s_cbranch_execz .LBB75_20
; %bb.17:                               ;   in Loop: Header=BB75_3 Depth=1
	v_cmp_le_f32_e32 vcc_lo, 0, v3
	v_cmp_ge_f32_e64 s4, 1.0, v3
	s_mov_b32 s38, 0
	s_mov_b32 s41, 0
	s_delay_alu instid0(VALU_DEP_1) | instskip(NEXT) | instid1(SALU_CYCLE_1)
	s_and_b32 s42, vcc_lo, s4
	s_and_saveexec_b32 s4, s42
	s_cbranch_execz .LBB75_19
; %bb.18:                               ;   in Loop: Header=BB75_3 Depth=1
	v_add_co_u32 v23, vcc_lo, v13, s12
	v_add_co_ci_u32_e32 v25, vcc_lo, s13, v14, vcc_lo
	v_cvt_f32_u32_e32 v27, v24
	s_mov_b32 s41, exec_lo
	s_delay_alu instid0(VALU_DEP_2) | instskip(SKIP_1) | instid1(VALU_DEP_1)
	v_cndmask_b32_e64 v26, 0, v25, s3
	v_cndmask_b32_e64 v25, 0, v23, s3
	v_lshlrev_b64 v[23:24], 3, v[25:26]
	v_fmaak_f32 v25, 0x2f800000, v27, 0x2f800000
	s_delay_alu instid0(VALU_DEP_2) | instskip(NEXT) | instid1(VALU_DEP_3)
	v_add_co_u32 v23, vcc_lo, s6, v23
	v_add_co_ci_u32_e32 v24, vcc_lo, s7, v24, vcc_lo
	s_delay_alu instid0(VALU_DEP_3)
	v_cmp_le_f32_e32 vcc_lo, v25, v3
	v_cndmask_b32_e64 v3, 0, 0x3ff00000, vcc_lo
	global_store_b64 v[23:24], v[2:3], off
.LBB75_19:                              ;   in Loop: Header=BB75_3 Depth=1
	s_or_b32 exec_lo, exec_lo, s4
	s_mov_b32 s4, -1
	s_or_not1_b32 s41, s41, exec_lo
.LBB75_20:                              ;   in Loop: Header=BB75_3 Depth=1
	s_or_b32 exec_lo, exec_lo, s39
	s_mov_b32 s3, 0
	s_mov_b32 s42, s38
	s_and_saveexec_b32 s39, s41
	s_cbranch_execz .LBB75_24
; %bb.21:                               ;   in Loop: Header=BB75_3 Depth=1
	v_cmp_le_f32_e32 vcc_lo, 0, v43
	v_cmp_ge_f32_e64 s3, 1.0, v43
	s_delay_alu instid0(VALU_DEP_1) | instskip(SKIP_2) | instid1(SALU_CYCLE_1)
	s_and_b32 s41, vcc_lo, s3
	s_mov_b32 s3, 0
	s_and_saveexec_b32 s42, s41
	s_xor_b32 s41, exec_lo, s42
	s_cbranch_execz .LBB75_23
; %bb.22:                               ;   in Loop: Header=BB75_3 Depth=1
	v_add_co_u32 v3, vcc_lo, v9, s12
	v_add_co_ci_u32_e32 v23, vcc_lo, s13, v10, vcc_lo
	s_mov_b32 s3, exec_lo
	s_delay_alu instid0(VALU_DEP_1) | instskip(NEXT) | instid1(VALU_DEP_3)
	v_cndmask_b32_e64 v24, 0, v23, s2
	v_cndmask_b32_e64 v23, 0, v3, s2
	v_cvt_f32_u32_e32 v3, v21
	s_delay_alu instid0(VALU_DEP_2) | instskip(NEXT) | instid1(VALU_DEP_2)
	v_lshlrev_b64 v[23:24], 3, v[23:24]
	v_fmaak_f32 v3, 0x2f800000, v3, 0x2f800000
	s_delay_alu instid0(VALU_DEP_2) | instskip(NEXT) | instid1(VALU_DEP_3)
	v_add_co_u32 v23, vcc_lo, s6, v23
	v_add_co_ci_u32_e32 v24, vcc_lo, s7, v24, vcc_lo
	s_delay_alu instid0(VALU_DEP_3)
	v_cmp_le_f32_e32 vcc_lo, v3, v43
	v_cndmask_b32_e64 v3, 0, 0x3ff00000, vcc_lo
	global_store_b64 v[23:24], v[2:3], off
.LBB75_23:                              ;   in Loop: Header=BB75_3 Depth=1
	s_or_b32 exec_lo, exec_lo, s41
	s_delay_alu instid0(SALU_CYCLE_1)
	s_and_not1_b32 s42, s38, exec_lo
	s_or_b32 s38, s38, exec_lo
	s_and_not1_b32 s4, s4, exec_lo
	s_and_b32 s3, s3, exec_lo
.LBB75_24:                              ;   in Loop: Header=BB75_3 Depth=1
	s_or_b32 exec_lo, exec_lo, s39
	s_delay_alu instid0(SALU_CYCLE_1)
	s_and_b32 s39, s42, exec_lo
	s_and_b32 s38, s38, exec_lo
	s_and_b32 s4, s4, exec_lo
	s_and_b32 s42, s3, exec_lo
.LBB75_25:                              ;   in Loop: Header=BB75_3 Depth=1
	s_and_not1_saveexec_b32 s2, s40
; %bb.26:                               ;   in Loop: Header=BB75_3 Depth=1
	v_cmp_lt_i32_e32 vcc_lo, 1, v22
	s_and_not1_b32 s3, s42, exec_lo
	s_mov_b32 s37, exec_lo
	s_and_not1_b32 s39, s39, exec_lo
	s_and_not1_b32 s38, s38, exec_lo
	s_and_b32 s40, vcc_lo, exec_lo
	s_and_not1_b32 s4, s4, exec_lo
	s_or_b32 s42, s3, s40
; %bb.27:                               ;   in Loop: Header=BB75_3 Depth=1
	s_or_b32 exec_lo, exec_lo, s2
	s_mov_b32 s3, 0
	s_mov_b32 s40, 0
	;; [unrolled: 1-line block ×3, first 2 shown]
	s_and_saveexec_b32 s41, s42
	s_cbranch_execnz .LBB75_30
; %bb.28:                               ;   in Loop: Header=BB75_3 Depth=1
	s_or_b32 exec_lo, exec_lo, s41
	s_and_saveexec_b32 s1, s37
	s_cbranch_execnz .LBB75_33
.LBB75_29:                              ;   in Loop: Header=BB75_3 Depth=1
	s_or_b32 exec_lo, exec_lo, s1
	s_and_saveexec_b32 s37, s40
	s_cbranch_execnz .LBB75_34
	s_branch .LBB75_37
.LBB75_30:                              ;   in Loop: Header=BB75_3 Depth=1
	v_cmp_le_f32_e32 vcc_lo, 0, v42
	v_cmp_ge_f32_e64 s2, 1.0, v42
	s_delay_alu instid0(VALU_DEP_1) | instskip(NEXT) | instid1(SALU_CYCLE_1)
	s_and_b32 s2, vcc_lo, s2
	s_and_saveexec_b32 s42, s2
	s_delay_alu instid0(SALU_CYCLE_1)
	s_xor_b32 s2, exec_lo, s42
	s_cbranch_execz .LBB75_32
; %bb.31:                               ;   in Loop: Header=BB75_3 Depth=1
	v_add_co_u32 v3, vcc_lo, v12, s12
	v_add_co_ci_u32_e32 v21, vcc_lo, s13, v37, vcc_lo
	s_mov_b32 s40, exec_lo
	s_delay_alu instid0(VALU_DEP_2) | instskip(SKIP_1) | instid1(VALU_DEP_3)
	v_cndmask_b32_e64 v23, 0, v3, s1
	v_cvt_f32_u32_e32 v3, v20
	v_cndmask_b32_e64 v24, 0, v21, s1
	s_delay_alu instid0(VALU_DEP_2) | instskip(NEXT) | instid1(VALU_DEP_2)
	v_fmaak_f32 v3, 0x2f800000, v3, 0x2f800000
	v_lshlrev_b64 v[20:21], 3, v[23:24]
	s_delay_alu instid0(VALU_DEP_1) | instskip(NEXT) | instid1(VALU_DEP_2)
	v_add_co_u32 v20, vcc_lo, s6, v20
	v_add_co_ci_u32_e32 v21, vcc_lo, s7, v21, vcc_lo
	s_delay_alu instid0(VALU_DEP_4)
	v_cmp_le_f32_e32 vcc_lo, v3, v42
	v_cndmask_b32_e64 v3, 0, 0x3ff00000, vcc_lo
	global_store_b64 v[20:21], v[2:3], off
.LBB75_32:                              ;   in Loop: Header=BB75_3 Depth=1
	s_or_b32 exec_lo, exec_lo, s2
	s_delay_alu instid0(SALU_CYCLE_1)
	s_and_not1_b32 s2, s39, exec_lo
	s_or_b32 s39, s39, exec_lo
	s_and_not1_b32 s38, s38, exec_lo
	s_and_not1_b32 s4, s4, exec_lo
	s_and_b32 s40, s40, exec_lo
	s_and_not1_b32 s37, s37, exec_lo
	s_or_b32 exec_lo, exec_lo, s41
	s_and_saveexec_b32 s1, s37
	s_cbranch_execz .LBB75_29
.LBB75_33:                              ;   in Loop: Header=BB75_3 Depth=1
	v_cmp_eq_u32_e32 vcc_lo, 1, v22
	s_and_not1_b32 s37, s40, exec_lo
	s_mov_b32 s3, exec_lo
	s_and_not1_b32 s2, s2, exec_lo
	s_and_not1_b32 s39, s39, exec_lo
	s_and_b32 s40, vcc_lo, exec_lo
	s_and_not1_b32 s38, s38, exec_lo
	s_and_not1_b32 s4, s4, exec_lo
	s_or_b32 s40, s37, s40
	s_or_b32 exec_lo, exec_lo, s1
	s_and_saveexec_b32 s37, s40
	s_cbranch_execz .LBB75_37
.LBB75_34:                              ;   in Loop: Header=BB75_3 Depth=1
	v_cmp_le_f32_e32 vcc_lo, 0, v41
	v_cmp_ge_f32_e64 s1, 1.0, v41
	s_delay_alu instid0(VALU_DEP_1)
	s_and_b32 s41, vcc_lo, s1
	s_mov_b32 s1, 0
	s_and_saveexec_b32 s40, s41
	s_cbranch_execz .LBB75_36
; %bb.35:                               ;   in Loop: Header=BB75_3 Depth=1
	v_add_co_u32 v3, vcc_lo, v7, s12
	v_add_co_ci_u32_e32 v20, vcc_lo, s13, v8, vcc_lo
	s_mov_b32 s1, exec_lo
	s_delay_alu instid0(VALU_DEP_1) | instskip(NEXT) | instid1(VALU_DEP_3)
	v_cndmask_b32_e64 v21, 0, v20, s0
	v_cndmask_b32_e64 v20, 0, v3, s0
	v_cvt_f32_u32_e32 v3, v19
	s_delay_alu instid0(VALU_DEP_2) | instskip(NEXT) | instid1(VALU_DEP_2)
	v_lshlrev_b64 v[19:20], 3, v[20:21]
	v_fmaak_f32 v3, 0x2f800000, v3, 0x2f800000
	s_delay_alu instid0(VALU_DEP_2) | instskip(NEXT) | instid1(VALU_DEP_3)
	v_add_co_u32 v19, vcc_lo, s6, v19
	v_add_co_ci_u32_e32 v20, vcc_lo, s7, v20, vcc_lo
	s_delay_alu instid0(VALU_DEP_3)
	v_cmp_le_f32_e32 vcc_lo, v3, v41
	v_cndmask_b32_e64 v3, 0, 0x3ff00000, vcc_lo
	global_store_b64 v[19:20], v[2:3], off
.LBB75_36:                              ;   in Loop: Header=BB75_3 Depth=1
	s_or_b32 exec_lo, exec_lo, s40
	s_delay_alu instid0(SALU_CYCLE_1)
	s_and_not1_b32 s0, s3, exec_lo
	s_and_b32 s1, s1, exec_lo
	s_or_b32 s2, s2, exec_lo
	s_and_not1_b32 s39, s39, exec_lo
	s_and_not1_b32 s38, s38, exec_lo
	;; [unrolled: 1-line block ×3, first 2 shown]
	s_or_b32 s3, s0, s1
.LBB75_37:                              ;   in Loop: Header=BB75_3 Depth=1
	s_or_b32 exec_lo, exec_lo, s37
	s_delay_alu instid0(SALU_CYCLE_1)
	s_and_not1_b32 s1, s36, exec_lo
	s_and_b32 s2, s2, exec_lo
	s_and_not1_b32 s34, s34, exec_lo
	s_and_b32 s37, s39, exec_lo
	s_or_b32 s36, s1, s2
	s_and_not1_b32 s1, s35, exec_lo
	s_and_b32 s2, s38, exec_lo
	s_and_not1_b32 s33, s33, exec_lo
	s_and_b32 s4, s4, exec_lo
	s_mov_b32 s0, -1
	s_or_b32 s34, s34, s37
	s_or_b32 s35, s1, s2
	s_or_b32 s33, s33, s4
	s_and_saveexec_b32 s1, s3
	s_cbranch_execz .LBB75_2
; %bb.38:                               ;   in Loop: Header=BB75_3 Depth=1
	v_add_co_u32 v4, vcc_lo, v4, s15
	v_add_co_ci_u32_e32 v5, vcc_lo, 0, v5, vcc_lo
	v_subrev_nc_u32_e32 v0, s15, v0
	s_add_u32 s12, s12, s25
	s_addc_u32 s13, s13, s24
	s_delay_alu instid0(VALU_DEP_2)
	v_cmp_le_u64_e32 vcc_lo, s[16:17], v[4:5]
	s_add_u32 s10, s10, s28
	s_addc_u32 s11, s11, s27
	s_and_not1_b32 s36, s36, exec_lo
	s_and_not1_b32 s34, s34, exec_lo
	;; [unrolled: 1-line block ×4, first 2 shown]
	s_or_not1_b32 s0, vcc_lo, exec_lo
	s_branch .LBB75_2
.LBB75_39:
	s_or_b32 exec_lo, exec_lo, s5
	s_xor_b32 s3, s30, -1
	s_xor_b32 s4, s31, -1
	;; [unrolled: 1-line block ×3, first 2 shown]
	s_mov_b32 s1, 0
	s_and_saveexec_b32 s2, s0
	s_delay_alu instid0(SALU_CYCLE_1)
	s_xor_b32 s0, exec_lo, s2
	s_cbranch_execz .LBB75_48
; %bb.40:
	s_mov_b32 s2, 0
	s_and_saveexec_b32 s1, s4
	s_delay_alu instid0(SALU_CYCLE_1)
	s_xor_b32 s1, exec_lo, s1
	s_cbranch_execz .LBB75_46
; %bb.41:
	s_and_saveexec_b32 s4, s3
	s_delay_alu instid0(SALU_CYCLE_1)
	s_xor_b32 s3, exec_lo, s4
	s_cbranch_execz .LBB75_44
; %bb.42:
	s_and_saveexec_b32 s4, s26
	s_delay_alu instid0(SALU_CYCLE_1)
	s_xor_b32 s4, exec_lo, s4
	s_cbranch_execnz .LBB75_62
.LBB75_43:
	s_or_b32 exec_lo, exec_lo, s4
	s_delay_alu instid0(SALU_CYCLE_1)
	s_and_b32 s2, s2, exec_lo
.LBB75_44:
	s_and_not1_saveexec_b32 s3, s3
	s_cbranch_execnz .LBB75_58
.LBB75_45:
	s_or_b32 exec_lo, exec_lo, s3
	s_delay_alu instid0(SALU_CYCLE_1)
	s_and_b32 s2, s2, exec_lo
.LBB75_46:
	s_and_not1_saveexec_b32 s1, s1
	s_cbranch_execnz .LBB75_54
.LBB75_47:
	s_or_b32 exec_lo, exec_lo, s1
	s_delay_alu instid0(SALU_CYCLE_1)
	s_and_b32 s1, s2, exec_lo
.LBB75_48:
	s_and_not1_saveexec_b32 s0, s0
	s_cbranch_execnz .LBB75_52
; %bb.49:
	s_or_b32 exec_lo, exec_lo, s0
	s_delay_alu instid0(SALU_CYCLE_1)
	s_and_b32 exec_lo, exec_lo, s1
.LBB75_50:
	; divergent unreachable
.LBB75_51:
	s_nop 0
	s_sendmsg sendmsg(MSG_DEALLOC_VGPRS)
	s_endpgm
.LBB75_52:
	s_cbranch_execnz .LBB75_56
; %bb.53:
	s_or_b32 s1, s1, exec_lo
	s_or_b32 exec_lo, exec_lo, s0
	s_delay_alu instid0(SALU_CYCLE_1)
	s_and_b32 exec_lo, exec_lo, s1
	s_cbranch_execnz .LBB75_50
	s_branch .LBB75_51
.LBB75_54:
	s_cbranch_execnz .LBB75_60
; %bb.55:
	s_or_b32 s2, s2, exec_lo
	s_branch .LBB75_47
.LBB75_56:
	s_trap 2
	s_sendmsg_rtn_b32 s0, sendmsg(MSG_RTN_GET_DOORBELL)
	s_mov_b32 ttmp2, m0
	s_waitcnt lgkmcnt(0)
	s_and_b32 s0, s0, 0x3ff
	s_delay_alu instid0(SALU_CYCLE_1) | instskip(NEXT) | instid1(SALU_CYCLE_1)
	s_bitset1_b32 s0, 10
	s_mov_b32 m0, s0
	s_sendmsg sendmsg(MSG_INTERRUPT)
	s_mov_b32 m0, ttmp2
.LBB75_57:                              ; =>This Inner Loop Header: Depth=1
	s_sethalt 5
	s_branch .LBB75_57
.LBB75_58:
	s_cbranch_execnz .LBB75_64
; %bb.59:
	s_or_b32 s2, s2, exec_lo
	s_branch .LBB75_45
.LBB75_60:
	s_trap 2
	s_sendmsg_rtn_b32 s0, sendmsg(MSG_RTN_GET_DOORBELL)
	s_mov_b32 ttmp2, m0
	s_waitcnt lgkmcnt(0)
	s_and_b32 s0, s0, 0x3ff
	s_delay_alu instid0(SALU_CYCLE_1) | instskip(NEXT) | instid1(SALU_CYCLE_1)
	s_bitset1_b32 s0, 10
	s_mov_b32 m0, s0
	s_sendmsg sendmsg(MSG_INTERRUPT)
	s_mov_b32 m0, ttmp2
.LBB75_61:                              ; =>This Inner Loop Header: Depth=1
	s_sethalt 5
	s_branch .LBB75_61
.LBB75_62:
	s_cbranch_execnz .LBB75_66
; %bb.63:
	s_mov_b32 s2, exec_lo
	s_branch .LBB75_43
.LBB75_64:
	s_trap 2
	s_sendmsg_rtn_b32 s0, sendmsg(MSG_RTN_GET_DOORBELL)
	s_mov_b32 ttmp2, m0
	s_waitcnt lgkmcnt(0)
	s_and_b32 s0, s0, 0x3ff
	s_delay_alu instid0(SALU_CYCLE_1) | instskip(NEXT) | instid1(SALU_CYCLE_1)
	s_bitset1_b32 s0, 10
	s_mov_b32 m0, s0
	s_sendmsg sendmsg(MSG_INTERRUPT)
	s_mov_b32 m0, ttmp2
.LBB75_65:                              ; =>This Inner Loop Header: Depth=1
	s_sethalt 5
	s_branch .LBB75_65
.LBB75_66:
	s_trap 2
	s_sendmsg_rtn_b32 s0, sendmsg(MSG_RTN_GET_DOORBELL)
	s_mov_b32 ttmp2, m0
	s_waitcnt lgkmcnt(0)
	s_and_b32 s0, s0, 0x3ff
	s_delay_alu instid0(SALU_CYCLE_1) | instskip(NEXT) | instid1(SALU_CYCLE_1)
	s_bitset1_b32 s0, 10
	s_mov_b32 m0, s0
	s_sendmsg sendmsg(MSG_INTERRUPT)
	s_mov_b32 m0, ttmp2
.LBB75_67:                              ; =>This Inner Loop Header: Depth=1
	s_sethalt 5
	s_branch .LBB75_67
	.section	.rodata,"a",@progbits
	.p2align	6, 0x0
	.amdhsa_kernel _ZN2at4cuda12_GLOBAL__N_121kernelPointwiseApply2IZNS_6native9templates4cuda28bernoulli_tensor_cuda_kernelIdfEEvRKNS_10TensorBaseES9_NS_15PhiloxCudaStateEEUliRdSB_SB_SB_RKfSD_SD_SD_E_dSC_mLi1ELi1ELi4ELi512ELi2EEEvNS0_6detail10TensorInfoIT0_T2_EENSG_IT1_SI_EESI_T_
		.amdhsa_group_segment_fixed_size 0
		.amdhsa_private_segment_fixed_size 0
		.amdhsa_kernarg_size 1128
		.amdhsa_user_sgpr_count 15
		.amdhsa_user_sgpr_dispatch_ptr 0
		.amdhsa_user_sgpr_queue_ptr 0
		.amdhsa_user_sgpr_kernarg_segment_ptr 1
		.amdhsa_user_sgpr_dispatch_id 0
		.amdhsa_user_sgpr_private_segment_size 0
		.amdhsa_wavefront_size32 1
		.amdhsa_uses_dynamic_stack 0
		.amdhsa_enable_private_segment 0
		.amdhsa_system_sgpr_workgroup_id_x 1
		.amdhsa_system_sgpr_workgroup_id_y 0
		.amdhsa_system_sgpr_workgroup_id_z 0
		.amdhsa_system_sgpr_workgroup_info 0
		.amdhsa_system_vgpr_workitem_id 0
		.amdhsa_next_free_vgpr 52
		.amdhsa_next_free_sgpr 43
		.amdhsa_reserve_vcc 1
		.amdhsa_float_round_mode_32 0
		.amdhsa_float_round_mode_16_64 0
		.amdhsa_float_denorm_mode_32 3
		.amdhsa_float_denorm_mode_16_64 3
		.amdhsa_dx10_clamp 1
		.amdhsa_ieee_mode 1
		.amdhsa_fp16_overflow 0
		.amdhsa_workgroup_processor_mode 1
		.amdhsa_memory_ordered 1
		.amdhsa_forward_progress 0
		.amdhsa_shared_vgpr_count 0
		.amdhsa_exception_fp_ieee_invalid_op 0
		.amdhsa_exception_fp_denorm_src 0
		.amdhsa_exception_fp_ieee_div_zero 0
		.amdhsa_exception_fp_ieee_overflow 0
		.amdhsa_exception_fp_ieee_underflow 0
		.amdhsa_exception_fp_ieee_inexact 0
		.amdhsa_exception_int_div_zero 0
	.end_amdhsa_kernel
	.section	.text._ZN2at4cuda12_GLOBAL__N_121kernelPointwiseApply2IZNS_6native9templates4cuda28bernoulli_tensor_cuda_kernelIdfEEvRKNS_10TensorBaseES9_NS_15PhiloxCudaStateEEUliRdSB_SB_SB_RKfSD_SD_SD_E_dSC_mLi1ELi1ELi4ELi512ELi2EEEvNS0_6detail10TensorInfoIT0_T2_EENSG_IT1_SI_EESI_T_,"axG",@progbits,_ZN2at4cuda12_GLOBAL__N_121kernelPointwiseApply2IZNS_6native9templates4cuda28bernoulli_tensor_cuda_kernelIdfEEvRKNS_10TensorBaseES9_NS_15PhiloxCudaStateEEUliRdSB_SB_SB_RKfSD_SD_SD_E_dSC_mLi1ELi1ELi4ELi512ELi2EEEvNS0_6detail10TensorInfoIT0_T2_EENSG_IT1_SI_EESI_T_,comdat
.Lfunc_end75:
	.size	_ZN2at4cuda12_GLOBAL__N_121kernelPointwiseApply2IZNS_6native9templates4cuda28bernoulli_tensor_cuda_kernelIdfEEvRKNS_10TensorBaseES9_NS_15PhiloxCudaStateEEUliRdSB_SB_SB_RKfSD_SD_SD_E_dSC_mLi1ELi1ELi4ELi512ELi2EEEvNS0_6detail10TensorInfoIT0_T2_EENSG_IT1_SI_EESI_T_, .Lfunc_end75-_ZN2at4cuda12_GLOBAL__N_121kernelPointwiseApply2IZNS_6native9templates4cuda28bernoulli_tensor_cuda_kernelIdfEEvRKNS_10TensorBaseES9_NS_15PhiloxCudaStateEEUliRdSB_SB_SB_RKfSD_SD_SD_E_dSC_mLi1ELi1ELi4ELi512ELi2EEEvNS0_6detail10TensorInfoIT0_T2_EENSG_IT1_SI_EESI_T_
                                        ; -- End function
	.section	.AMDGPU.csdata,"",@progbits
; Kernel info:
; codeLenInByte = 3568
; NumSgprs: 45
; NumVgprs: 52
; ScratchSize: 0
; MemoryBound: 0
; FloatMode: 240
; IeeeMode: 1
; LDSByteSize: 0 bytes/workgroup (compile time only)
; SGPRBlocks: 5
; VGPRBlocks: 6
; NumSGPRsForWavesPerEU: 45
; NumVGPRsForWavesPerEU: 52
; Occupancy: 16
; WaveLimiterHint : 1
; COMPUTE_PGM_RSRC2:SCRATCH_EN: 0
; COMPUTE_PGM_RSRC2:USER_SGPR: 15
; COMPUTE_PGM_RSRC2:TRAP_HANDLER: 0
; COMPUTE_PGM_RSRC2:TGID_X_EN: 1
; COMPUTE_PGM_RSRC2:TGID_Y_EN: 0
; COMPUTE_PGM_RSRC2:TGID_Z_EN: 0
; COMPUTE_PGM_RSRC2:TIDIG_COMP_CNT: 0
	.section	.text._ZN2at4cuda12_GLOBAL__N_121kernelPointwiseApply2IZNS_6native9templates4cuda28bernoulli_tensor_cuda_kernelIdfEEvRKNS_10TensorBaseES9_NS_15PhiloxCudaStateEEUliRdSB_SB_SB_RKfSD_SD_SD_E_dSC_mLin1ELin1ELi4ELi512ELi2EEEvNS0_6detail10TensorInfoIT0_T2_EENSG_IT1_SI_EESI_T_,"axG",@progbits,_ZN2at4cuda12_GLOBAL__N_121kernelPointwiseApply2IZNS_6native9templates4cuda28bernoulli_tensor_cuda_kernelIdfEEvRKNS_10TensorBaseES9_NS_15PhiloxCudaStateEEUliRdSB_SB_SB_RKfSD_SD_SD_E_dSC_mLin1ELin1ELi4ELi512ELi2EEEvNS0_6detail10TensorInfoIT0_T2_EENSG_IT1_SI_EESI_T_,comdat
	.globl	_ZN2at4cuda12_GLOBAL__N_121kernelPointwiseApply2IZNS_6native9templates4cuda28bernoulli_tensor_cuda_kernelIdfEEvRKNS_10TensorBaseES9_NS_15PhiloxCudaStateEEUliRdSB_SB_SB_RKfSD_SD_SD_E_dSC_mLin1ELin1ELi4ELi512ELi2EEEvNS0_6detail10TensorInfoIT0_T2_EENSG_IT1_SI_EESI_T_ ; -- Begin function _ZN2at4cuda12_GLOBAL__N_121kernelPointwiseApply2IZNS_6native9templates4cuda28bernoulli_tensor_cuda_kernelIdfEEvRKNS_10TensorBaseES9_NS_15PhiloxCudaStateEEUliRdSB_SB_SB_RKfSD_SD_SD_E_dSC_mLin1ELin1ELi4ELi512ELi2EEEvNS0_6detail10TensorInfoIT0_T2_EENSG_IT1_SI_EESI_T_
	.p2align	8
	.type	_ZN2at4cuda12_GLOBAL__N_121kernelPointwiseApply2IZNS_6native9templates4cuda28bernoulli_tensor_cuda_kernelIdfEEvRKNS_10TensorBaseES9_NS_15PhiloxCudaStateEEUliRdSB_SB_SB_RKfSD_SD_SD_E_dSC_mLin1ELin1ELi4ELi512ELi2EEEvNS0_6detail10TensorInfoIT0_T2_EENSG_IT1_SI_EESI_T_,@function
_ZN2at4cuda12_GLOBAL__N_121kernelPointwiseApply2IZNS_6native9templates4cuda28bernoulli_tensor_cuda_kernelIdfEEvRKNS_10TensorBaseES9_NS_15PhiloxCudaStateEEUliRdSB_SB_SB_RKfSD_SD_SD_E_dSC_mLin1ELin1ELi4ELi512ELi2EEEvNS0_6detail10TensorInfoIT0_T2_EENSG_IT1_SI_EESI_T_: ; @_ZN2at4cuda12_GLOBAL__N_121kernelPointwiseApply2IZNS_6native9templates4cuda28bernoulli_tensor_cuda_kernelIdfEEvRKNS_10TensorBaseES9_NS_15PhiloxCudaStateEEUliRdSB_SB_SB_RKfSD_SD_SD_E_dSC_mLin1ELin1ELi4ELi512ELi2EEEvNS0_6detail10TensorInfoIT0_T2_EENSG_IT1_SI_EESI_T_
; %bb.0:
	s_clause 0x1
	s_load_b32 s12, s[0:1], 0x374
	s_load_b256 s[4:11], s[0:1], 0x340
	s_add_u32 s2, s0, 0x368
	s_addc_u32 s3, s1, 0
	s_waitcnt lgkmcnt(0)
	s_and_b32 s18, s12, 0xffff
	s_mov_b32 s12, exec_lo
	v_mad_u64_u32 v[1:2], null, s15, s18, v[0:1]
	v_mov_b32_e32 v2, 0
	s_delay_alu instid0(VALU_DEP_1) | instskip(NEXT) | instid1(VALU_DEP_1)
	v_dual_mov_b32 v5, v2 :: v_dual_lshlrev_b32 v4, 2, v1
	v_cmpx_gt_u64_e64 s[4:5], v[4:5]
	s_cbranch_execz .LBB76_122
; %bb.1:
	s_clause 0x2
	s_load_b32 s22, s[0:1], 0x198
	s_load_b32 s23, s[0:1], 0x338
	;; [unrolled: 1-line block ×4, first 2 shown]
	s_add_u32 s24, s0, 0x1a0
	s_addc_u32 s25, s1, 0
	s_clause 0x3
	s_load_b64 s[2:3], s[0:1], 0x270
	s_load_b64 s[12:13], s[0:1], 0x1a0
	;; [unrolled: 1-line block ×4, first 2 shown]
	s_mov_b32 s19, 0
	v_mad_u64_u32 v[6:7], null, 0xcd9e8d57, v1, 0
                                        ; implicit-def: $sgpr35
                                        ; implicit-def: $sgpr37
                                        ; implicit-def: $sgpr36
                                        ; implicit-def: $sgpr38
                                        ; implicit-def: $sgpr40
                                        ; implicit-def: $sgpr39
                                        ; implicit-def: $sgpr41
	s_delay_alu instid0(VALU_DEP_1)
	v_mov_b32_e32 v0, v7
	s_waitcnt lgkmcnt(0)
	s_cmp_gt_i32 s22, 1
	s_cselect_b32 s28, -1, 0
	s_cmp_gt_i32 s23, 1
	s_mul_i32 s21, s21, s18
	s_cselect_b32 s29, -1, 0
	s_bitcmp1_b32 s20, 0
	s_cselect_b32 s30, -1, 0
	s_add_i32 s18, s22, -1
	s_lshl_b32 s31, s21, 2
	s_lshl_b64 s[20:21], s[18:19], 3
	s_add_i32 s33, s22, 1
	s_add_u32 s0, s20, s0
	s_addc_u32 s1, s21, s1
	s_add_u32 s20, s0, 8
	s_addc_u32 s21, s1, 0
	s_add_i32 s18, s23, -1
	s_add_i32 s34, s23, 1
	s_lshl_b64 s[0:1], s[18:19], 3
                                        ; implicit-def: $sgpr18
	s_delay_alu instid0(SALU_CYCLE_1)
	s_add_u32 s0, s0, s24
	s_addc_u32 s1, s1, s25
	s_add_u32 s22, s0, 8
	s_addc_u32 s23, s1, 0
	s_branch .LBB76_3
.LBB76_2:                               ;   in Loop: Header=BB76_3 Depth=1
	s_or_b32 exec_lo, exec_lo, s1
	s_delay_alu instid0(SALU_CYCLE_1) | instskip(NEXT) | instid1(SALU_CYCLE_1)
	s_and_b32 s0, exec_lo, s0
	s_or_b32 s19, s0, s19
	s_and_not1_b32 s0, s18, exec_lo
	s_and_b32 s1, s41, exec_lo
	s_and_not1_b32 s24, s36, exec_lo
	s_and_b32 s25, s39, exec_lo
	s_or_b32 s18, s0, s1
	s_or_b32 s36, s24, s25
	s_and_not1_b32 s0, s37, exec_lo
	s_and_b32 s1, s40, exec_lo
	s_and_not1_b32 s24, s35, exec_lo
	s_and_b32 s25, s38, exec_lo
	s_or_b32 s37, s0, s1
	s_or_b32 s35, s24, s25
	s_and_not1_b32 exec_lo, exec_lo, s19
	s_cbranch_execz .LBB76_110
.LBB76_3:                               ; =>This Loop Header: Depth=1
                                        ;     Child Loop BB76_5 Depth 2
                                        ;     Child Loop BB76_14 Depth 2
	;; [unrolled: 1-line block ×8, first 2 shown]
	v_sub_nc_u32_e32 v32, s4, v4
	v_mov_b32_e32 v7, 0
	v_mov_b32_e32 v8, 0
	s_delay_alu instid0(VALU_DEP_3) | instskip(NEXT) | instid1(VALU_DEP_1)
	v_cmp_lt_i32_e64 s0, 0, v32
	s_and_saveexec_b32 s42, s0
	s_cbranch_execz .LBB76_12
; %bb.4:                                ;   in Loop: Header=BB76_3 Depth=1
	v_dual_mov_b32 v9, 0 :: v_dual_mov_b32 v8, v5
	v_dual_mov_b32 v10, 0 :: v_dual_mov_b32 v7, v4
	;; [unrolled: 1-line block ×3, first 2 shown]
	s_and_not1_b32 vcc_lo, exec_lo, s28
	s_mov_b64 s[24:25], s[20:21]
	s_mov_b32 s43, s33
	s_cbranch_vccnz .LBB76_11
.LBB76_5:                               ;   Parent Loop BB76_3 Depth=1
                                        ; =>  This Inner Loop Header: Depth=2
	s_load_b64 s[26:27], s[24:25], 0x0
                                        ; implicit-def: $vgpr11_vgpr12
	s_mov_b32 s1, exec_lo
	s_waitcnt lgkmcnt(0)
	v_or_b32_e32 v3, s27, v8
	s_delay_alu instid0(VALU_DEP_1)
	v_cmpx_ne_u64_e32 0, v[2:3]
	s_xor_b32 s44, exec_lo, s1
	s_cbranch_execz .LBB76_7
; %bb.6:                                ;   in Loop: Header=BB76_5 Depth=2
	v_cvt_f32_u32_e32 v3, s26
	v_cvt_f32_u32_e32 v11, s27
	s_sub_u32 s1, 0, s26
	s_subb_u32 s45, 0, s27
	s_delay_alu instid0(VALU_DEP_1) | instskip(NEXT) | instid1(VALU_DEP_1)
	v_fmac_f32_e32 v3, 0x4f800000, v11
	v_rcp_f32_e32 v3, v3
	s_waitcnt_depctr 0xfff
	v_mul_f32_e32 v3, 0x5f7ffffc, v3
	s_delay_alu instid0(VALU_DEP_1) | instskip(NEXT) | instid1(VALU_DEP_1)
	v_mul_f32_e32 v11, 0x2f800000, v3
	v_trunc_f32_e32 v11, v11
	s_delay_alu instid0(VALU_DEP_1) | instskip(SKIP_1) | instid1(VALU_DEP_2)
	v_fmac_f32_e32 v3, 0xcf800000, v11
	v_cvt_u32_f32_e32 v11, v11
	v_cvt_u32_f32_e32 v3, v3
	s_delay_alu instid0(VALU_DEP_2) | instskip(NEXT) | instid1(VALU_DEP_2)
	v_mul_lo_u32 v12, s1, v11
	v_mul_hi_u32 v13, s1, v3
	v_mul_lo_u32 v14, s45, v3
	s_delay_alu instid0(VALU_DEP_2) | instskip(SKIP_1) | instid1(VALU_DEP_2)
	v_add_nc_u32_e32 v12, v13, v12
	v_mul_lo_u32 v13, s1, v3
	v_add_nc_u32_e32 v12, v12, v14
	s_delay_alu instid0(VALU_DEP_2) | instskip(NEXT) | instid1(VALU_DEP_2)
	v_mul_hi_u32 v14, v3, v13
	v_mul_lo_u32 v15, v3, v12
	v_mul_hi_u32 v16, v3, v12
	v_mul_hi_u32 v17, v11, v13
	v_mul_lo_u32 v13, v11, v13
	v_mul_hi_u32 v18, v11, v12
	v_mul_lo_u32 v12, v11, v12
	v_add_co_u32 v14, vcc_lo, v14, v15
	v_add_co_ci_u32_e32 v15, vcc_lo, 0, v16, vcc_lo
	s_delay_alu instid0(VALU_DEP_2) | instskip(NEXT) | instid1(VALU_DEP_2)
	v_add_co_u32 v13, vcc_lo, v14, v13
	v_add_co_ci_u32_e32 v13, vcc_lo, v15, v17, vcc_lo
	v_add_co_ci_u32_e32 v14, vcc_lo, 0, v18, vcc_lo
	s_delay_alu instid0(VALU_DEP_2) | instskip(NEXT) | instid1(VALU_DEP_2)
	v_add_co_u32 v12, vcc_lo, v13, v12
	v_add_co_ci_u32_e32 v13, vcc_lo, 0, v14, vcc_lo
	s_delay_alu instid0(VALU_DEP_2) | instskip(NEXT) | instid1(VALU_DEP_2)
	v_add_co_u32 v3, vcc_lo, v3, v12
	v_add_co_ci_u32_e32 v11, vcc_lo, v11, v13, vcc_lo
	s_delay_alu instid0(VALU_DEP_2) | instskip(SKIP_1) | instid1(VALU_DEP_3)
	v_mul_hi_u32 v12, s1, v3
	v_mul_lo_u32 v14, s45, v3
	v_mul_lo_u32 v13, s1, v11
	s_delay_alu instid0(VALU_DEP_1) | instskip(SKIP_1) | instid1(VALU_DEP_2)
	v_add_nc_u32_e32 v12, v12, v13
	v_mul_lo_u32 v13, s1, v3
	v_add_nc_u32_e32 v12, v12, v14
	s_delay_alu instid0(VALU_DEP_2) | instskip(NEXT) | instid1(VALU_DEP_2)
	v_mul_hi_u32 v14, v3, v13
	v_mul_lo_u32 v15, v3, v12
	v_mul_hi_u32 v16, v3, v12
	v_mul_hi_u32 v17, v11, v13
	v_mul_lo_u32 v13, v11, v13
	v_mul_hi_u32 v18, v11, v12
	v_mul_lo_u32 v12, v11, v12
	v_add_co_u32 v14, vcc_lo, v14, v15
	v_add_co_ci_u32_e32 v15, vcc_lo, 0, v16, vcc_lo
	s_delay_alu instid0(VALU_DEP_2) | instskip(NEXT) | instid1(VALU_DEP_2)
	v_add_co_u32 v13, vcc_lo, v14, v13
	v_add_co_ci_u32_e32 v13, vcc_lo, v15, v17, vcc_lo
	v_add_co_ci_u32_e32 v14, vcc_lo, 0, v18, vcc_lo
	s_delay_alu instid0(VALU_DEP_2) | instskip(NEXT) | instid1(VALU_DEP_2)
	v_add_co_u32 v12, vcc_lo, v13, v12
	v_add_co_ci_u32_e32 v13, vcc_lo, 0, v14, vcc_lo
	s_delay_alu instid0(VALU_DEP_2) | instskip(NEXT) | instid1(VALU_DEP_2)
	v_add_co_u32 v3, vcc_lo, v3, v12
	v_add_co_ci_u32_e32 v17, vcc_lo, v11, v13, vcc_lo
	s_delay_alu instid0(VALU_DEP_2) | instskip(SKIP_1) | instid1(VALU_DEP_3)
	v_mul_hi_u32 v18, v7, v3
	v_mad_u64_u32 v[13:14], null, v8, v3, 0
	v_mad_u64_u32 v[11:12], null, v7, v17, 0
	;; [unrolled: 1-line block ×3, first 2 shown]
	s_delay_alu instid0(VALU_DEP_2) | instskip(NEXT) | instid1(VALU_DEP_3)
	v_add_co_u32 v3, vcc_lo, v18, v11
	v_add_co_ci_u32_e32 v11, vcc_lo, 0, v12, vcc_lo
	s_delay_alu instid0(VALU_DEP_2) | instskip(NEXT) | instid1(VALU_DEP_2)
	v_add_co_u32 v3, vcc_lo, v3, v13
	v_add_co_ci_u32_e32 v3, vcc_lo, v11, v14, vcc_lo
	v_add_co_ci_u32_e32 v11, vcc_lo, 0, v16, vcc_lo
	s_delay_alu instid0(VALU_DEP_2) | instskip(NEXT) | instid1(VALU_DEP_2)
	v_add_co_u32 v3, vcc_lo, v3, v15
	v_add_co_ci_u32_e32 v13, vcc_lo, 0, v11, vcc_lo
	s_delay_alu instid0(VALU_DEP_2) | instskip(SKIP_1) | instid1(VALU_DEP_3)
	v_mul_lo_u32 v14, s27, v3
	v_mad_u64_u32 v[11:12], null, s26, v3, 0
	v_mul_lo_u32 v15, s26, v13
	s_delay_alu instid0(VALU_DEP_2) | instskip(NEXT) | instid1(VALU_DEP_2)
	v_sub_co_u32 v11, vcc_lo, v7, v11
	v_add3_u32 v12, v12, v15, v14
	s_delay_alu instid0(VALU_DEP_1) | instskip(NEXT) | instid1(VALU_DEP_1)
	v_sub_nc_u32_e32 v14, v8, v12
	v_subrev_co_ci_u32_e64 v14, s1, s27, v14, vcc_lo
	v_add_co_u32 v15, s1, v3, 2
	s_delay_alu instid0(VALU_DEP_1) | instskip(SKIP_3) | instid1(VALU_DEP_3)
	v_add_co_ci_u32_e64 v16, s1, 0, v13, s1
	v_sub_co_u32 v17, s1, v11, s26
	v_sub_co_ci_u32_e32 v12, vcc_lo, v8, v12, vcc_lo
	v_subrev_co_ci_u32_e64 v14, s1, 0, v14, s1
	v_cmp_le_u32_e32 vcc_lo, s26, v17
	s_delay_alu instid0(VALU_DEP_3) | instskip(SKIP_1) | instid1(VALU_DEP_4)
	v_cmp_eq_u32_e64 s1, s27, v12
	v_cndmask_b32_e64 v17, 0, -1, vcc_lo
	v_cmp_le_u32_e32 vcc_lo, s27, v14
	v_cndmask_b32_e64 v18, 0, -1, vcc_lo
	v_cmp_le_u32_e32 vcc_lo, s26, v11
	;; [unrolled: 2-line block ×3, first 2 shown]
	v_cndmask_b32_e64 v19, 0, -1, vcc_lo
	v_cmp_eq_u32_e32 vcc_lo, s27, v14
	s_delay_alu instid0(VALU_DEP_2) | instskip(SKIP_3) | instid1(VALU_DEP_3)
	v_cndmask_b32_e64 v11, v19, v11, s1
	v_cndmask_b32_e32 v14, v18, v17, vcc_lo
	v_add_co_u32 v17, vcc_lo, v3, 1
	v_add_co_ci_u32_e32 v18, vcc_lo, 0, v13, vcc_lo
	v_cmp_ne_u32_e32 vcc_lo, 0, v14
	s_delay_alu instid0(VALU_DEP_3) | instskip(NEXT) | instid1(VALU_DEP_3)
	v_cndmask_b32_e32 v14, v17, v15, vcc_lo
	v_cndmask_b32_e32 v12, v18, v16, vcc_lo
	v_cmp_ne_u32_e32 vcc_lo, 0, v11
	s_delay_alu instid0(VALU_DEP_2)
	v_dual_cndmask_b32 v11, v3, v14 :: v_dual_cndmask_b32 v12, v13, v12
.LBB76_7:                               ;   in Loop: Header=BB76_5 Depth=2
	s_and_not1_saveexec_b32 s1, s44
	s_cbranch_execz .LBB76_9
; %bb.8:                                ;   in Loop: Header=BB76_5 Depth=2
	v_cvt_f32_u32_e32 v3, s26
	s_sub_i32 s44, 0, s26
	s_delay_alu instid0(VALU_DEP_1) | instskip(SKIP_2) | instid1(VALU_DEP_1)
	v_rcp_iflag_f32_e32 v3, v3
	s_waitcnt_depctr 0xfff
	v_mul_f32_e32 v3, 0x4f7ffffe, v3
	v_cvt_u32_f32_e32 v3, v3
	s_delay_alu instid0(VALU_DEP_1) | instskip(NEXT) | instid1(VALU_DEP_1)
	v_mul_lo_u32 v11, s44, v3
	v_mul_hi_u32 v11, v3, v11
	s_delay_alu instid0(VALU_DEP_1) | instskip(NEXT) | instid1(VALU_DEP_1)
	v_add_nc_u32_e32 v3, v3, v11
	v_mul_hi_u32 v3, v7, v3
	s_delay_alu instid0(VALU_DEP_1) | instskip(NEXT) | instid1(VALU_DEP_1)
	v_mul_lo_u32 v11, v3, s26
	v_sub_nc_u32_e32 v11, v7, v11
	s_delay_alu instid0(VALU_DEP_1) | instskip(SKIP_1) | instid1(VALU_DEP_2)
	v_subrev_nc_u32_e32 v13, s26, v11
	v_cmp_le_u32_e32 vcc_lo, s26, v11
	v_dual_cndmask_b32 v11, v11, v13 :: v_dual_add_nc_u32 v12, 1, v3
	s_delay_alu instid0(VALU_DEP_1) | instskip(NEXT) | instid1(VALU_DEP_2)
	v_cndmask_b32_e32 v3, v3, v12, vcc_lo
	v_cmp_le_u32_e32 vcc_lo, s26, v11
	s_delay_alu instid0(VALU_DEP_2) | instskip(NEXT) | instid1(VALU_DEP_1)
	v_add_nc_u32_e32 v12, 1, v3
	v_dual_cndmask_b32 v11, v3, v12 :: v_dual_mov_b32 v12, v2
.LBB76_9:                               ;   in Loop: Header=BB76_5 Depth=2
	s_or_b32 exec_lo, exec_lo, s1
	s_load_b64 s[44:45], s[24:25], 0xc8
	s_delay_alu instid0(VALU_DEP_1) | instskip(NEXT) | instid1(VALU_DEP_2)
	v_mul_lo_u32 v3, v12, s26
	v_mul_lo_u32 v15, v11, s27
	v_mad_u64_u32 v[13:14], null, v11, s26, 0
	s_add_i32 s43, s43, -1
	s_add_u32 s24, s24, -8
	s_addc_u32 s25, s25, -1
	s_cmp_gt_u32 s43, 2
	s_delay_alu instid0(VALU_DEP_1) | instskip(NEXT) | instid1(VALU_DEP_2)
	v_add3_u32 v3, v14, v15, v3
	v_sub_co_u32 v13, vcc_lo, v7, v13
	s_delay_alu instid0(VALU_DEP_2) | instskip(SKIP_1) | instid1(VALU_DEP_2)
	v_sub_co_ci_u32_e32 v3, vcc_lo, v8, v3, vcc_lo
	s_waitcnt lgkmcnt(0)
	v_mul_lo_u32 v14, s45, v13
	s_delay_alu instid0(VALU_DEP_2) | instskip(SKIP_1) | instid1(VALU_DEP_1)
	v_mul_lo_u32 v3, s44, v3
	v_mad_u64_u32 v[7:8], null, s44, v13, v[9:10]
	v_add3_u32 v10, v14, v8, v3
	s_delay_alu instid0(VALU_DEP_2)
	v_mov_b32_e32 v9, v7
	s_cbranch_scc0 .LBB76_11
; %bb.10:                               ;   in Loop: Header=BB76_5 Depth=2
	v_dual_mov_b32 v7, v11 :: v_dual_mov_b32 v8, v12
	s_branch .LBB76_5
.LBB76_11:                              ;   in Loop: Header=BB76_3 Depth=1
	s_delay_alu instid0(VALU_DEP_1) | instskip(SKIP_2) | instid1(VALU_DEP_1)
	v_mad_u64_u32 v[7:8], null, s14, v11, v[9:10]
	v_mul_lo_u32 v3, s14, v12
	v_mul_lo_u32 v9, s15, v11
	v_add3_u32 v8, v9, v8, v3
.LBB76_12:                              ;   in Loop: Header=BB76_3 Depth=1
	s_or_b32 exec_lo, exec_lo, s42
	v_mov_b32_e32 v11, 0
	v_mov_b32_e32 v12, 0
	s_and_saveexec_b32 s1, s0
	s_cbranch_execz .LBB76_21
; %bb.13:                               ;   in Loop: Header=BB76_3 Depth=1
	v_dual_mov_b32 v9, 0 :: v_dual_mov_b32 v12, v5
	v_dual_mov_b32 v10, 0 :: v_dual_mov_b32 v11, v4
	;; [unrolled: 1-line block ×3, first 2 shown]
	s_and_not1_b32 vcc_lo, exec_lo, s29
	s_mov_b64 s[24:25], s[22:23]
	s_mov_b32 s42, s34
	s_cbranch_vccnz .LBB76_20
.LBB76_14:                              ;   Parent Loop BB76_3 Depth=1
                                        ; =>  This Inner Loop Header: Depth=2
	s_load_b64 s[26:27], s[24:25], 0x0
                                        ; implicit-def: $vgpr13_vgpr14
	s_mov_b32 s0, exec_lo
	s_waitcnt lgkmcnt(0)
	v_or_b32_e32 v3, s27, v12
	s_delay_alu instid0(VALU_DEP_1)
	v_cmpx_ne_u64_e32 0, v[2:3]
	s_xor_b32 s43, exec_lo, s0
	s_cbranch_execz .LBB76_16
; %bb.15:                               ;   in Loop: Header=BB76_14 Depth=2
	v_cvt_f32_u32_e32 v3, s26
	v_cvt_f32_u32_e32 v13, s27
	s_sub_u32 s0, 0, s26
	s_subb_u32 s44, 0, s27
	s_delay_alu instid0(VALU_DEP_1) | instskip(NEXT) | instid1(VALU_DEP_1)
	v_fmac_f32_e32 v3, 0x4f800000, v13
	v_rcp_f32_e32 v3, v3
	s_waitcnt_depctr 0xfff
	v_mul_f32_e32 v3, 0x5f7ffffc, v3
	s_delay_alu instid0(VALU_DEP_1) | instskip(NEXT) | instid1(VALU_DEP_1)
	v_mul_f32_e32 v13, 0x2f800000, v3
	v_trunc_f32_e32 v13, v13
	s_delay_alu instid0(VALU_DEP_1) | instskip(SKIP_1) | instid1(VALU_DEP_2)
	v_fmac_f32_e32 v3, 0xcf800000, v13
	v_cvt_u32_f32_e32 v13, v13
	v_cvt_u32_f32_e32 v3, v3
	s_delay_alu instid0(VALU_DEP_2) | instskip(NEXT) | instid1(VALU_DEP_2)
	v_mul_lo_u32 v14, s0, v13
	v_mul_hi_u32 v15, s0, v3
	v_mul_lo_u32 v16, s44, v3
	s_delay_alu instid0(VALU_DEP_2) | instskip(SKIP_1) | instid1(VALU_DEP_2)
	v_add_nc_u32_e32 v14, v15, v14
	v_mul_lo_u32 v15, s0, v3
	v_add_nc_u32_e32 v14, v14, v16
	s_delay_alu instid0(VALU_DEP_2) | instskip(NEXT) | instid1(VALU_DEP_2)
	v_mul_hi_u32 v16, v3, v15
	v_mul_lo_u32 v17, v3, v14
	v_mul_hi_u32 v18, v3, v14
	v_mul_hi_u32 v19, v13, v15
	v_mul_lo_u32 v15, v13, v15
	v_mul_hi_u32 v20, v13, v14
	v_mul_lo_u32 v14, v13, v14
	v_add_co_u32 v16, vcc_lo, v16, v17
	v_add_co_ci_u32_e32 v17, vcc_lo, 0, v18, vcc_lo
	s_delay_alu instid0(VALU_DEP_2) | instskip(NEXT) | instid1(VALU_DEP_2)
	v_add_co_u32 v15, vcc_lo, v16, v15
	v_add_co_ci_u32_e32 v15, vcc_lo, v17, v19, vcc_lo
	v_add_co_ci_u32_e32 v16, vcc_lo, 0, v20, vcc_lo
	s_delay_alu instid0(VALU_DEP_2) | instskip(NEXT) | instid1(VALU_DEP_2)
	v_add_co_u32 v14, vcc_lo, v15, v14
	v_add_co_ci_u32_e32 v15, vcc_lo, 0, v16, vcc_lo
	s_delay_alu instid0(VALU_DEP_2) | instskip(NEXT) | instid1(VALU_DEP_2)
	v_add_co_u32 v3, vcc_lo, v3, v14
	v_add_co_ci_u32_e32 v13, vcc_lo, v13, v15, vcc_lo
	s_delay_alu instid0(VALU_DEP_2) | instskip(SKIP_1) | instid1(VALU_DEP_3)
	v_mul_hi_u32 v14, s0, v3
	v_mul_lo_u32 v16, s44, v3
	v_mul_lo_u32 v15, s0, v13
	s_delay_alu instid0(VALU_DEP_1) | instskip(SKIP_1) | instid1(VALU_DEP_2)
	v_add_nc_u32_e32 v14, v14, v15
	v_mul_lo_u32 v15, s0, v3
	v_add_nc_u32_e32 v14, v14, v16
	s_delay_alu instid0(VALU_DEP_2) | instskip(NEXT) | instid1(VALU_DEP_2)
	v_mul_hi_u32 v16, v3, v15
	v_mul_lo_u32 v17, v3, v14
	v_mul_hi_u32 v18, v3, v14
	v_mul_hi_u32 v19, v13, v15
	v_mul_lo_u32 v15, v13, v15
	v_mul_hi_u32 v20, v13, v14
	v_mul_lo_u32 v14, v13, v14
	v_add_co_u32 v16, vcc_lo, v16, v17
	v_add_co_ci_u32_e32 v17, vcc_lo, 0, v18, vcc_lo
	s_delay_alu instid0(VALU_DEP_2) | instskip(NEXT) | instid1(VALU_DEP_2)
	v_add_co_u32 v15, vcc_lo, v16, v15
	v_add_co_ci_u32_e32 v15, vcc_lo, v17, v19, vcc_lo
	v_add_co_ci_u32_e32 v16, vcc_lo, 0, v20, vcc_lo
	s_delay_alu instid0(VALU_DEP_2) | instskip(NEXT) | instid1(VALU_DEP_2)
	v_add_co_u32 v14, vcc_lo, v15, v14
	v_add_co_ci_u32_e32 v15, vcc_lo, 0, v16, vcc_lo
	s_delay_alu instid0(VALU_DEP_2) | instskip(NEXT) | instid1(VALU_DEP_2)
	v_add_co_u32 v3, vcc_lo, v3, v14
	v_add_co_ci_u32_e32 v19, vcc_lo, v13, v15, vcc_lo
	s_delay_alu instid0(VALU_DEP_2) | instskip(SKIP_1) | instid1(VALU_DEP_3)
	v_mul_hi_u32 v20, v11, v3
	v_mad_u64_u32 v[15:16], null, v12, v3, 0
	v_mad_u64_u32 v[13:14], null, v11, v19, 0
	;; [unrolled: 1-line block ×3, first 2 shown]
	s_delay_alu instid0(VALU_DEP_2) | instskip(NEXT) | instid1(VALU_DEP_3)
	v_add_co_u32 v3, vcc_lo, v20, v13
	v_add_co_ci_u32_e32 v13, vcc_lo, 0, v14, vcc_lo
	s_delay_alu instid0(VALU_DEP_2) | instskip(NEXT) | instid1(VALU_DEP_2)
	v_add_co_u32 v3, vcc_lo, v3, v15
	v_add_co_ci_u32_e32 v3, vcc_lo, v13, v16, vcc_lo
	v_add_co_ci_u32_e32 v13, vcc_lo, 0, v18, vcc_lo
	s_delay_alu instid0(VALU_DEP_2) | instskip(NEXT) | instid1(VALU_DEP_2)
	v_add_co_u32 v3, vcc_lo, v3, v17
	v_add_co_ci_u32_e32 v15, vcc_lo, 0, v13, vcc_lo
	s_delay_alu instid0(VALU_DEP_2) | instskip(SKIP_1) | instid1(VALU_DEP_3)
	v_mul_lo_u32 v16, s27, v3
	v_mad_u64_u32 v[13:14], null, s26, v3, 0
	v_mul_lo_u32 v17, s26, v15
	s_delay_alu instid0(VALU_DEP_2) | instskip(NEXT) | instid1(VALU_DEP_2)
	v_sub_co_u32 v13, vcc_lo, v11, v13
	v_add3_u32 v14, v14, v17, v16
	s_delay_alu instid0(VALU_DEP_1) | instskip(NEXT) | instid1(VALU_DEP_1)
	v_sub_nc_u32_e32 v16, v12, v14
	v_subrev_co_ci_u32_e64 v16, s0, s27, v16, vcc_lo
	v_add_co_u32 v17, s0, v3, 2
	s_delay_alu instid0(VALU_DEP_1) | instskip(SKIP_3) | instid1(VALU_DEP_3)
	v_add_co_ci_u32_e64 v18, s0, 0, v15, s0
	v_sub_co_u32 v19, s0, v13, s26
	v_sub_co_ci_u32_e32 v14, vcc_lo, v12, v14, vcc_lo
	v_subrev_co_ci_u32_e64 v16, s0, 0, v16, s0
	v_cmp_le_u32_e32 vcc_lo, s26, v19
	s_delay_alu instid0(VALU_DEP_3) | instskip(SKIP_1) | instid1(VALU_DEP_4)
	v_cmp_eq_u32_e64 s0, s27, v14
	v_cndmask_b32_e64 v19, 0, -1, vcc_lo
	v_cmp_le_u32_e32 vcc_lo, s27, v16
	v_cndmask_b32_e64 v20, 0, -1, vcc_lo
	v_cmp_le_u32_e32 vcc_lo, s26, v13
	;; [unrolled: 2-line block ×3, first 2 shown]
	v_cndmask_b32_e64 v21, 0, -1, vcc_lo
	v_cmp_eq_u32_e32 vcc_lo, s27, v16
	s_delay_alu instid0(VALU_DEP_2) | instskip(SKIP_3) | instid1(VALU_DEP_3)
	v_cndmask_b32_e64 v13, v21, v13, s0
	v_cndmask_b32_e32 v16, v20, v19, vcc_lo
	v_add_co_u32 v19, vcc_lo, v3, 1
	v_add_co_ci_u32_e32 v20, vcc_lo, 0, v15, vcc_lo
	v_cmp_ne_u32_e32 vcc_lo, 0, v16
	s_delay_alu instid0(VALU_DEP_3) | instskip(NEXT) | instid1(VALU_DEP_3)
	v_cndmask_b32_e32 v16, v19, v17, vcc_lo
	v_cndmask_b32_e32 v14, v20, v18, vcc_lo
	v_cmp_ne_u32_e32 vcc_lo, 0, v13
	s_delay_alu instid0(VALU_DEP_3) | instskip(NEXT) | instid1(VALU_DEP_3)
	v_cndmask_b32_e32 v13, v3, v16, vcc_lo
	v_cndmask_b32_e32 v14, v15, v14, vcc_lo
.LBB76_16:                              ;   in Loop: Header=BB76_14 Depth=2
	s_and_not1_saveexec_b32 s0, s43
	s_cbranch_execz .LBB76_18
; %bb.17:                               ;   in Loop: Header=BB76_14 Depth=2
	v_cvt_f32_u32_e32 v3, s26
	s_sub_i32 s43, 0, s26
	s_delay_alu instid0(VALU_DEP_1) | instskip(SKIP_2) | instid1(VALU_DEP_1)
	v_rcp_iflag_f32_e32 v3, v3
	s_waitcnt_depctr 0xfff
	v_mul_f32_e32 v3, 0x4f7ffffe, v3
	v_cvt_u32_f32_e32 v3, v3
	s_delay_alu instid0(VALU_DEP_1) | instskip(NEXT) | instid1(VALU_DEP_1)
	v_mul_lo_u32 v13, s43, v3
	v_mul_hi_u32 v13, v3, v13
	s_delay_alu instid0(VALU_DEP_1) | instskip(NEXT) | instid1(VALU_DEP_1)
	v_add_nc_u32_e32 v3, v3, v13
	v_mul_hi_u32 v3, v11, v3
	s_delay_alu instid0(VALU_DEP_1) | instskip(SKIP_1) | instid1(VALU_DEP_2)
	v_mul_lo_u32 v13, v3, s26
	v_add_nc_u32_e32 v14, 1, v3
	v_sub_nc_u32_e32 v13, v11, v13
	s_delay_alu instid0(VALU_DEP_1) | instskip(SKIP_1) | instid1(VALU_DEP_2)
	v_subrev_nc_u32_e32 v15, s26, v13
	v_cmp_le_u32_e32 vcc_lo, s26, v13
	v_cndmask_b32_e32 v13, v13, v15, vcc_lo
	v_cndmask_b32_e32 v3, v3, v14, vcc_lo
	s_delay_alu instid0(VALU_DEP_2) | instskip(NEXT) | instid1(VALU_DEP_2)
	v_cmp_le_u32_e32 vcc_lo, s26, v13
	v_add_nc_u32_e32 v14, 1, v3
	s_delay_alu instid0(VALU_DEP_1)
	v_dual_cndmask_b32 v13, v3, v14 :: v_dual_mov_b32 v14, v2
.LBB76_18:                              ;   in Loop: Header=BB76_14 Depth=2
	s_or_b32 exec_lo, exec_lo, s0
	s_load_b64 s[44:45], s[24:25], 0xc8
	s_delay_alu instid0(VALU_DEP_1) | instskip(NEXT) | instid1(VALU_DEP_2)
	v_mul_lo_u32 v3, v14, s26
	v_mul_lo_u32 v17, v13, s27
	v_mad_u64_u32 v[15:16], null, v13, s26, 0
	s_add_i32 s42, s42, -1
	s_add_u32 s24, s24, -8
	s_addc_u32 s25, s25, -1
	s_cmp_gt_u32 s42, 2
	s_delay_alu instid0(VALU_DEP_1) | instskip(NEXT) | instid1(VALU_DEP_2)
	v_add3_u32 v3, v16, v17, v3
	v_sub_co_u32 v15, vcc_lo, v11, v15
	s_delay_alu instid0(VALU_DEP_2) | instskip(SKIP_1) | instid1(VALU_DEP_2)
	v_sub_co_ci_u32_e32 v3, vcc_lo, v12, v3, vcc_lo
	s_waitcnt lgkmcnt(0)
	v_mul_lo_u32 v16, s45, v15
	s_delay_alu instid0(VALU_DEP_2) | instskip(SKIP_1) | instid1(VALU_DEP_1)
	v_mul_lo_u32 v3, s44, v3
	v_mad_u64_u32 v[11:12], null, s44, v15, v[9:10]
	v_add3_u32 v10, v16, v12, v3
	s_delay_alu instid0(VALU_DEP_2)
	v_mov_b32_e32 v9, v11
	s_cbranch_scc0 .LBB76_20
; %bb.19:                               ;   in Loop: Header=BB76_14 Depth=2
	v_dual_mov_b32 v11, v13 :: v_dual_mov_b32 v12, v14
	s_branch .LBB76_14
.LBB76_20:                              ;   in Loop: Header=BB76_3 Depth=1
	s_delay_alu instid0(VALU_DEP_1) | instskip(SKIP_2) | instid1(VALU_DEP_1)
	v_mad_u64_u32 v[11:12], null, s2, v13, v[9:10]
	v_mul_lo_u32 v3, s2, v14
	v_mul_lo_u32 v9, s3, v13
	v_add3_u32 v12, v9, v12, v3
.LBB76_21:                              ;   in Loop: Header=BB76_3 Depth=1
	s_or_b32 exec_lo, exec_lo, s1
	v_dual_mov_b32 v14, v5 :: v_dual_mov_b32 v9, 0
	v_or_b32_e32 v13, 1, v4
	v_mov_b32_e32 v10, 0
	v_cmp_lt_i32_e64 s0, 1, v32
	s_delay_alu instid0(VALU_DEP_1)
	s_and_saveexec_b32 s42, s0
	s_cbranch_execz .LBB76_30
; %bb.22:                               ;   in Loop: Header=BB76_3 Depth=1
	v_mov_b32_e32 v15, 0
	v_dual_mov_b32 v16, 0 :: v_dual_mov_b32 v9, v13
	v_mov_b32_e32 v10, v14
	v_dual_mov_b32 v18, v14 :: v_dual_mov_b32 v17, v13
	s_and_not1_b32 vcc_lo, exec_lo, s28
	s_mov_b64 s[24:25], s[20:21]
	s_mov_b32 s43, s33
	s_cbranch_vccnz .LBB76_29
.LBB76_23:                              ;   Parent Loop BB76_3 Depth=1
                                        ; =>  This Inner Loop Header: Depth=2
	s_load_b64 s[26:27], s[24:25], 0x0
                                        ; implicit-def: $vgpr17_vgpr18
	s_mov_b32 s1, exec_lo
	s_waitcnt lgkmcnt(0)
	v_or_b32_e32 v3, s27, v10
	s_delay_alu instid0(VALU_DEP_1)
	v_cmpx_ne_u64_e32 0, v[2:3]
	s_xor_b32 s44, exec_lo, s1
	s_cbranch_execz .LBB76_25
; %bb.24:                               ;   in Loop: Header=BB76_23 Depth=2
	v_cvt_f32_u32_e32 v3, s26
	v_cvt_f32_u32_e32 v17, s27
	s_sub_u32 s1, 0, s26
	s_subb_u32 s45, 0, s27
	s_delay_alu instid0(VALU_DEP_1) | instskip(NEXT) | instid1(VALU_DEP_1)
	v_fmac_f32_e32 v3, 0x4f800000, v17
	v_rcp_f32_e32 v3, v3
	s_waitcnt_depctr 0xfff
	v_mul_f32_e32 v3, 0x5f7ffffc, v3
	s_delay_alu instid0(VALU_DEP_1) | instskip(NEXT) | instid1(VALU_DEP_1)
	v_mul_f32_e32 v17, 0x2f800000, v3
	v_trunc_f32_e32 v17, v17
	s_delay_alu instid0(VALU_DEP_1) | instskip(SKIP_1) | instid1(VALU_DEP_2)
	v_fmac_f32_e32 v3, 0xcf800000, v17
	v_cvt_u32_f32_e32 v17, v17
	v_cvt_u32_f32_e32 v3, v3
	s_delay_alu instid0(VALU_DEP_2) | instskip(NEXT) | instid1(VALU_DEP_2)
	v_mul_lo_u32 v18, s1, v17
	v_mul_hi_u32 v19, s1, v3
	v_mul_lo_u32 v20, s45, v3
	s_delay_alu instid0(VALU_DEP_2) | instskip(SKIP_1) | instid1(VALU_DEP_2)
	v_add_nc_u32_e32 v18, v19, v18
	v_mul_lo_u32 v19, s1, v3
	v_add_nc_u32_e32 v18, v18, v20
	s_delay_alu instid0(VALU_DEP_2) | instskip(NEXT) | instid1(VALU_DEP_2)
	v_mul_hi_u32 v20, v3, v19
	v_mul_lo_u32 v21, v3, v18
	v_mul_hi_u32 v22, v3, v18
	v_mul_hi_u32 v23, v17, v19
	v_mul_lo_u32 v19, v17, v19
	v_mul_hi_u32 v24, v17, v18
	v_mul_lo_u32 v18, v17, v18
	v_add_co_u32 v20, vcc_lo, v20, v21
	v_add_co_ci_u32_e32 v21, vcc_lo, 0, v22, vcc_lo
	s_delay_alu instid0(VALU_DEP_2) | instskip(NEXT) | instid1(VALU_DEP_2)
	v_add_co_u32 v19, vcc_lo, v20, v19
	v_add_co_ci_u32_e32 v19, vcc_lo, v21, v23, vcc_lo
	v_add_co_ci_u32_e32 v20, vcc_lo, 0, v24, vcc_lo
	s_delay_alu instid0(VALU_DEP_2) | instskip(NEXT) | instid1(VALU_DEP_2)
	v_add_co_u32 v18, vcc_lo, v19, v18
	v_add_co_ci_u32_e32 v19, vcc_lo, 0, v20, vcc_lo
	s_delay_alu instid0(VALU_DEP_2) | instskip(NEXT) | instid1(VALU_DEP_2)
	v_add_co_u32 v3, vcc_lo, v3, v18
	v_add_co_ci_u32_e32 v17, vcc_lo, v17, v19, vcc_lo
	s_delay_alu instid0(VALU_DEP_2) | instskip(SKIP_1) | instid1(VALU_DEP_3)
	v_mul_hi_u32 v18, s1, v3
	v_mul_lo_u32 v20, s45, v3
	v_mul_lo_u32 v19, s1, v17
	s_delay_alu instid0(VALU_DEP_1) | instskip(SKIP_1) | instid1(VALU_DEP_2)
	v_add_nc_u32_e32 v18, v18, v19
	v_mul_lo_u32 v19, s1, v3
	v_add_nc_u32_e32 v18, v18, v20
	s_delay_alu instid0(VALU_DEP_2) | instskip(NEXT) | instid1(VALU_DEP_2)
	v_mul_hi_u32 v20, v3, v19
	v_mul_lo_u32 v21, v3, v18
	v_mul_hi_u32 v22, v3, v18
	v_mul_hi_u32 v23, v17, v19
	v_mul_lo_u32 v19, v17, v19
	v_mul_hi_u32 v24, v17, v18
	v_mul_lo_u32 v18, v17, v18
	v_add_co_u32 v20, vcc_lo, v20, v21
	v_add_co_ci_u32_e32 v21, vcc_lo, 0, v22, vcc_lo
	s_delay_alu instid0(VALU_DEP_2) | instskip(NEXT) | instid1(VALU_DEP_2)
	v_add_co_u32 v19, vcc_lo, v20, v19
	v_add_co_ci_u32_e32 v19, vcc_lo, v21, v23, vcc_lo
	v_add_co_ci_u32_e32 v20, vcc_lo, 0, v24, vcc_lo
	s_delay_alu instid0(VALU_DEP_2) | instskip(NEXT) | instid1(VALU_DEP_2)
	v_add_co_u32 v18, vcc_lo, v19, v18
	v_add_co_ci_u32_e32 v19, vcc_lo, 0, v20, vcc_lo
	s_delay_alu instid0(VALU_DEP_2) | instskip(NEXT) | instid1(VALU_DEP_2)
	v_add_co_u32 v3, vcc_lo, v3, v18
	v_add_co_ci_u32_e32 v23, vcc_lo, v17, v19, vcc_lo
	s_delay_alu instid0(VALU_DEP_2) | instskip(SKIP_1) | instid1(VALU_DEP_3)
	v_mul_hi_u32 v24, v9, v3
	v_mad_u64_u32 v[19:20], null, v10, v3, 0
	v_mad_u64_u32 v[17:18], null, v9, v23, 0
	;; [unrolled: 1-line block ×3, first 2 shown]
	s_delay_alu instid0(VALU_DEP_2) | instskip(NEXT) | instid1(VALU_DEP_3)
	v_add_co_u32 v3, vcc_lo, v24, v17
	v_add_co_ci_u32_e32 v17, vcc_lo, 0, v18, vcc_lo
	s_delay_alu instid0(VALU_DEP_2) | instskip(NEXT) | instid1(VALU_DEP_2)
	v_add_co_u32 v3, vcc_lo, v3, v19
	v_add_co_ci_u32_e32 v3, vcc_lo, v17, v20, vcc_lo
	v_add_co_ci_u32_e32 v17, vcc_lo, 0, v22, vcc_lo
	s_delay_alu instid0(VALU_DEP_2) | instskip(NEXT) | instid1(VALU_DEP_2)
	v_add_co_u32 v3, vcc_lo, v3, v21
	v_add_co_ci_u32_e32 v19, vcc_lo, 0, v17, vcc_lo
	s_delay_alu instid0(VALU_DEP_2) | instskip(SKIP_1) | instid1(VALU_DEP_3)
	v_mul_lo_u32 v20, s27, v3
	v_mad_u64_u32 v[17:18], null, s26, v3, 0
	v_mul_lo_u32 v21, s26, v19
	s_delay_alu instid0(VALU_DEP_2) | instskip(NEXT) | instid1(VALU_DEP_2)
	v_sub_co_u32 v17, vcc_lo, v9, v17
	v_add3_u32 v18, v18, v21, v20
	s_delay_alu instid0(VALU_DEP_1) | instskip(NEXT) | instid1(VALU_DEP_1)
	v_sub_nc_u32_e32 v20, v10, v18
	v_subrev_co_ci_u32_e64 v20, s1, s27, v20, vcc_lo
	v_add_co_u32 v21, s1, v3, 2
	s_delay_alu instid0(VALU_DEP_1) | instskip(SKIP_3) | instid1(VALU_DEP_3)
	v_add_co_ci_u32_e64 v22, s1, 0, v19, s1
	v_sub_co_u32 v23, s1, v17, s26
	v_sub_co_ci_u32_e32 v18, vcc_lo, v10, v18, vcc_lo
	v_subrev_co_ci_u32_e64 v20, s1, 0, v20, s1
	v_cmp_le_u32_e32 vcc_lo, s26, v23
	s_delay_alu instid0(VALU_DEP_3) | instskip(SKIP_1) | instid1(VALU_DEP_4)
	v_cmp_eq_u32_e64 s1, s27, v18
	v_cndmask_b32_e64 v23, 0, -1, vcc_lo
	v_cmp_le_u32_e32 vcc_lo, s27, v20
	v_cndmask_b32_e64 v24, 0, -1, vcc_lo
	v_cmp_le_u32_e32 vcc_lo, s26, v17
	;; [unrolled: 2-line block ×3, first 2 shown]
	v_cndmask_b32_e64 v25, 0, -1, vcc_lo
	v_cmp_eq_u32_e32 vcc_lo, s27, v20
	s_delay_alu instid0(VALU_DEP_2) | instskip(SKIP_3) | instid1(VALU_DEP_3)
	v_cndmask_b32_e64 v17, v25, v17, s1
	v_cndmask_b32_e32 v20, v24, v23, vcc_lo
	v_add_co_u32 v23, vcc_lo, v3, 1
	v_add_co_ci_u32_e32 v24, vcc_lo, 0, v19, vcc_lo
	v_cmp_ne_u32_e32 vcc_lo, 0, v20
	s_delay_alu instid0(VALU_DEP_3) | instskip(NEXT) | instid1(VALU_DEP_3)
	v_cndmask_b32_e32 v20, v23, v21, vcc_lo
	v_cndmask_b32_e32 v18, v24, v22, vcc_lo
	v_cmp_ne_u32_e32 vcc_lo, 0, v17
	s_delay_alu instid0(VALU_DEP_3) | instskip(NEXT) | instid1(VALU_DEP_3)
	v_cndmask_b32_e32 v17, v3, v20, vcc_lo
	v_cndmask_b32_e32 v18, v19, v18, vcc_lo
.LBB76_25:                              ;   in Loop: Header=BB76_23 Depth=2
	s_and_not1_saveexec_b32 s1, s44
	s_cbranch_execz .LBB76_27
; %bb.26:                               ;   in Loop: Header=BB76_23 Depth=2
	v_cvt_f32_u32_e32 v3, s26
	s_sub_i32 s44, 0, s26
	s_delay_alu instid0(VALU_DEP_1) | instskip(SKIP_2) | instid1(VALU_DEP_1)
	v_rcp_iflag_f32_e32 v3, v3
	s_waitcnt_depctr 0xfff
	v_mul_f32_e32 v3, 0x4f7ffffe, v3
	v_cvt_u32_f32_e32 v3, v3
	s_delay_alu instid0(VALU_DEP_1) | instskip(NEXT) | instid1(VALU_DEP_1)
	v_mul_lo_u32 v17, s44, v3
	v_mul_hi_u32 v17, v3, v17
	s_delay_alu instid0(VALU_DEP_1) | instskip(NEXT) | instid1(VALU_DEP_1)
	v_add_nc_u32_e32 v3, v3, v17
	v_mul_hi_u32 v3, v9, v3
	s_delay_alu instid0(VALU_DEP_1) | instskip(SKIP_1) | instid1(VALU_DEP_2)
	v_mul_lo_u32 v17, v3, s26
	v_add_nc_u32_e32 v18, 1, v3
	v_sub_nc_u32_e32 v17, v9, v17
	s_delay_alu instid0(VALU_DEP_1) | instskip(SKIP_1) | instid1(VALU_DEP_2)
	v_subrev_nc_u32_e32 v19, s26, v17
	v_cmp_le_u32_e32 vcc_lo, s26, v17
	v_cndmask_b32_e32 v17, v17, v19, vcc_lo
	v_cndmask_b32_e32 v3, v3, v18, vcc_lo
	s_delay_alu instid0(VALU_DEP_2) | instskip(NEXT) | instid1(VALU_DEP_2)
	v_cmp_le_u32_e32 vcc_lo, s26, v17
	v_add_nc_u32_e32 v18, 1, v3
	s_delay_alu instid0(VALU_DEP_1)
	v_dual_cndmask_b32 v17, v3, v18 :: v_dual_mov_b32 v18, v2
.LBB76_27:                              ;   in Loop: Header=BB76_23 Depth=2
	s_or_b32 exec_lo, exec_lo, s1
	s_load_b64 s[44:45], s[24:25], 0xc8
	s_delay_alu instid0(VALU_DEP_1) | instskip(NEXT) | instid1(VALU_DEP_2)
	v_mul_lo_u32 v3, v18, s26
	v_mul_lo_u32 v21, v17, s27
	v_mad_u64_u32 v[19:20], null, v17, s26, 0
	s_add_i32 s43, s43, -1
	s_add_u32 s24, s24, -8
	s_addc_u32 s25, s25, -1
	s_cmp_gt_u32 s43, 2
	s_delay_alu instid0(VALU_DEP_1) | instskip(NEXT) | instid1(VALU_DEP_2)
	v_add3_u32 v3, v20, v21, v3
	v_sub_co_u32 v19, vcc_lo, v9, v19
	s_delay_alu instid0(VALU_DEP_2) | instskip(SKIP_1) | instid1(VALU_DEP_2)
	v_sub_co_ci_u32_e32 v3, vcc_lo, v10, v3, vcc_lo
	s_waitcnt lgkmcnt(0)
	v_mul_lo_u32 v20, s45, v19
	s_delay_alu instid0(VALU_DEP_2) | instskip(SKIP_1) | instid1(VALU_DEP_1)
	v_mul_lo_u32 v3, s44, v3
	v_mad_u64_u32 v[9:10], null, s44, v19, v[15:16]
	v_add3_u32 v16, v20, v10, v3
	s_delay_alu instid0(VALU_DEP_2)
	v_mov_b32_e32 v15, v9
	s_cbranch_scc0 .LBB76_29
; %bb.28:                               ;   in Loop: Header=BB76_23 Depth=2
	v_dual_mov_b32 v9, v17 :: v_dual_mov_b32 v10, v18
	s_branch .LBB76_23
.LBB76_29:                              ;   in Loop: Header=BB76_3 Depth=1
	s_delay_alu instid0(VALU_DEP_1) | instskip(SKIP_2) | instid1(VALU_DEP_1)
	v_mad_u64_u32 v[9:10], null, s14, v17, v[15:16]
	v_mul_lo_u32 v3, s14, v18
	v_mul_lo_u32 v15, s15, v17
	v_add3_u32 v10, v15, v10, v3
.LBB76_30:                              ;   in Loop: Header=BB76_3 Depth=1
	s_or_b32 exec_lo, exec_lo, s42
	v_mov_b32_e32 v15, 0
	v_mov_b32_e32 v16, 0
	s_and_saveexec_b32 s1, s0
	s_cbranch_execz .LBB76_33
; %bb.31:                               ;   in Loop: Header=BB76_3 Depth=1
	v_mov_b32_e32 v17, 0
	v_mov_b32_e32 v18, 0
	s_and_not1_b32 vcc_lo, exec_lo, s29
	s_mov_b64 s[24:25], s[22:23]
	s_mov_b32 s42, s34
	s_cbranch_vccz .LBB76_42
.LBB76_32:                              ;   in Loop: Header=BB76_3 Depth=1
	s_delay_alu instid0(VALU_DEP_1) | instskip(NEXT) | instid1(VALU_DEP_2)
	v_mad_u64_u32 v[15:16], null, s2, v13, v[17:18]
	v_mul_lo_u32 v3, s2, v14
	v_mul_lo_u32 v13, s3, v13
	s_delay_alu instid0(VALU_DEP_1)
	v_add3_u32 v16, v13, v16, v3
.LBB76_33:                              ;   in Loop: Header=BB76_3 Depth=1
	s_or_b32 exec_lo, exec_lo, s1
	v_dual_mov_b32 v18, v5 :: v_dual_mov_b32 v13, 0
	v_or_b32_e32 v17, 2, v4
	v_mov_b32_e32 v14, 0
	v_cmp_lt_i32_e64 s0, 2, v32
	s_delay_alu instid0(VALU_DEP_1)
	s_and_saveexec_b32 s42, s0
	s_cbranch_execz .LBB76_47
; %bb.34:                               ;   in Loop: Header=BB76_3 Depth=1
	v_mov_b32_e32 v19, 0
	v_dual_mov_b32 v20, 0 :: v_dual_mov_b32 v13, v17
	v_mov_b32_e32 v14, v18
	v_dual_mov_b32 v22, v18 :: v_dual_mov_b32 v21, v17
	s_and_not1_b32 vcc_lo, exec_lo, s28
	s_mov_b64 s[24:25], s[20:21]
	s_mov_b32 s43, s33
	s_cbranch_vccnz .LBB76_46
.LBB76_35:                              ;   Parent Loop BB76_3 Depth=1
                                        ; =>  This Inner Loop Header: Depth=2
	s_load_b64 s[26:27], s[24:25], 0x0
                                        ; implicit-def: $vgpr21_vgpr22
	s_mov_b32 s1, exec_lo
	s_waitcnt lgkmcnt(0)
	v_or_b32_e32 v3, s27, v14
	s_delay_alu instid0(VALU_DEP_1)
	v_cmpx_ne_u64_e32 0, v[2:3]
	s_xor_b32 s44, exec_lo, s1
	s_cbranch_execz .LBB76_37
; %bb.36:                               ;   in Loop: Header=BB76_35 Depth=2
	v_cvt_f32_u32_e32 v3, s26
	v_cvt_f32_u32_e32 v21, s27
	s_sub_u32 s1, 0, s26
	s_subb_u32 s45, 0, s27
	s_delay_alu instid0(VALU_DEP_1) | instskip(NEXT) | instid1(VALU_DEP_1)
	v_fmac_f32_e32 v3, 0x4f800000, v21
	v_rcp_f32_e32 v3, v3
	s_waitcnt_depctr 0xfff
	v_mul_f32_e32 v3, 0x5f7ffffc, v3
	s_delay_alu instid0(VALU_DEP_1) | instskip(NEXT) | instid1(VALU_DEP_1)
	v_mul_f32_e32 v21, 0x2f800000, v3
	v_trunc_f32_e32 v21, v21
	s_delay_alu instid0(VALU_DEP_1) | instskip(SKIP_1) | instid1(VALU_DEP_2)
	v_fmac_f32_e32 v3, 0xcf800000, v21
	v_cvt_u32_f32_e32 v21, v21
	v_cvt_u32_f32_e32 v3, v3
	s_delay_alu instid0(VALU_DEP_2) | instskip(NEXT) | instid1(VALU_DEP_2)
	v_mul_lo_u32 v22, s1, v21
	v_mul_hi_u32 v23, s1, v3
	v_mul_lo_u32 v24, s45, v3
	s_delay_alu instid0(VALU_DEP_2) | instskip(SKIP_1) | instid1(VALU_DEP_2)
	v_add_nc_u32_e32 v22, v23, v22
	v_mul_lo_u32 v23, s1, v3
	v_add_nc_u32_e32 v22, v22, v24
	s_delay_alu instid0(VALU_DEP_2) | instskip(NEXT) | instid1(VALU_DEP_2)
	v_mul_hi_u32 v24, v3, v23
	v_mul_lo_u32 v25, v3, v22
	v_mul_hi_u32 v26, v3, v22
	v_mul_hi_u32 v27, v21, v23
	v_mul_lo_u32 v23, v21, v23
	v_mul_hi_u32 v28, v21, v22
	v_mul_lo_u32 v22, v21, v22
	v_add_co_u32 v24, vcc_lo, v24, v25
	v_add_co_ci_u32_e32 v25, vcc_lo, 0, v26, vcc_lo
	s_delay_alu instid0(VALU_DEP_2) | instskip(NEXT) | instid1(VALU_DEP_2)
	v_add_co_u32 v23, vcc_lo, v24, v23
	v_add_co_ci_u32_e32 v23, vcc_lo, v25, v27, vcc_lo
	v_add_co_ci_u32_e32 v24, vcc_lo, 0, v28, vcc_lo
	s_delay_alu instid0(VALU_DEP_2) | instskip(NEXT) | instid1(VALU_DEP_2)
	v_add_co_u32 v22, vcc_lo, v23, v22
	v_add_co_ci_u32_e32 v23, vcc_lo, 0, v24, vcc_lo
	s_delay_alu instid0(VALU_DEP_2) | instskip(NEXT) | instid1(VALU_DEP_2)
	v_add_co_u32 v3, vcc_lo, v3, v22
	v_add_co_ci_u32_e32 v21, vcc_lo, v21, v23, vcc_lo
	s_delay_alu instid0(VALU_DEP_2) | instskip(SKIP_1) | instid1(VALU_DEP_3)
	v_mul_hi_u32 v22, s1, v3
	v_mul_lo_u32 v24, s45, v3
	v_mul_lo_u32 v23, s1, v21
	s_delay_alu instid0(VALU_DEP_1) | instskip(SKIP_1) | instid1(VALU_DEP_2)
	v_add_nc_u32_e32 v22, v22, v23
	v_mul_lo_u32 v23, s1, v3
	v_add_nc_u32_e32 v22, v22, v24
	s_delay_alu instid0(VALU_DEP_2) | instskip(NEXT) | instid1(VALU_DEP_2)
	v_mul_hi_u32 v24, v3, v23
	v_mul_lo_u32 v25, v3, v22
	v_mul_hi_u32 v26, v3, v22
	v_mul_hi_u32 v27, v21, v23
	v_mul_lo_u32 v23, v21, v23
	v_mul_hi_u32 v28, v21, v22
	v_mul_lo_u32 v22, v21, v22
	v_add_co_u32 v24, vcc_lo, v24, v25
	v_add_co_ci_u32_e32 v25, vcc_lo, 0, v26, vcc_lo
	s_delay_alu instid0(VALU_DEP_2) | instskip(NEXT) | instid1(VALU_DEP_2)
	v_add_co_u32 v23, vcc_lo, v24, v23
	v_add_co_ci_u32_e32 v23, vcc_lo, v25, v27, vcc_lo
	v_add_co_ci_u32_e32 v24, vcc_lo, 0, v28, vcc_lo
	s_delay_alu instid0(VALU_DEP_2) | instskip(NEXT) | instid1(VALU_DEP_2)
	v_add_co_u32 v22, vcc_lo, v23, v22
	v_add_co_ci_u32_e32 v23, vcc_lo, 0, v24, vcc_lo
	s_delay_alu instid0(VALU_DEP_2) | instskip(NEXT) | instid1(VALU_DEP_2)
	v_add_co_u32 v3, vcc_lo, v3, v22
	v_add_co_ci_u32_e32 v27, vcc_lo, v21, v23, vcc_lo
	s_delay_alu instid0(VALU_DEP_2) | instskip(SKIP_1) | instid1(VALU_DEP_3)
	v_mul_hi_u32 v28, v13, v3
	v_mad_u64_u32 v[23:24], null, v14, v3, 0
	v_mad_u64_u32 v[21:22], null, v13, v27, 0
	;; [unrolled: 1-line block ×3, first 2 shown]
	s_delay_alu instid0(VALU_DEP_2) | instskip(NEXT) | instid1(VALU_DEP_3)
	v_add_co_u32 v3, vcc_lo, v28, v21
	v_add_co_ci_u32_e32 v21, vcc_lo, 0, v22, vcc_lo
	s_delay_alu instid0(VALU_DEP_2) | instskip(NEXT) | instid1(VALU_DEP_2)
	v_add_co_u32 v3, vcc_lo, v3, v23
	v_add_co_ci_u32_e32 v3, vcc_lo, v21, v24, vcc_lo
	v_add_co_ci_u32_e32 v21, vcc_lo, 0, v26, vcc_lo
	s_delay_alu instid0(VALU_DEP_2) | instskip(NEXT) | instid1(VALU_DEP_2)
	v_add_co_u32 v3, vcc_lo, v3, v25
	v_add_co_ci_u32_e32 v23, vcc_lo, 0, v21, vcc_lo
	s_delay_alu instid0(VALU_DEP_2) | instskip(SKIP_1) | instid1(VALU_DEP_3)
	v_mul_lo_u32 v24, s27, v3
	v_mad_u64_u32 v[21:22], null, s26, v3, 0
	v_mul_lo_u32 v25, s26, v23
	s_delay_alu instid0(VALU_DEP_2) | instskip(NEXT) | instid1(VALU_DEP_2)
	v_sub_co_u32 v21, vcc_lo, v13, v21
	v_add3_u32 v22, v22, v25, v24
	s_delay_alu instid0(VALU_DEP_1) | instskip(NEXT) | instid1(VALU_DEP_1)
	v_sub_nc_u32_e32 v24, v14, v22
	v_subrev_co_ci_u32_e64 v24, s1, s27, v24, vcc_lo
	v_add_co_u32 v25, s1, v3, 2
	s_delay_alu instid0(VALU_DEP_1) | instskip(SKIP_3) | instid1(VALU_DEP_3)
	v_add_co_ci_u32_e64 v26, s1, 0, v23, s1
	v_sub_co_u32 v27, s1, v21, s26
	v_sub_co_ci_u32_e32 v22, vcc_lo, v14, v22, vcc_lo
	v_subrev_co_ci_u32_e64 v24, s1, 0, v24, s1
	v_cmp_le_u32_e32 vcc_lo, s26, v27
	s_delay_alu instid0(VALU_DEP_3) | instskip(SKIP_1) | instid1(VALU_DEP_4)
	v_cmp_eq_u32_e64 s1, s27, v22
	v_cndmask_b32_e64 v27, 0, -1, vcc_lo
	v_cmp_le_u32_e32 vcc_lo, s27, v24
	v_cndmask_b32_e64 v28, 0, -1, vcc_lo
	v_cmp_le_u32_e32 vcc_lo, s26, v21
	;; [unrolled: 2-line block ×3, first 2 shown]
	v_cndmask_b32_e64 v29, 0, -1, vcc_lo
	v_cmp_eq_u32_e32 vcc_lo, s27, v24
	s_delay_alu instid0(VALU_DEP_2) | instskip(SKIP_3) | instid1(VALU_DEP_3)
	v_cndmask_b32_e64 v21, v29, v21, s1
	v_cndmask_b32_e32 v24, v28, v27, vcc_lo
	v_add_co_u32 v27, vcc_lo, v3, 1
	v_add_co_ci_u32_e32 v28, vcc_lo, 0, v23, vcc_lo
	v_cmp_ne_u32_e32 vcc_lo, 0, v24
	s_delay_alu instid0(VALU_DEP_3) | instskip(NEXT) | instid1(VALU_DEP_3)
	v_cndmask_b32_e32 v24, v27, v25, vcc_lo
	v_cndmask_b32_e32 v22, v28, v26, vcc_lo
	v_cmp_ne_u32_e32 vcc_lo, 0, v21
	s_delay_alu instid0(VALU_DEP_3) | instskip(NEXT) | instid1(VALU_DEP_3)
	v_cndmask_b32_e32 v21, v3, v24, vcc_lo
	v_cndmask_b32_e32 v22, v23, v22, vcc_lo
.LBB76_37:                              ;   in Loop: Header=BB76_35 Depth=2
	s_and_not1_saveexec_b32 s1, s44
	s_cbranch_execz .LBB76_39
; %bb.38:                               ;   in Loop: Header=BB76_35 Depth=2
	v_cvt_f32_u32_e32 v3, s26
	s_sub_i32 s44, 0, s26
	s_delay_alu instid0(VALU_DEP_1) | instskip(SKIP_2) | instid1(VALU_DEP_1)
	v_rcp_iflag_f32_e32 v3, v3
	s_waitcnt_depctr 0xfff
	v_mul_f32_e32 v3, 0x4f7ffffe, v3
	v_cvt_u32_f32_e32 v3, v3
	s_delay_alu instid0(VALU_DEP_1) | instskip(NEXT) | instid1(VALU_DEP_1)
	v_mul_lo_u32 v21, s44, v3
	v_mul_hi_u32 v21, v3, v21
	s_delay_alu instid0(VALU_DEP_1) | instskip(NEXT) | instid1(VALU_DEP_1)
	v_add_nc_u32_e32 v3, v3, v21
	v_mul_hi_u32 v3, v13, v3
	s_delay_alu instid0(VALU_DEP_1) | instskip(SKIP_1) | instid1(VALU_DEP_2)
	v_mul_lo_u32 v21, v3, s26
	v_add_nc_u32_e32 v22, 1, v3
	v_sub_nc_u32_e32 v21, v13, v21
	s_delay_alu instid0(VALU_DEP_1) | instskip(SKIP_1) | instid1(VALU_DEP_2)
	v_subrev_nc_u32_e32 v23, s26, v21
	v_cmp_le_u32_e32 vcc_lo, s26, v21
	v_cndmask_b32_e32 v21, v21, v23, vcc_lo
	v_cndmask_b32_e32 v3, v3, v22, vcc_lo
	s_delay_alu instid0(VALU_DEP_2) | instskip(NEXT) | instid1(VALU_DEP_2)
	v_cmp_le_u32_e32 vcc_lo, s26, v21
	v_add_nc_u32_e32 v22, 1, v3
	s_delay_alu instid0(VALU_DEP_1)
	v_dual_cndmask_b32 v21, v3, v22 :: v_dual_mov_b32 v22, v2
.LBB76_39:                              ;   in Loop: Header=BB76_35 Depth=2
	s_or_b32 exec_lo, exec_lo, s1
	s_load_b64 s[44:45], s[24:25], 0xc8
	s_delay_alu instid0(VALU_DEP_1) | instskip(NEXT) | instid1(VALU_DEP_2)
	v_mul_lo_u32 v3, v22, s26
	v_mul_lo_u32 v25, v21, s27
	v_mad_u64_u32 v[23:24], null, v21, s26, 0
	s_add_i32 s43, s43, -1
	s_add_u32 s24, s24, -8
	s_addc_u32 s25, s25, -1
	s_cmp_gt_u32 s43, 2
	s_delay_alu instid0(VALU_DEP_1) | instskip(NEXT) | instid1(VALU_DEP_2)
	v_add3_u32 v3, v24, v25, v3
	v_sub_co_u32 v23, vcc_lo, v13, v23
	s_delay_alu instid0(VALU_DEP_2) | instskip(SKIP_1) | instid1(VALU_DEP_2)
	v_sub_co_ci_u32_e32 v3, vcc_lo, v14, v3, vcc_lo
	s_waitcnt lgkmcnt(0)
	v_mul_lo_u32 v24, s45, v23
	s_delay_alu instid0(VALU_DEP_2) | instskip(SKIP_1) | instid1(VALU_DEP_1)
	v_mul_lo_u32 v3, s44, v3
	v_mad_u64_u32 v[13:14], null, s44, v23, v[19:20]
	v_add3_u32 v20, v24, v14, v3
	s_delay_alu instid0(VALU_DEP_2)
	v_mov_b32_e32 v19, v13
	s_cbranch_scc0 .LBB76_46
; %bb.40:                               ;   in Loop: Header=BB76_35 Depth=2
	v_dual_mov_b32 v13, v21 :: v_dual_mov_b32 v14, v22
	s_branch .LBB76_35
.LBB76_41:                              ;   in Loop: Header=BB76_42 Depth=2
	s_or_b32 exec_lo, exec_lo, s0
	s_load_b64 s[44:45], s[24:25], 0xc8
	s_delay_alu instid0(VALU_DEP_1)
	v_mul_lo_u32 v3, v16, s26
	v_mul_lo_u32 v21, v15, s27
	v_mad_u64_u32 v[19:20], null, v15, s26, 0
	s_add_i32 s42, s42, -1
	s_add_u32 s24, s24, -8
	s_addc_u32 s25, s25, -1
	s_cmp_gt_u32 s42, 2
	s_delay_alu instid0(VALU_DEP_1) | instskip(NEXT) | instid1(VALU_DEP_2)
	v_add3_u32 v3, v20, v21, v3
	v_sub_co_u32 v19, vcc_lo, v13, v19
	s_delay_alu instid0(VALU_DEP_2) | instskip(SKIP_1) | instid1(VALU_DEP_2)
	v_sub_co_ci_u32_e32 v3, vcc_lo, v14, v3, vcc_lo
	s_waitcnt lgkmcnt(0)
	v_mul_lo_u32 v20, s45, v19
	s_delay_alu instid0(VALU_DEP_2) | instskip(SKIP_1) | instid1(VALU_DEP_1)
	v_mul_lo_u32 v3, s44, v3
	v_mad_u64_u32 v[13:14], null, s44, v19, v[17:18]
	v_add3_u32 v18, v20, v14, v3
	s_delay_alu instid0(VALU_DEP_2)
	v_mov_b32_e32 v17, v13
	v_dual_mov_b32 v13, v15 :: v_dual_mov_b32 v14, v16
	s_cbranch_scc0 .LBB76_32
.LBB76_42:                              ;   Parent Loop BB76_3 Depth=1
                                        ; =>  This Inner Loop Header: Depth=2
	s_load_b64 s[26:27], s[24:25], 0x0
                                        ; implicit-def: $vgpr15_vgpr16
	s_mov_b32 s0, exec_lo
	s_waitcnt lgkmcnt(0)
	v_or_b32_e32 v3, s27, v14
	s_delay_alu instid0(VALU_DEP_1)
	v_cmpx_ne_u64_e32 0, v[2:3]
	s_xor_b32 s43, exec_lo, s0
	s_cbranch_execz .LBB76_44
; %bb.43:                               ;   in Loop: Header=BB76_42 Depth=2
	v_cvt_f32_u32_e32 v3, s26
	v_cvt_f32_u32_e32 v15, s27
	s_sub_u32 s0, 0, s26
	s_subb_u32 s44, 0, s27
	s_delay_alu instid0(VALU_DEP_1) | instskip(NEXT) | instid1(VALU_DEP_1)
	v_fmac_f32_e32 v3, 0x4f800000, v15
	v_rcp_f32_e32 v3, v3
	s_waitcnt_depctr 0xfff
	v_mul_f32_e32 v3, 0x5f7ffffc, v3
	s_delay_alu instid0(VALU_DEP_1) | instskip(NEXT) | instid1(VALU_DEP_1)
	v_mul_f32_e32 v15, 0x2f800000, v3
	v_trunc_f32_e32 v15, v15
	s_delay_alu instid0(VALU_DEP_1) | instskip(SKIP_1) | instid1(VALU_DEP_2)
	v_fmac_f32_e32 v3, 0xcf800000, v15
	v_cvt_u32_f32_e32 v15, v15
	v_cvt_u32_f32_e32 v3, v3
	s_delay_alu instid0(VALU_DEP_2) | instskip(NEXT) | instid1(VALU_DEP_2)
	v_mul_lo_u32 v16, s0, v15
	v_mul_hi_u32 v19, s0, v3
	v_mul_lo_u32 v20, s44, v3
	s_delay_alu instid0(VALU_DEP_2) | instskip(SKIP_1) | instid1(VALU_DEP_2)
	v_add_nc_u32_e32 v16, v19, v16
	v_mul_lo_u32 v19, s0, v3
	v_add_nc_u32_e32 v16, v16, v20
	s_delay_alu instid0(VALU_DEP_2) | instskip(NEXT) | instid1(VALU_DEP_2)
	v_mul_hi_u32 v20, v3, v19
	v_mul_lo_u32 v21, v3, v16
	v_mul_hi_u32 v22, v3, v16
	v_mul_hi_u32 v23, v15, v19
	v_mul_lo_u32 v19, v15, v19
	v_mul_hi_u32 v24, v15, v16
	v_mul_lo_u32 v16, v15, v16
	v_add_co_u32 v20, vcc_lo, v20, v21
	v_add_co_ci_u32_e32 v21, vcc_lo, 0, v22, vcc_lo
	s_delay_alu instid0(VALU_DEP_2) | instskip(NEXT) | instid1(VALU_DEP_2)
	v_add_co_u32 v19, vcc_lo, v20, v19
	v_add_co_ci_u32_e32 v19, vcc_lo, v21, v23, vcc_lo
	v_add_co_ci_u32_e32 v20, vcc_lo, 0, v24, vcc_lo
	s_delay_alu instid0(VALU_DEP_2) | instskip(NEXT) | instid1(VALU_DEP_2)
	v_add_co_u32 v16, vcc_lo, v19, v16
	v_add_co_ci_u32_e32 v19, vcc_lo, 0, v20, vcc_lo
	s_delay_alu instid0(VALU_DEP_2) | instskip(NEXT) | instid1(VALU_DEP_2)
	v_add_co_u32 v3, vcc_lo, v3, v16
	v_add_co_ci_u32_e32 v15, vcc_lo, v15, v19, vcc_lo
	s_delay_alu instid0(VALU_DEP_2) | instskip(SKIP_1) | instid1(VALU_DEP_3)
	v_mul_hi_u32 v16, s0, v3
	v_mul_lo_u32 v20, s44, v3
	v_mul_lo_u32 v19, s0, v15
	s_delay_alu instid0(VALU_DEP_1) | instskip(SKIP_1) | instid1(VALU_DEP_2)
	v_add_nc_u32_e32 v16, v16, v19
	v_mul_lo_u32 v19, s0, v3
	v_add_nc_u32_e32 v16, v16, v20
	s_delay_alu instid0(VALU_DEP_2) | instskip(NEXT) | instid1(VALU_DEP_2)
	v_mul_hi_u32 v20, v3, v19
	v_mul_lo_u32 v21, v3, v16
	v_mul_hi_u32 v22, v3, v16
	v_mul_hi_u32 v23, v15, v19
	v_mul_lo_u32 v19, v15, v19
	v_mul_hi_u32 v24, v15, v16
	v_mul_lo_u32 v16, v15, v16
	v_add_co_u32 v20, vcc_lo, v20, v21
	v_add_co_ci_u32_e32 v21, vcc_lo, 0, v22, vcc_lo
	s_delay_alu instid0(VALU_DEP_2) | instskip(NEXT) | instid1(VALU_DEP_2)
	v_add_co_u32 v19, vcc_lo, v20, v19
	v_add_co_ci_u32_e32 v19, vcc_lo, v21, v23, vcc_lo
	v_add_co_ci_u32_e32 v20, vcc_lo, 0, v24, vcc_lo
	s_delay_alu instid0(VALU_DEP_2) | instskip(NEXT) | instid1(VALU_DEP_2)
	v_add_co_u32 v16, vcc_lo, v19, v16
	v_add_co_ci_u32_e32 v19, vcc_lo, 0, v20, vcc_lo
	s_delay_alu instid0(VALU_DEP_2) | instskip(NEXT) | instid1(VALU_DEP_2)
	v_add_co_u32 v3, vcc_lo, v3, v16
	v_add_co_ci_u32_e32 v23, vcc_lo, v15, v19, vcc_lo
	s_delay_alu instid0(VALU_DEP_2) | instskip(SKIP_1) | instid1(VALU_DEP_3)
	v_mul_hi_u32 v24, v13, v3
	v_mad_u64_u32 v[19:20], null, v14, v3, 0
	v_mad_u64_u32 v[15:16], null, v13, v23, 0
	;; [unrolled: 1-line block ×3, first 2 shown]
	s_delay_alu instid0(VALU_DEP_2) | instskip(NEXT) | instid1(VALU_DEP_3)
	v_add_co_u32 v3, vcc_lo, v24, v15
	v_add_co_ci_u32_e32 v15, vcc_lo, 0, v16, vcc_lo
	s_delay_alu instid0(VALU_DEP_2) | instskip(NEXT) | instid1(VALU_DEP_2)
	v_add_co_u32 v3, vcc_lo, v3, v19
	v_add_co_ci_u32_e32 v3, vcc_lo, v15, v20, vcc_lo
	v_add_co_ci_u32_e32 v15, vcc_lo, 0, v22, vcc_lo
	s_delay_alu instid0(VALU_DEP_2) | instskip(NEXT) | instid1(VALU_DEP_2)
	v_add_co_u32 v3, vcc_lo, v3, v21
	v_add_co_ci_u32_e32 v19, vcc_lo, 0, v15, vcc_lo
	s_delay_alu instid0(VALU_DEP_2) | instskip(SKIP_1) | instid1(VALU_DEP_3)
	v_mul_lo_u32 v20, s27, v3
	v_mad_u64_u32 v[15:16], null, s26, v3, 0
	v_mul_lo_u32 v21, s26, v19
	s_delay_alu instid0(VALU_DEP_2) | instskip(NEXT) | instid1(VALU_DEP_2)
	v_sub_co_u32 v15, vcc_lo, v13, v15
	v_add3_u32 v16, v16, v21, v20
	s_delay_alu instid0(VALU_DEP_1) | instskip(NEXT) | instid1(VALU_DEP_1)
	v_sub_nc_u32_e32 v20, v14, v16
	v_subrev_co_ci_u32_e64 v20, s0, s27, v20, vcc_lo
	v_add_co_u32 v21, s0, v3, 2
	s_delay_alu instid0(VALU_DEP_1) | instskip(SKIP_3) | instid1(VALU_DEP_3)
	v_add_co_ci_u32_e64 v22, s0, 0, v19, s0
	v_sub_co_u32 v23, s0, v15, s26
	v_sub_co_ci_u32_e32 v16, vcc_lo, v14, v16, vcc_lo
	v_subrev_co_ci_u32_e64 v20, s0, 0, v20, s0
	v_cmp_le_u32_e32 vcc_lo, s26, v23
	s_delay_alu instid0(VALU_DEP_3) | instskip(SKIP_1) | instid1(VALU_DEP_4)
	v_cmp_eq_u32_e64 s0, s27, v16
	v_cndmask_b32_e64 v23, 0, -1, vcc_lo
	v_cmp_le_u32_e32 vcc_lo, s27, v20
	v_cndmask_b32_e64 v24, 0, -1, vcc_lo
	v_cmp_le_u32_e32 vcc_lo, s26, v15
	;; [unrolled: 2-line block ×3, first 2 shown]
	v_cndmask_b32_e64 v25, 0, -1, vcc_lo
	v_cmp_eq_u32_e32 vcc_lo, s27, v20
	s_delay_alu instid0(VALU_DEP_2) | instskip(SKIP_3) | instid1(VALU_DEP_3)
	v_cndmask_b32_e64 v15, v25, v15, s0
	v_cndmask_b32_e32 v20, v24, v23, vcc_lo
	v_add_co_u32 v23, vcc_lo, v3, 1
	v_add_co_ci_u32_e32 v24, vcc_lo, 0, v19, vcc_lo
	v_cmp_ne_u32_e32 vcc_lo, 0, v20
	s_delay_alu instid0(VALU_DEP_2) | instskip(NEXT) | instid1(VALU_DEP_4)
	v_cndmask_b32_e32 v16, v24, v22, vcc_lo
	v_cndmask_b32_e32 v20, v23, v21, vcc_lo
	v_cmp_ne_u32_e32 vcc_lo, 0, v15
	s_delay_alu instid0(VALU_DEP_2) | instskip(NEXT) | instid1(VALU_DEP_4)
	v_cndmask_b32_e32 v15, v3, v20, vcc_lo
	v_cndmask_b32_e32 v16, v19, v16, vcc_lo
.LBB76_44:                              ;   in Loop: Header=BB76_42 Depth=2
	s_and_not1_saveexec_b32 s0, s43
	s_cbranch_execz .LBB76_41
; %bb.45:                               ;   in Loop: Header=BB76_42 Depth=2
	v_cvt_f32_u32_e32 v3, s26
	s_sub_i32 s43, 0, s26
	s_delay_alu instid0(VALU_DEP_1) | instskip(SKIP_2) | instid1(VALU_DEP_1)
	v_rcp_iflag_f32_e32 v3, v3
	s_waitcnt_depctr 0xfff
	v_mul_f32_e32 v3, 0x4f7ffffe, v3
	v_cvt_u32_f32_e32 v3, v3
	s_delay_alu instid0(VALU_DEP_1) | instskip(NEXT) | instid1(VALU_DEP_1)
	v_mul_lo_u32 v15, s43, v3
	v_mul_hi_u32 v15, v3, v15
	s_delay_alu instid0(VALU_DEP_1) | instskip(NEXT) | instid1(VALU_DEP_1)
	v_add_nc_u32_e32 v3, v3, v15
	v_mul_hi_u32 v3, v13, v3
	s_delay_alu instid0(VALU_DEP_1) | instskip(SKIP_1) | instid1(VALU_DEP_2)
	v_mul_lo_u32 v15, v3, s26
	v_add_nc_u32_e32 v16, 1, v3
	v_sub_nc_u32_e32 v15, v13, v15
	s_delay_alu instid0(VALU_DEP_1) | instskip(SKIP_1) | instid1(VALU_DEP_2)
	v_subrev_nc_u32_e32 v19, s26, v15
	v_cmp_le_u32_e32 vcc_lo, s26, v15
	v_cndmask_b32_e32 v15, v15, v19, vcc_lo
	v_cndmask_b32_e32 v3, v3, v16, vcc_lo
	s_delay_alu instid0(VALU_DEP_2) | instskip(NEXT) | instid1(VALU_DEP_2)
	v_cmp_le_u32_e32 vcc_lo, s26, v15
	v_add_nc_u32_e32 v16, 1, v3
	s_delay_alu instid0(VALU_DEP_1)
	v_dual_cndmask_b32 v15, v3, v16 :: v_dual_mov_b32 v16, v2
	s_branch .LBB76_41
.LBB76_46:                              ;   in Loop: Header=BB76_3 Depth=1
	s_delay_alu instid0(VALU_DEP_1) | instskip(SKIP_2) | instid1(VALU_DEP_1)
	v_mad_u64_u32 v[13:14], null, s14, v21, v[19:20]
	v_mul_lo_u32 v3, s14, v22
	v_mul_lo_u32 v19, s15, v21
	v_add3_u32 v14, v19, v14, v3
.LBB76_47:                              ;   in Loop: Header=BB76_3 Depth=1
	s_or_b32 exec_lo, exec_lo, s42
	v_mov_b32_e32 v19, 0
	v_mov_b32_e32 v20, 0
	s_and_saveexec_b32 s1, s0
	s_cbranch_execz .LBB76_50
; %bb.48:                               ;   in Loop: Header=BB76_3 Depth=1
	v_mov_b32_e32 v21, 0
	v_mov_b32_e32 v22, 0
	s_and_not1_b32 vcc_lo, exec_lo, s29
	s_mov_b64 s[24:25], s[22:23]
	s_mov_b32 s42, s34
	s_cbranch_vccz .LBB76_59
.LBB76_49:                              ;   in Loop: Header=BB76_3 Depth=1
	s_delay_alu instid0(VALU_DEP_1) | instskip(NEXT) | instid1(VALU_DEP_2)
	v_mad_u64_u32 v[19:20], null, s2, v17, v[21:22]
	v_mul_lo_u32 v3, s2, v18
	v_mul_lo_u32 v17, s3, v17
	s_delay_alu instid0(VALU_DEP_1)
	v_add3_u32 v20, v17, v20, v3
.LBB76_50:                              ;   in Loop: Header=BB76_3 Depth=1
	s_or_b32 exec_lo, exec_lo, s1
	v_dual_mov_b32 v22, v5 :: v_dual_mov_b32 v17, 0
	v_or_b32_e32 v21, 3, v4
	v_mov_b32_e32 v18, 0
	v_cmp_lt_i32_e64 s0, 3, v32
	s_delay_alu instid0(VALU_DEP_1)
	s_and_saveexec_b32 s42, s0
	s_cbranch_execz .LBB76_64
; %bb.51:                               ;   in Loop: Header=BB76_3 Depth=1
	v_mov_b32_e32 v23, 0
	v_dual_mov_b32 v24, 0 :: v_dual_mov_b32 v17, v21
	v_mov_b32_e32 v18, v22
	v_dual_mov_b32 v26, v22 :: v_dual_mov_b32 v25, v21
	s_and_not1_b32 vcc_lo, exec_lo, s28
	s_mov_b64 s[24:25], s[20:21]
	s_mov_b32 s43, s33
	s_cbranch_vccnz .LBB76_63
.LBB76_52:                              ;   Parent Loop BB76_3 Depth=1
                                        ; =>  This Inner Loop Header: Depth=2
	s_load_b64 s[26:27], s[24:25], 0x0
                                        ; implicit-def: $vgpr25_vgpr26
	s_mov_b32 s1, exec_lo
	s_waitcnt lgkmcnt(0)
	v_or_b32_e32 v3, s27, v18
	s_delay_alu instid0(VALU_DEP_1)
	v_cmpx_ne_u64_e32 0, v[2:3]
	s_xor_b32 s44, exec_lo, s1
	s_cbranch_execz .LBB76_54
; %bb.53:                               ;   in Loop: Header=BB76_52 Depth=2
	v_cvt_f32_u32_e32 v3, s26
	v_cvt_f32_u32_e32 v25, s27
	s_sub_u32 s1, 0, s26
	s_subb_u32 s45, 0, s27
	s_delay_alu instid0(VALU_DEP_1) | instskip(NEXT) | instid1(VALU_DEP_1)
	v_fmac_f32_e32 v3, 0x4f800000, v25
	v_rcp_f32_e32 v3, v3
	s_waitcnt_depctr 0xfff
	v_mul_f32_e32 v3, 0x5f7ffffc, v3
	s_delay_alu instid0(VALU_DEP_1) | instskip(NEXT) | instid1(VALU_DEP_1)
	v_mul_f32_e32 v25, 0x2f800000, v3
	v_trunc_f32_e32 v25, v25
	s_delay_alu instid0(VALU_DEP_1) | instskip(SKIP_1) | instid1(VALU_DEP_2)
	v_fmac_f32_e32 v3, 0xcf800000, v25
	v_cvt_u32_f32_e32 v25, v25
	v_cvt_u32_f32_e32 v3, v3
	s_delay_alu instid0(VALU_DEP_2) | instskip(NEXT) | instid1(VALU_DEP_2)
	v_mul_lo_u32 v26, s1, v25
	v_mul_hi_u32 v27, s1, v3
	v_mul_lo_u32 v28, s45, v3
	s_delay_alu instid0(VALU_DEP_2) | instskip(SKIP_1) | instid1(VALU_DEP_2)
	v_add_nc_u32_e32 v26, v27, v26
	v_mul_lo_u32 v27, s1, v3
	v_add_nc_u32_e32 v26, v26, v28
	s_delay_alu instid0(VALU_DEP_2) | instskip(NEXT) | instid1(VALU_DEP_2)
	v_mul_hi_u32 v28, v3, v27
	v_mul_lo_u32 v29, v3, v26
	v_mul_hi_u32 v30, v3, v26
	v_mul_hi_u32 v31, v25, v27
	v_mul_lo_u32 v27, v25, v27
	v_mul_hi_u32 v33, v25, v26
	v_mul_lo_u32 v26, v25, v26
	v_add_co_u32 v28, vcc_lo, v28, v29
	v_add_co_ci_u32_e32 v29, vcc_lo, 0, v30, vcc_lo
	s_delay_alu instid0(VALU_DEP_2) | instskip(NEXT) | instid1(VALU_DEP_2)
	v_add_co_u32 v27, vcc_lo, v28, v27
	v_add_co_ci_u32_e32 v27, vcc_lo, v29, v31, vcc_lo
	v_add_co_ci_u32_e32 v28, vcc_lo, 0, v33, vcc_lo
	s_delay_alu instid0(VALU_DEP_2) | instskip(NEXT) | instid1(VALU_DEP_2)
	v_add_co_u32 v26, vcc_lo, v27, v26
	v_add_co_ci_u32_e32 v27, vcc_lo, 0, v28, vcc_lo
	s_delay_alu instid0(VALU_DEP_2) | instskip(NEXT) | instid1(VALU_DEP_2)
	v_add_co_u32 v3, vcc_lo, v3, v26
	v_add_co_ci_u32_e32 v25, vcc_lo, v25, v27, vcc_lo
	s_delay_alu instid0(VALU_DEP_2) | instskip(SKIP_1) | instid1(VALU_DEP_3)
	v_mul_hi_u32 v26, s1, v3
	v_mul_lo_u32 v28, s45, v3
	v_mul_lo_u32 v27, s1, v25
	s_delay_alu instid0(VALU_DEP_1) | instskip(SKIP_1) | instid1(VALU_DEP_2)
	v_add_nc_u32_e32 v26, v26, v27
	v_mul_lo_u32 v27, s1, v3
	v_add_nc_u32_e32 v26, v26, v28
	s_delay_alu instid0(VALU_DEP_2) | instskip(NEXT) | instid1(VALU_DEP_2)
	v_mul_hi_u32 v28, v3, v27
	v_mul_lo_u32 v29, v3, v26
	v_mul_hi_u32 v30, v3, v26
	v_mul_hi_u32 v31, v25, v27
	v_mul_lo_u32 v27, v25, v27
	v_mul_hi_u32 v33, v25, v26
	v_mul_lo_u32 v26, v25, v26
	v_add_co_u32 v28, vcc_lo, v28, v29
	v_add_co_ci_u32_e32 v29, vcc_lo, 0, v30, vcc_lo
	s_delay_alu instid0(VALU_DEP_2) | instskip(NEXT) | instid1(VALU_DEP_2)
	v_add_co_u32 v27, vcc_lo, v28, v27
	v_add_co_ci_u32_e32 v27, vcc_lo, v29, v31, vcc_lo
	v_add_co_ci_u32_e32 v28, vcc_lo, 0, v33, vcc_lo
	s_delay_alu instid0(VALU_DEP_2) | instskip(NEXT) | instid1(VALU_DEP_2)
	v_add_co_u32 v26, vcc_lo, v27, v26
	v_add_co_ci_u32_e32 v27, vcc_lo, 0, v28, vcc_lo
	s_delay_alu instid0(VALU_DEP_2) | instskip(NEXT) | instid1(VALU_DEP_2)
	v_add_co_u32 v3, vcc_lo, v3, v26
	v_add_co_ci_u32_e32 v31, vcc_lo, v25, v27, vcc_lo
	s_delay_alu instid0(VALU_DEP_2) | instskip(SKIP_1) | instid1(VALU_DEP_3)
	v_mul_hi_u32 v33, v17, v3
	v_mad_u64_u32 v[27:28], null, v18, v3, 0
	v_mad_u64_u32 v[25:26], null, v17, v31, 0
	;; [unrolled: 1-line block ×3, first 2 shown]
	s_delay_alu instid0(VALU_DEP_2) | instskip(NEXT) | instid1(VALU_DEP_3)
	v_add_co_u32 v3, vcc_lo, v33, v25
	v_add_co_ci_u32_e32 v25, vcc_lo, 0, v26, vcc_lo
	s_delay_alu instid0(VALU_DEP_2) | instskip(NEXT) | instid1(VALU_DEP_2)
	v_add_co_u32 v3, vcc_lo, v3, v27
	v_add_co_ci_u32_e32 v3, vcc_lo, v25, v28, vcc_lo
	v_add_co_ci_u32_e32 v25, vcc_lo, 0, v30, vcc_lo
	s_delay_alu instid0(VALU_DEP_2) | instskip(NEXT) | instid1(VALU_DEP_2)
	v_add_co_u32 v3, vcc_lo, v3, v29
	v_add_co_ci_u32_e32 v27, vcc_lo, 0, v25, vcc_lo
	s_delay_alu instid0(VALU_DEP_2) | instskip(SKIP_1) | instid1(VALU_DEP_3)
	v_mul_lo_u32 v28, s27, v3
	v_mad_u64_u32 v[25:26], null, s26, v3, 0
	v_mul_lo_u32 v29, s26, v27
	s_delay_alu instid0(VALU_DEP_2) | instskip(NEXT) | instid1(VALU_DEP_2)
	v_sub_co_u32 v25, vcc_lo, v17, v25
	v_add3_u32 v26, v26, v29, v28
	s_delay_alu instid0(VALU_DEP_1) | instskip(NEXT) | instid1(VALU_DEP_1)
	v_sub_nc_u32_e32 v28, v18, v26
	v_subrev_co_ci_u32_e64 v28, s1, s27, v28, vcc_lo
	v_add_co_u32 v29, s1, v3, 2
	s_delay_alu instid0(VALU_DEP_1) | instskip(SKIP_3) | instid1(VALU_DEP_3)
	v_add_co_ci_u32_e64 v30, s1, 0, v27, s1
	v_sub_co_u32 v31, s1, v25, s26
	v_sub_co_ci_u32_e32 v26, vcc_lo, v18, v26, vcc_lo
	v_subrev_co_ci_u32_e64 v28, s1, 0, v28, s1
	v_cmp_le_u32_e32 vcc_lo, s26, v31
	s_delay_alu instid0(VALU_DEP_3) | instskip(SKIP_1) | instid1(VALU_DEP_4)
	v_cmp_eq_u32_e64 s1, s27, v26
	v_cndmask_b32_e64 v31, 0, -1, vcc_lo
	v_cmp_le_u32_e32 vcc_lo, s27, v28
	v_cndmask_b32_e64 v33, 0, -1, vcc_lo
	v_cmp_le_u32_e32 vcc_lo, s26, v25
	;; [unrolled: 2-line block ×3, first 2 shown]
	v_cndmask_b32_e64 v34, 0, -1, vcc_lo
	v_cmp_eq_u32_e32 vcc_lo, s27, v28
	s_delay_alu instid0(VALU_DEP_2) | instskip(SKIP_3) | instid1(VALU_DEP_3)
	v_cndmask_b32_e64 v25, v34, v25, s1
	v_cndmask_b32_e32 v28, v33, v31, vcc_lo
	v_add_co_u32 v31, vcc_lo, v3, 1
	v_add_co_ci_u32_e32 v33, vcc_lo, 0, v27, vcc_lo
	v_cmp_ne_u32_e32 vcc_lo, 0, v28
	s_delay_alu instid0(VALU_DEP_3) | instskip(NEXT) | instid1(VALU_DEP_3)
	v_cndmask_b32_e32 v28, v31, v29, vcc_lo
	v_cndmask_b32_e32 v26, v33, v30, vcc_lo
	v_cmp_ne_u32_e32 vcc_lo, 0, v25
	s_delay_alu instid0(VALU_DEP_3) | instskip(NEXT) | instid1(VALU_DEP_3)
	v_cndmask_b32_e32 v25, v3, v28, vcc_lo
	v_cndmask_b32_e32 v26, v27, v26, vcc_lo
.LBB76_54:                              ;   in Loop: Header=BB76_52 Depth=2
	s_and_not1_saveexec_b32 s1, s44
	s_cbranch_execz .LBB76_56
; %bb.55:                               ;   in Loop: Header=BB76_52 Depth=2
	v_cvt_f32_u32_e32 v3, s26
	s_sub_i32 s44, 0, s26
	s_delay_alu instid0(VALU_DEP_1) | instskip(SKIP_2) | instid1(VALU_DEP_1)
	v_rcp_iflag_f32_e32 v3, v3
	s_waitcnt_depctr 0xfff
	v_mul_f32_e32 v3, 0x4f7ffffe, v3
	v_cvt_u32_f32_e32 v3, v3
	s_delay_alu instid0(VALU_DEP_1) | instskip(NEXT) | instid1(VALU_DEP_1)
	v_mul_lo_u32 v25, s44, v3
	v_mul_hi_u32 v25, v3, v25
	s_delay_alu instid0(VALU_DEP_1) | instskip(NEXT) | instid1(VALU_DEP_1)
	v_add_nc_u32_e32 v3, v3, v25
	v_mul_hi_u32 v3, v17, v3
	s_delay_alu instid0(VALU_DEP_1) | instskip(SKIP_1) | instid1(VALU_DEP_2)
	v_mul_lo_u32 v25, v3, s26
	v_add_nc_u32_e32 v26, 1, v3
	v_sub_nc_u32_e32 v25, v17, v25
	s_delay_alu instid0(VALU_DEP_1) | instskip(SKIP_1) | instid1(VALU_DEP_2)
	v_subrev_nc_u32_e32 v27, s26, v25
	v_cmp_le_u32_e32 vcc_lo, s26, v25
	v_cndmask_b32_e32 v25, v25, v27, vcc_lo
	v_cndmask_b32_e32 v3, v3, v26, vcc_lo
	s_delay_alu instid0(VALU_DEP_2) | instskip(NEXT) | instid1(VALU_DEP_2)
	v_cmp_le_u32_e32 vcc_lo, s26, v25
	v_add_nc_u32_e32 v26, 1, v3
	s_delay_alu instid0(VALU_DEP_1)
	v_dual_cndmask_b32 v25, v3, v26 :: v_dual_mov_b32 v26, v2
.LBB76_56:                              ;   in Loop: Header=BB76_52 Depth=2
	s_or_b32 exec_lo, exec_lo, s1
	s_load_b64 s[44:45], s[24:25], 0xc8
	s_delay_alu instid0(VALU_DEP_1) | instskip(NEXT) | instid1(VALU_DEP_2)
	v_mul_lo_u32 v3, v26, s26
	v_mul_lo_u32 v29, v25, s27
	v_mad_u64_u32 v[27:28], null, v25, s26, 0
	s_add_i32 s43, s43, -1
	s_add_u32 s24, s24, -8
	s_addc_u32 s25, s25, -1
	s_cmp_gt_u32 s43, 2
	s_delay_alu instid0(VALU_DEP_1) | instskip(NEXT) | instid1(VALU_DEP_2)
	v_add3_u32 v3, v28, v29, v3
	v_sub_co_u32 v27, vcc_lo, v17, v27
	s_delay_alu instid0(VALU_DEP_2) | instskip(SKIP_1) | instid1(VALU_DEP_2)
	v_sub_co_ci_u32_e32 v3, vcc_lo, v18, v3, vcc_lo
	s_waitcnt lgkmcnt(0)
	v_mul_lo_u32 v28, s45, v27
	s_delay_alu instid0(VALU_DEP_2) | instskip(SKIP_1) | instid1(VALU_DEP_1)
	v_mul_lo_u32 v3, s44, v3
	v_mad_u64_u32 v[17:18], null, s44, v27, v[23:24]
	v_add3_u32 v24, v28, v18, v3
	s_delay_alu instid0(VALU_DEP_2)
	v_mov_b32_e32 v23, v17
	s_cbranch_scc0 .LBB76_63
; %bb.57:                               ;   in Loop: Header=BB76_52 Depth=2
	v_dual_mov_b32 v17, v25 :: v_dual_mov_b32 v18, v26
	s_branch .LBB76_52
.LBB76_58:                              ;   in Loop: Header=BB76_59 Depth=2
	s_or_b32 exec_lo, exec_lo, s0
	s_load_b64 s[44:45], s[24:25], 0xc8
	s_delay_alu instid0(VALU_DEP_1)
	v_mul_lo_u32 v3, v20, s26
	v_mul_lo_u32 v25, v19, s27
	v_mad_u64_u32 v[23:24], null, v19, s26, 0
	s_add_i32 s42, s42, -1
	s_add_u32 s24, s24, -8
	s_addc_u32 s25, s25, -1
	s_cmp_gt_u32 s42, 2
	s_delay_alu instid0(VALU_DEP_1) | instskip(NEXT) | instid1(VALU_DEP_2)
	v_add3_u32 v3, v24, v25, v3
	v_sub_co_u32 v23, vcc_lo, v17, v23
	s_delay_alu instid0(VALU_DEP_2) | instskip(SKIP_1) | instid1(VALU_DEP_2)
	v_sub_co_ci_u32_e32 v3, vcc_lo, v18, v3, vcc_lo
	s_waitcnt lgkmcnt(0)
	v_mul_lo_u32 v24, s45, v23
	s_delay_alu instid0(VALU_DEP_2) | instskip(SKIP_1) | instid1(VALU_DEP_1)
	v_mul_lo_u32 v3, s44, v3
	v_mad_u64_u32 v[17:18], null, s44, v23, v[21:22]
	v_add3_u32 v22, v24, v18, v3
	s_delay_alu instid0(VALU_DEP_2)
	v_mov_b32_e32 v21, v17
	v_dual_mov_b32 v17, v19 :: v_dual_mov_b32 v18, v20
	s_cbranch_scc0 .LBB76_49
.LBB76_59:                              ;   Parent Loop BB76_3 Depth=1
                                        ; =>  This Inner Loop Header: Depth=2
	s_load_b64 s[26:27], s[24:25], 0x0
                                        ; implicit-def: $vgpr19_vgpr20
	s_mov_b32 s0, exec_lo
	s_waitcnt lgkmcnt(0)
	v_or_b32_e32 v3, s27, v18
	s_delay_alu instid0(VALU_DEP_1)
	v_cmpx_ne_u64_e32 0, v[2:3]
	s_xor_b32 s43, exec_lo, s0
	s_cbranch_execz .LBB76_61
; %bb.60:                               ;   in Loop: Header=BB76_59 Depth=2
	v_cvt_f32_u32_e32 v3, s26
	v_cvt_f32_u32_e32 v19, s27
	s_sub_u32 s0, 0, s26
	s_subb_u32 s44, 0, s27
	s_delay_alu instid0(VALU_DEP_1) | instskip(NEXT) | instid1(VALU_DEP_1)
	v_fmac_f32_e32 v3, 0x4f800000, v19
	v_rcp_f32_e32 v3, v3
	s_waitcnt_depctr 0xfff
	v_mul_f32_e32 v3, 0x5f7ffffc, v3
	s_delay_alu instid0(VALU_DEP_1) | instskip(NEXT) | instid1(VALU_DEP_1)
	v_mul_f32_e32 v19, 0x2f800000, v3
	v_trunc_f32_e32 v19, v19
	s_delay_alu instid0(VALU_DEP_1) | instskip(SKIP_1) | instid1(VALU_DEP_2)
	v_fmac_f32_e32 v3, 0xcf800000, v19
	v_cvt_u32_f32_e32 v19, v19
	v_cvt_u32_f32_e32 v3, v3
	s_delay_alu instid0(VALU_DEP_2) | instskip(NEXT) | instid1(VALU_DEP_2)
	v_mul_lo_u32 v20, s0, v19
	v_mul_hi_u32 v23, s0, v3
	v_mul_lo_u32 v24, s44, v3
	s_delay_alu instid0(VALU_DEP_2) | instskip(SKIP_1) | instid1(VALU_DEP_2)
	v_add_nc_u32_e32 v20, v23, v20
	v_mul_lo_u32 v23, s0, v3
	v_add_nc_u32_e32 v20, v20, v24
	s_delay_alu instid0(VALU_DEP_2) | instskip(NEXT) | instid1(VALU_DEP_2)
	v_mul_hi_u32 v24, v3, v23
	v_mul_lo_u32 v25, v3, v20
	v_mul_hi_u32 v26, v3, v20
	v_mul_hi_u32 v27, v19, v23
	v_mul_lo_u32 v23, v19, v23
	v_mul_hi_u32 v28, v19, v20
	v_mul_lo_u32 v20, v19, v20
	v_add_co_u32 v24, vcc_lo, v24, v25
	v_add_co_ci_u32_e32 v25, vcc_lo, 0, v26, vcc_lo
	s_delay_alu instid0(VALU_DEP_2) | instskip(NEXT) | instid1(VALU_DEP_2)
	v_add_co_u32 v23, vcc_lo, v24, v23
	v_add_co_ci_u32_e32 v23, vcc_lo, v25, v27, vcc_lo
	v_add_co_ci_u32_e32 v24, vcc_lo, 0, v28, vcc_lo
	s_delay_alu instid0(VALU_DEP_2) | instskip(NEXT) | instid1(VALU_DEP_2)
	v_add_co_u32 v20, vcc_lo, v23, v20
	v_add_co_ci_u32_e32 v23, vcc_lo, 0, v24, vcc_lo
	s_delay_alu instid0(VALU_DEP_2) | instskip(NEXT) | instid1(VALU_DEP_2)
	v_add_co_u32 v3, vcc_lo, v3, v20
	v_add_co_ci_u32_e32 v19, vcc_lo, v19, v23, vcc_lo
	s_delay_alu instid0(VALU_DEP_2) | instskip(SKIP_1) | instid1(VALU_DEP_3)
	v_mul_hi_u32 v20, s0, v3
	v_mul_lo_u32 v24, s44, v3
	v_mul_lo_u32 v23, s0, v19
	s_delay_alu instid0(VALU_DEP_1) | instskip(SKIP_1) | instid1(VALU_DEP_2)
	v_add_nc_u32_e32 v20, v20, v23
	v_mul_lo_u32 v23, s0, v3
	v_add_nc_u32_e32 v20, v20, v24
	s_delay_alu instid0(VALU_DEP_2) | instskip(NEXT) | instid1(VALU_DEP_2)
	v_mul_hi_u32 v24, v3, v23
	v_mul_lo_u32 v25, v3, v20
	v_mul_hi_u32 v26, v3, v20
	v_mul_hi_u32 v27, v19, v23
	v_mul_lo_u32 v23, v19, v23
	v_mul_hi_u32 v28, v19, v20
	v_mul_lo_u32 v20, v19, v20
	v_add_co_u32 v24, vcc_lo, v24, v25
	v_add_co_ci_u32_e32 v25, vcc_lo, 0, v26, vcc_lo
	s_delay_alu instid0(VALU_DEP_2) | instskip(NEXT) | instid1(VALU_DEP_2)
	v_add_co_u32 v23, vcc_lo, v24, v23
	v_add_co_ci_u32_e32 v23, vcc_lo, v25, v27, vcc_lo
	v_add_co_ci_u32_e32 v24, vcc_lo, 0, v28, vcc_lo
	s_delay_alu instid0(VALU_DEP_2) | instskip(NEXT) | instid1(VALU_DEP_2)
	v_add_co_u32 v20, vcc_lo, v23, v20
	v_add_co_ci_u32_e32 v23, vcc_lo, 0, v24, vcc_lo
	s_delay_alu instid0(VALU_DEP_2) | instskip(NEXT) | instid1(VALU_DEP_2)
	v_add_co_u32 v3, vcc_lo, v3, v20
	v_add_co_ci_u32_e32 v27, vcc_lo, v19, v23, vcc_lo
	s_delay_alu instid0(VALU_DEP_2) | instskip(SKIP_1) | instid1(VALU_DEP_3)
	v_mul_hi_u32 v28, v17, v3
	v_mad_u64_u32 v[23:24], null, v18, v3, 0
	v_mad_u64_u32 v[19:20], null, v17, v27, 0
	v_mad_u64_u32 v[25:26], null, v18, v27, 0
	s_delay_alu instid0(VALU_DEP_2) | instskip(NEXT) | instid1(VALU_DEP_3)
	v_add_co_u32 v3, vcc_lo, v28, v19
	v_add_co_ci_u32_e32 v19, vcc_lo, 0, v20, vcc_lo
	s_delay_alu instid0(VALU_DEP_2) | instskip(NEXT) | instid1(VALU_DEP_2)
	v_add_co_u32 v3, vcc_lo, v3, v23
	v_add_co_ci_u32_e32 v3, vcc_lo, v19, v24, vcc_lo
	v_add_co_ci_u32_e32 v19, vcc_lo, 0, v26, vcc_lo
	s_delay_alu instid0(VALU_DEP_2) | instskip(NEXT) | instid1(VALU_DEP_2)
	v_add_co_u32 v3, vcc_lo, v3, v25
	v_add_co_ci_u32_e32 v23, vcc_lo, 0, v19, vcc_lo
	s_delay_alu instid0(VALU_DEP_2) | instskip(SKIP_1) | instid1(VALU_DEP_3)
	v_mul_lo_u32 v24, s27, v3
	v_mad_u64_u32 v[19:20], null, s26, v3, 0
	v_mul_lo_u32 v25, s26, v23
	s_delay_alu instid0(VALU_DEP_2) | instskip(NEXT) | instid1(VALU_DEP_2)
	v_sub_co_u32 v19, vcc_lo, v17, v19
	v_add3_u32 v20, v20, v25, v24
	s_delay_alu instid0(VALU_DEP_1) | instskip(NEXT) | instid1(VALU_DEP_1)
	v_sub_nc_u32_e32 v24, v18, v20
	v_subrev_co_ci_u32_e64 v24, s0, s27, v24, vcc_lo
	v_add_co_u32 v25, s0, v3, 2
	s_delay_alu instid0(VALU_DEP_1) | instskip(SKIP_3) | instid1(VALU_DEP_3)
	v_add_co_ci_u32_e64 v26, s0, 0, v23, s0
	v_sub_co_u32 v27, s0, v19, s26
	v_sub_co_ci_u32_e32 v20, vcc_lo, v18, v20, vcc_lo
	v_subrev_co_ci_u32_e64 v24, s0, 0, v24, s0
	v_cmp_le_u32_e32 vcc_lo, s26, v27
	s_delay_alu instid0(VALU_DEP_3) | instskip(SKIP_1) | instid1(VALU_DEP_4)
	v_cmp_eq_u32_e64 s0, s27, v20
	v_cndmask_b32_e64 v27, 0, -1, vcc_lo
	v_cmp_le_u32_e32 vcc_lo, s27, v24
	v_cndmask_b32_e64 v28, 0, -1, vcc_lo
	v_cmp_le_u32_e32 vcc_lo, s26, v19
	;; [unrolled: 2-line block ×3, first 2 shown]
	v_cndmask_b32_e64 v29, 0, -1, vcc_lo
	v_cmp_eq_u32_e32 vcc_lo, s27, v24
	s_delay_alu instid0(VALU_DEP_2) | instskip(SKIP_3) | instid1(VALU_DEP_3)
	v_cndmask_b32_e64 v19, v29, v19, s0
	v_cndmask_b32_e32 v24, v28, v27, vcc_lo
	v_add_co_u32 v27, vcc_lo, v3, 1
	v_add_co_ci_u32_e32 v28, vcc_lo, 0, v23, vcc_lo
	v_cmp_ne_u32_e32 vcc_lo, 0, v24
	s_delay_alu instid0(VALU_DEP_2) | instskip(NEXT) | instid1(VALU_DEP_4)
	v_cndmask_b32_e32 v20, v28, v26, vcc_lo
	v_cndmask_b32_e32 v24, v27, v25, vcc_lo
	v_cmp_ne_u32_e32 vcc_lo, 0, v19
	s_delay_alu instid0(VALU_DEP_2) | instskip(NEXT) | instid1(VALU_DEP_4)
	v_cndmask_b32_e32 v19, v3, v24, vcc_lo
	v_cndmask_b32_e32 v20, v23, v20, vcc_lo
.LBB76_61:                              ;   in Loop: Header=BB76_59 Depth=2
	s_and_not1_saveexec_b32 s0, s43
	s_cbranch_execz .LBB76_58
; %bb.62:                               ;   in Loop: Header=BB76_59 Depth=2
	v_cvt_f32_u32_e32 v3, s26
	s_sub_i32 s43, 0, s26
	s_delay_alu instid0(VALU_DEP_1) | instskip(SKIP_2) | instid1(VALU_DEP_1)
	v_rcp_iflag_f32_e32 v3, v3
	s_waitcnt_depctr 0xfff
	v_mul_f32_e32 v3, 0x4f7ffffe, v3
	v_cvt_u32_f32_e32 v3, v3
	s_delay_alu instid0(VALU_DEP_1) | instskip(NEXT) | instid1(VALU_DEP_1)
	v_mul_lo_u32 v19, s43, v3
	v_mul_hi_u32 v19, v3, v19
	s_delay_alu instid0(VALU_DEP_1) | instskip(NEXT) | instid1(VALU_DEP_1)
	v_add_nc_u32_e32 v3, v3, v19
	v_mul_hi_u32 v3, v17, v3
	s_delay_alu instid0(VALU_DEP_1) | instskip(SKIP_1) | instid1(VALU_DEP_2)
	v_mul_lo_u32 v19, v3, s26
	v_add_nc_u32_e32 v20, 1, v3
	v_sub_nc_u32_e32 v19, v17, v19
	s_delay_alu instid0(VALU_DEP_1) | instskip(SKIP_1) | instid1(VALU_DEP_2)
	v_subrev_nc_u32_e32 v23, s26, v19
	v_cmp_le_u32_e32 vcc_lo, s26, v19
	v_cndmask_b32_e32 v19, v19, v23, vcc_lo
	v_cndmask_b32_e32 v3, v3, v20, vcc_lo
	s_delay_alu instid0(VALU_DEP_2) | instskip(NEXT) | instid1(VALU_DEP_2)
	v_cmp_le_u32_e32 vcc_lo, s26, v19
	v_add_nc_u32_e32 v20, 1, v3
	s_delay_alu instid0(VALU_DEP_1)
	v_dual_cndmask_b32 v19, v3, v20 :: v_dual_mov_b32 v20, v2
	s_branch .LBB76_58
.LBB76_63:                              ;   in Loop: Header=BB76_3 Depth=1
	s_delay_alu instid0(VALU_DEP_1) | instskip(SKIP_2) | instid1(VALU_DEP_1)
	v_mad_u64_u32 v[17:18], null, s14, v25, v[23:24]
	v_mul_lo_u32 v3, s14, v26
	v_mul_lo_u32 v23, s15, v25
	v_add3_u32 v18, v23, v18, v3
.LBB76_64:                              ;   in Loop: Header=BB76_3 Depth=1
	s_or_b32 exec_lo, exec_lo, s42
	v_mov_b32_e32 v25, 0
	v_mov_b32_e32 v26, 0
	s_and_saveexec_b32 s1, s0
	s_cbranch_execz .LBB76_67
; %bb.65:                               ;   in Loop: Header=BB76_3 Depth=1
	v_mov_b32_e32 v23, 0
	v_mov_b32_e32 v24, 0
	s_and_not1_b32 vcc_lo, exec_lo, s29
	s_mov_b64 s[24:25], s[22:23]
	s_mov_b32 s42, s34
	s_cbranch_vccz .LBB76_97
.LBB76_66:                              ;   in Loop: Header=BB76_3 Depth=1
	s_delay_alu instid0(VALU_DEP_1) | instskip(NEXT) | instid1(VALU_DEP_2)
	v_mad_u64_u32 v[25:26], null, s2, v21, v[23:24]
	v_mul_lo_u32 v3, s2, v22
	v_mul_lo_u32 v21, s3, v21
	s_delay_alu instid0(VALU_DEP_1)
	v_add3_u32 v26, v21, v26, v3
.LBB76_67:                              ;   in Loop: Header=BB76_3 Depth=1
	s_or_b32 exec_lo, exec_lo, s1
	v_lshlrev_b64 v[11:12], 2, v[11:12]
	v_lshlrev_b64 v[15:16], 2, v[15:16]
	;; [unrolled: 1-line block ×4, first 2 shown]
	s_delay_alu instid0(VALU_DEP_4)
	v_add_co_u32 v11, vcc_lo, s12, v11
	v_add_co_ci_u32_e32 v12, vcc_lo, s13, v12, vcc_lo
	v_add_co_u32 v15, vcc_lo, s12, v15
	v_add_co_ci_u32_e32 v16, vcc_lo, s13, v16, vcc_lo
	;; [unrolled: 2-line block ×4, first 2 shown]
	s_clause 0x3
	global_load_b32 v33, v[11:12], off
	global_load_b32 v34, v[15:16], off
	;; [unrolled: 1-line block ×4, first 2 shown]
	v_dual_mov_b32 v20, s9 :: v_dual_mov_b32 v19, s8
	v_dual_mov_b32 v22, s7 :: v_dual_mov_b32 v21, s6
	s_and_not1_b32 vcc_lo, exec_lo, s30
	s_cbranch_vccnz .LBB76_69
; %bb.68:                               ;   in Loop: Header=BB76_3 Depth=1
	v_dual_mov_b32 v12, s9 :: v_dual_mov_b32 v11, s8
	v_dual_mov_b32 v16, s7 :: v_dual_mov_b32 v15, s6
	flat_load_b64 v[11:12], v[11:12]
	flat_load_b64 v[21:22], v[15:16]
	s_waitcnt vmcnt(1) lgkmcnt(1)
	v_add_co_u32 v19, vcc_lo, v11, s10
	v_add_co_ci_u32_e32 v20, vcc_lo, s11, v12, vcc_lo
.LBB76_69:                              ;   in Loop: Header=BB76_3 Depth=1
	s_delay_alu instid0(VALU_DEP_1)
	v_alignbit_b32 v23, v20, v19, 2
	v_lshrrev_b32_e32 v15, 2, v20
	s_waitcnt vmcnt(0) lgkmcnt(0)
	v_add_nc_u32_e32 v36, 0x9e3779b9, v21
	v_add_nc_u32_e32 v38, 0x3c6ef372, v21
	v_add_nc_u32_e32 v39, 0x76cf5d0a, v22
	v_add_co_u32 v16, vcc_lo, v23, 1
	s_delay_alu instid0(VALU_DEP_1) | instskip(SKIP_4) | instid1(VALU_DEP_4)
	v_cndmask_b32_e64 v11, 0, 1, vcc_lo
	v_add_co_ci_u32_e32 v20, vcc_lo, 0, v15, vcc_lo
	v_xor3_b32 v25, v0, v21, v15
	v_add_nc_u32_e32 v40, 0x32370b8f, v22
	v_add_nc_u32_e32 v41, 0xed9eba14, v22
	v_cmp_eq_u32_e32 vcc_lo, 0, v20
	v_add_nc_u32_e32 v42, 0x646e171e, v22
	v_add_nc_u32_e32 v43, 0x1fd5c5a3, v22
	s_mov_b32 s0, exec_lo
	v_dual_cndmask_b32 v24, 0, v11 :: v_dual_add_nc_u32 v37, 0xbb67ae85, v22
	v_mad_u64_u32 v[11:12], null, 0xd2511f53, v16, 0
	v_mad_u64_u32 v[15:16], null, 0xd2511f53, v23, 0
	s_delay_alu instid0(VALU_DEP_3) | instskip(NEXT) | instid1(VALU_DEP_3)
	v_add_nc_u32_e32 v27, v24, v1
	v_xor_b32_e32 v12, v12, v22
	s_delay_alu instid0(VALU_DEP_2) | instskip(SKIP_1) | instid1(VALU_DEP_1)
	v_cmp_eq_u32_e32 vcc_lo, 0, v27
	v_cndmask_b32_e32 v24, 0, v24, vcc_lo
	v_xor_b32_e32 v12, v24, v12
	v_mad_u64_u32 v[23:24], null, 0xd2511f53, v25, 0
	v_mad_u64_u32 v[25:26], null, 0xcd9e8d57, v27, 0
	s_delay_alu instid0(VALU_DEP_3) | instskip(SKIP_1) | instid1(VALU_DEP_4)
	v_mad_u64_u32 v[27:28], null, 0xcd9e8d57, v12, 0
	v_xor_b32_e32 v12, v16, v22
	v_xor3_b32 v29, v37, v24, v15
	s_delay_alu instid0(VALU_DEP_2) | instskip(SKIP_2) | instid1(VALU_DEP_4)
	v_mad_u64_u32 v[15:16], null, 0xcd9e8d57, v12, 0
	v_xor3_b32 v12, v26, v21, v20
	v_xor3_b32 v20, v36, v28, v25
	v_mad_u64_u32 v[24:25], null, 0xcd9e8d57, v29, 0
	s_delay_alu instid0(VALU_DEP_3) | instskip(NEXT) | instid1(VALU_DEP_3)
	v_mad_u64_u32 v[28:29], null, 0xd2511f53, v12, 0
	v_mad_u64_u32 v[30:31], null, 0xd2511f53, v20, 0
	v_xor3_b32 v12, v6, v16, v36
	s_delay_alu instid0(VALU_DEP_4) | instskip(SKIP_2) | instid1(VALU_DEP_4)
	v_xor3_b32 v25, v38, v25, v15
	v_add_nc_u32_e32 v20, 0xdaa66d2b, v21
	v_xor3_b32 v29, v37, v29, v11
	v_mad_u64_u32 v[15:16], null, 0xd2511f53, v12, 0
	v_xor3_b32 v31, v39, v31, v28
	v_mad_u64_u32 v[11:12], null, 0xd2511f53, v25, 0
	s_delay_alu instid0(VALU_DEP_4) | instskip(NEXT) | instid1(VALU_DEP_3)
	v_mad_u64_u32 v[25:26], null, 0xcd9e8d57, v29, 0
	v_mad_u64_u32 v[28:29], null, 0xcd9e8d57, v31, 0
	v_xor3_b32 v23, v39, v16, v23
	v_add_nc_u32_e32 v31, 0x78dde6e4, v21
	v_xor3_b32 v12, v40, v12, v15
	s_delay_alu instid0(VALU_DEP_3) | instskip(SKIP_2) | instid1(VALU_DEP_4)
	v_mad_u64_u32 v[15:16], null, 0xcd9e8d57, v23, 0
	v_xor3_b32 v23, v38, v26, v27
	v_xor3_b32 v27, v20, v29, v25
	v_mad_u64_u32 v[25:26], null, 0xcd9e8d57, v12, 0
	s_delay_alu instid0(VALU_DEP_3) | instskip(NEXT) | instid1(VALU_DEP_3)
	v_mad_u64_u32 v[36:37], null, 0xd2511f53, v23, 0
	v_mad_u64_u32 v[38:39], null, 0xd2511f53, v27, 0
	v_xor3_b32 v12, v20, v16, v24
	s_delay_alu instid0(VALU_DEP_4) | instskip(SKIP_2) | instid1(VALU_DEP_4)
	v_xor3_b32 v23, v31, v26, v15
	v_add_nc_u32_e32 v20, 0x1715609d, v21
	v_add_nc_u32_e32 v27, 0xa9066899, v22
	v_mad_u64_u32 v[15:16], null, 0xd2511f53, v12, 0
	v_xor3_b32 v12, v40, v37, v30
	v_xor3_b32 v26, v41, v39, v36
	v_mad_u64_u32 v[29:30], null, 0xd2511f53, v23, 0
	s_delay_alu instid0(VALU_DEP_3) | instskip(NEXT) | instid1(VALU_DEP_3)
	v_mad_u64_u32 v[23:24], null, 0xcd9e8d57, v12, 0
	v_mad_u64_u32 v[36:37], null, 0xcd9e8d57, v26, 0
	v_xor3_b32 v16, v41, v16, v11
	s_delay_alu instid0(VALU_DEP_4) | instskip(SKIP_2) | instid1(VALU_DEP_4)
	v_xor3_b32 v26, v27, v30, v15
	v_add_nc_u32_e32 v41, 0xb54cda56, v21
	v_xor3_b32 v28, v31, v24, v28
	v_mad_u64_u32 v[11:12], null, 0xcd9e8d57, v16, 0
	v_xor3_b32 v30, v20, v37, v23
	v_mad_u64_u32 v[15:16], null, 0xcd9e8d57, v26, 0
	s_delay_alu instid0(VALU_DEP_4) | instskip(NEXT) | instid1(VALU_DEP_3)
	v_mad_u64_u32 v[23:24], null, 0xd2511f53, v28, 0
	v_mad_u64_u32 v[39:40], null, 0xd2511f53, v30, 0
	v_xor3_b32 v20, v20, v12, v25
	v_add_nc_u32_e32 v28, 0x5384540f, v21
	v_xor3_b32 v16, v41, v16, v11
	v_add_nc_u32_e32 v37, 0xdb3d7428, v22
	s_delay_alu instid0(VALU_DEP_4) | instskip(SKIP_4) | instid1(VALU_DEP_4)
	v_mad_u64_u32 v[11:12], null, 0xd2511f53, v20, 0
	v_xor3_b32 v20, v27, v24, v38
	v_xor3_b32 v25, v42, v40, v23
	v_mad_u64_u32 v[23:24], null, 0xd2511f53, v16, 0
	v_add_nc_u32_e32 v38, 0x96a522ad, v22
	v_mad_u64_u32 v[30:31], null, 0xcd9e8d57, v20, 0
	s_delay_alu instid0(VALU_DEP_4) | instskip(SKIP_3) | instid1(VALU_DEP_3)
	v_mad_u64_u32 v[26:27], null, 0xcd9e8d57, v25, 0
	v_xor3_b32 v16, v42, v12, v29
	v_xor3_b32 v29, v43, v24, v11
	v_add_co_u32 v20, null, 0xf1bbcdc8, v21
	v_mad_u64_u32 v[11:12], null, 0xcd9e8d57, v16, 0
	v_xor3_b32 v16, v41, v31, v36
	v_xor3_b32 v27, v28, v27, v30
	v_mad_u64_u32 v[24:25], null, 0xcd9e8d57, v29, 0
	v_and_b32_e32 v36, 3, v19
	s_delay_alu instid0(VALU_DEP_4) | instskip(NEXT) | instid1(VALU_DEP_4)
	v_mad_u64_u32 v[40:41], null, 0xd2511f53, v16, 0
	v_mad_u64_u32 v[29:30], null, 0xd2511f53, v27, 0
	v_xor3_b32 v12, v28, v12, v15
	v_xor3_b32 v15, v20, v25, v11
	s_delay_alu instid0(VALU_DEP_4) | instskip(NEXT) | instid1(VALU_DEP_3)
	v_xor3_b32 v16, v43, v41, v39
	v_mad_u64_u32 v[27:28], null, 0xd2511f53, v12, 0
	v_xor3_b32 v25, v37, v30, v40
	s_delay_alu instid0(VALU_DEP_4) | instskip(NEXT) | instid1(VALU_DEP_4)
	v_mad_u64_u32 v[11:12], null, 0xd2511f53, v15, 0
	v_mad_u64_u32 v[30:31], null, 0xcd9e8d57, v16, 0
	s_delay_alu instid0(VALU_DEP_3) | instskip(SKIP_1) | instid1(VALU_DEP_4)
	v_mad_u64_u32 v[15:16], null, 0xcd9e8d57, v25, 0
	v_add_nc_u32_e32 v25, 0x8ff34781, v21
                                        ; implicit-def: $vgpr21
	v_xor3_b32 v22, v12, v27, v38
	s_delay_alu instid0(VALU_DEP_2)
	v_xor3_b32 v12, v16, v30, v25
	v_cmpx_lt_i32_e32 1, v36
	s_xor_b32 s0, exec_lo, s0
	s_cbranch_execz .LBB76_75
; %bb.70:                               ;   in Loop: Header=BB76_3 Depth=1
	s_mov_b32 s1, exec_lo
                                        ; implicit-def: $vgpr21
	v_cmpx_lt_i32_e32 2, v36
	s_xor_b32 s1, exec_lo, s1
; %bb.71:                               ;   in Loop: Header=BB76_3 Depth=1
	v_xor3_b32 v16, v20, v31, v26
                                        ; implicit-def: $vgpr22
	s_delay_alu instid0(VALU_DEP_1) | instskip(NEXT) | instid1(VALU_DEP_1)
	v_mul_hi_u32 v16, 0xd2511f53, v16
	v_xor3_b32 v21, v16, v29, v38
; %bb.72:                               ;   in Loop: Header=BB76_3 Depth=1
	s_and_not1_saveexec_b32 s1, s1
; %bb.73:                               ;   in Loop: Header=BB76_3 Depth=1
	v_mov_b32_e32 v21, v15
	v_dual_mov_b32 v15, v12 :: v_dual_mov_b32 v12, v11
	v_mov_b32_e32 v11, v22
; %bb.74:                               ;   in Loop: Header=BB76_3 Depth=1
	s_or_b32 exec_lo, exec_lo, s1
                                        ; implicit-def: $vgpr23_vgpr24
                                        ; implicit-def: $vgpr36
                                        ; implicit-def: $vgpr22
                                        ; implicit-def: $vgpr37
                                        ; implicit-def: $vgpr27_vgpr28
                                        ; implicit-def: $vgpr24_vgpr25
                                        ; implicit-def: $vgpr25
.LBB76_75:                              ;   in Loop: Header=BB76_3 Depth=1
	s_and_not1_saveexec_b32 s0, s0
	s_cbranch_execz .LBB76_79
; %bb.76:                               ;   in Loop: Header=BB76_3 Depth=1
	v_xor3_b32 v15, v37, v28, v23
	v_mov_b32_e32 v21, v11
	s_mov_b32 s1, exec_lo
	s_delay_alu instid0(VALU_DEP_2) | instskip(NEXT) | instid1(VALU_DEP_1)
	v_mad_u64_u32 v[19:20], null, 0xcd9e8d57, v15, 0
	v_dual_mov_b32 v15, v22 :: v_dual_mov_b32 v16, v19
	s_delay_alu instid0(VALU_DEP_2)
	v_xor3_b32 v20, v20, v24, v25
	v_cmpx_eq_u32_e32 1, v36
; %bb.77:                               ;   in Loop: Header=BB76_3 Depth=1
	v_dual_mov_b32 v21, v12 :: v_dual_mov_b32 v16, v22
	v_mov_b32_e32 v15, v11
	v_mov_b32_e32 v20, v19
; %bb.78:                               ;   in Loop: Header=BB76_3 Depth=1
	s_or_b32 exec_lo, exec_lo, s1
	s_delay_alu instid0(VALU_DEP_1)
	v_mov_b32_e32 v11, v20
	v_mov_b32_e32 v12, v16
.LBB76_79:                              ;   in Loop: Header=BB76_3 Depth=1
	s_or_b32 exec_lo, exec_lo, s0
	v_min_i32_e32 v16, 4, v32
	s_mov_b32 s1, 0
	s_mov_b32 s43, 0
	;; [unrolled: 1-line block ×3, first 2 shown]
                                        ; implicit-def: $sgpr25
                                        ; implicit-def: $sgpr26
                                        ; implicit-def: $sgpr27
	s_mov_b32 s0, exec_lo
	v_cmpx_lt_i32_e32 2, v16
	s_xor_b32 s42, exec_lo, s0
	s_cbranch_execz .LBB76_91
; %bb.80:                               ;   in Loop: Header=BB76_3 Depth=1
	s_mov_b32 s0, -1
	s_mov_b32 s44, 0
	s_mov_b32 s26, exec_lo
                                        ; implicit-def: $sgpr24
                                        ; implicit-def: $sgpr25
	v_cmpx_lt_i32_e32 3, v16
	s_cbranch_execz .LBB76_86
; %bb.81:                               ;   in Loop: Header=BB76_3 Depth=1
	s_mov_b32 s0, 0
	s_mov_b32 s44, -1
	s_mov_b32 s27, exec_lo
                                        ; implicit-def: $sgpr24
                                        ; implicit-def: $sgpr25
	v_cmpx_eq_u32_e32 4, v16
	s_cbranch_execz .LBB76_85
; %bb.82:                               ;   in Loop: Header=BB76_3 Depth=1
	v_cmp_le_f32_e32 vcc_lo, 0, v3
	v_cmp_ge_f32_e64 s0, 1.0, v3
	s_mov_b32 s24, 0
	s_delay_alu instid0(VALU_DEP_1)
	s_and_b32 s44, vcc_lo, s0
	s_mov_b32 s0, 0
	s_and_saveexec_b32 s25, s44
	s_cbranch_execz .LBB76_84
; %bb.83:                               ;   in Loop: Header=BB76_3 Depth=1
	v_cvt_f32_u32_e32 v19, v21
	v_lshlrev_b64 v[17:18], 3, v[17:18]
	s_mov_b32 s0, exec_lo
	s_delay_alu instid0(VALU_DEP_2) | instskip(NEXT) | instid1(VALU_DEP_2)
	v_fmaak_f32 v19, 0x2f800000, v19, 0x2f800000
	v_add_co_u32 v17, vcc_lo, s16, v17
	s_delay_alu instid0(VALU_DEP_3) | instskip(NEXT) | instid1(VALU_DEP_3)
	v_add_co_ci_u32_e32 v18, vcc_lo, s17, v18, vcc_lo
	v_cmp_le_f32_e32 vcc_lo, v19, v3
	v_cndmask_b32_e64 v3, 0, 0x3ff00000, vcc_lo
	global_store_b64 v[17:18], v[2:3], off
.LBB76_84:                              ;   in Loop: Header=BB76_3 Depth=1
	s_or_b32 exec_lo, exec_lo, s25
	s_mov_b32 s25, -1
	s_xor_b32 s44, exec_lo, -1
	s_and_b32 s0, s0, exec_lo
.LBB76_85:                              ;   in Loop: Header=BB76_3 Depth=1
	s_or_b32 exec_lo, exec_lo, s27
	s_delay_alu instid0(SALU_CYCLE_1)
	s_and_b32 s44, s44, exec_lo
	s_or_not1_b32 s0, s0, exec_lo
.LBB76_86:                              ;   in Loop: Header=BB76_3 Depth=1
	s_or_b32 exec_lo, exec_lo, s26
	s_mov_b32 s27, s24
	s_and_saveexec_b32 s26, s0
	s_cbranch_execz .LBB76_90
; %bb.87:                               ;   in Loop: Header=BB76_3 Depth=1
	v_cmp_le_f32_e32 vcc_lo, 0, v35
	v_cmp_ge_f32_e64 s0, 1.0, v35
	s_delay_alu instid0(VALU_DEP_1) | instskip(SKIP_2) | instid1(SALU_CYCLE_1)
	s_and_b32 s27, vcc_lo, s0
	s_mov_b32 s0, 0
	s_and_saveexec_b32 s43, s27
	s_xor_b32 s27, exec_lo, s43
	s_cbranch_execz .LBB76_89
; %bb.88:                               ;   in Loop: Header=BB76_3 Depth=1
	v_cvt_f32_u32_e32 v3, v15
	v_lshlrev_b64 v[13:14], 3, v[13:14]
	s_mov_b32 s0, exec_lo
	s_delay_alu instid0(VALU_DEP_2) | instskip(NEXT) | instid1(VALU_DEP_2)
	v_fmaak_f32 v3, 0x2f800000, v3, 0x2f800000
	v_add_co_u32 v13, vcc_lo, s16, v13
	s_delay_alu instid0(VALU_DEP_3) | instskip(NEXT) | instid1(VALU_DEP_3)
	v_add_co_ci_u32_e32 v14, vcc_lo, s17, v14, vcc_lo
	v_cmp_le_f32_e32 vcc_lo, v3, v35
	v_cndmask_b32_e64 v3, 0, 0x3ff00000, vcc_lo
	global_store_b64 v[13:14], v[2:3], off
.LBB76_89:                              ;   in Loop: Header=BB76_3 Depth=1
	s_or_b32 exec_lo, exec_lo, s27
	s_delay_alu instid0(SALU_CYCLE_1)
	s_and_not1_b32 s27, s24, exec_lo
	s_or_b32 s24, s24, exec_lo
	s_and_not1_b32 s25, s25, exec_lo
	s_and_b32 s43, s0, exec_lo
.LBB76_90:                              ;   in Loop: Header=BB76_3 Depth=1
	s_or_b32 exec_lo, exec_lo, s26
	s_delay_alu instid0(SALU_CYCLE_1)
	s_and_b32 s27, s27, exec_lo
	s_and_b32 s26, s24, exec_lo
	;; [unrolled: 1-line block ×5, first 2 shown]
.LBB76_91:                              ;   in Loop: Header=BB76_3 Depth=1
	s_and_not1_saveexec_b32 s0, s42
; %bb.92:                               ;   in Loop: Header=BB76_3 Depth=1
	v_cmp_lt_i32_e32 vcc_lo, 1, v16
	s_and_not1_b32 s42, s43, exec_lo
	s_mov_b32 s1, exec_lo
	s_and_not1_b32 s27, s27, exec_lo
	s_and_not1_b32 s26, s26, exec_lo
	s_and_b32 s43, vcc_lo, exec_lo
	s_and_not1_b32 s25, s25, exec_lo
	s_or_b32 s43, s42, s43
; %bb.93:                               ;   in Loop: Header=BB76_3 Depth=1
	s_or_b32 exec_lo, exec_lo, s0
	s_mov_b32 s0, 0
	s_mov_b32 s42, s27
	s_and_saveexec_b32 s44, s43
	s_cbranch_execnz .LBB76_101
; %bb.94:                               ;   in Loop: Header=BB76_3 Depth=1
	s_or_b32 exec_lo, exec_lo, s44
	s_and_saveexec_b32 s43, s1
	s_cbranch_execnz .LBB76_104
.LBB76_95:                              ;   in Loop: Header=BB76_3 Depth=1
	s_or_b32 exec_lo, exec_lo, s43
	s_and_saveexec_b32 s1, s0
	s_cbranch_execnz .LBB76_105
	s_branch .LBB76_108
.LBB76_96:                              ;   in Loop: Header=BB76_97 Depth=2
	s_or_b32 exec_lo, exec_lo, s0
	s_load_b64 s[44:45], s[24:25], 0xc8
	s_delay_alu instid0(VALU_DEP_1)
	v_mul_lo_u32 v3, v26, s26
	v_mul_lo_u32 v29, v25, s27
	v_mad_u64_u32 v[27:28], null, v25, s26, 0
	s_add_i32 s42, s42, -1
	s_add_u32 s24, s24, -8
	s_addc_u32 s25, s25, -1
	s_cmp_gt_u32 s42, 2
	s_delay_alu instid0(VALU_DEP_1) | instskip(NEXT) | instid1(VALU_DEP_2)
	v_add3_u32 v3, v28, v29, v3
	v_sub_co_u32 v27, vcc_lo, v21, v27
	s_delay_alu instid0(VALU_DEP_2) | instskip(SKIP_1) | instid1(VALU_DEP_2)
	v_sub_co_ci_u32_e32 v3, vcc_lo, v22, v3, vcc_lo
	s_waitcnt lgkmcnt(0)
	v_mul_lo_u32 v28, s45, v27
	s_delay_alu instid0(VALU_DEP_2) | instskip(SKIP_1) | instid1(VALU_DEP_1)
	v_mul_lo_u32 v3, s44, v3
	v_mad_u64_u32 v[21:22], null, s44, v27, v[23:24]
	v_add3_u32 v24, v28, v22, v3
	s_delay_alu instid0(VALU_DEP_2)
	v_mov_b32_e32 v23, v21
	v_dual_mov_b32 v21, v25 :: v_dual_mov_b32 v22, v26
	s_cbranch_scc0 .LBB76_66
.LBB76_97:                              ;   Parent Loop BB76_3 Depth=1
                                        ; =>  This Inner Loop Header: Depth=2
	s_load_b64 s[26:27], s[24:25], 0x0
                                        ; implicit-def: $vgpr25_vgpr26
	s_mov_b32 s0, exec_lo
	s_waitcnt lgkmcnt(0)
	v_or_b32_e32 v3, s27, v22
	s_delay_alu instid0(VALU_DEP_1)
	v_cmpx_ne_u64_e32 0, v[2:3]
	s_xor_b32 s43, exec_lo, s0
	s_cbranch_execz .LBB76_99
; %bb.98:                               ;   in Loop: Header=BB76_97 Depth=2
	v_cvt_f32_u32_e32 v3, s26
	v_cvt_f32_u32_e32 v25, s27
	s_sub_u32 s0, 0, s26
	s_subb_u32 s44, 0, s27
	s_delay_alu instid0(VALU_DEP_1) | instskip(NEXT) | instid1(VALU_DEP_1)
	v_fmac_f32_e32 v3, 0x4f800000, v25
	v_rcp_f32_e32 v3, v3
	s_waitcnt_depctr 0xfff
	v_mul_f32_e32 v3, 0x5f7ffffc, v3
	s_delay_alu instid0(VALU_DEP_1) | instskip(NEXT) | instid1(VALU_DEP_1)
	v_mul_f32_e32 v25, 0x2f800000, v3
	v_trunc_f32_e32 v25, v25
	s_delay_alu instid0(VALU_DEP_1) | instskip(SKIP_1) | instid1(VALU_DEP_2)
	v_fmac_f32_e32 v3, 0xcf800000, v25
	v_cvt_u32_f32_e32 v25, v25
	v_cvt_u32_f32_e32 v3, v3
	s_delay_alu instid0(VALU_DEP_2) | instskip(NEXT) | instid1(VALU_DEP_2)
	v_mul_lo_u32 v26, s0, v25
	v_mul_hi_u32 v27, s0, v3
	v_mul_lo_u32 v28, s44, v3
	s_delay_alu instid0(VALU_DEP_2) | instskip(SKIP_1) | instid1(VALU_DEP_2)
	v_add_nc_u32_e32 v26, v27, v26
	v_mul_lo_u32 v27, s0, v3
	v_add_nc_u32_e32 v26, v26, v28
	s_delay_alu instid0(VALU_DEP_2) | instskip(NEXT) | instid1(VALU_DEP_2)
	v_mul_hi_u32 v28, v3, v27
	v_mul_lo_u32 v29, v3, v26
	v_mul_hi_u32 v30, v3, v26
	v_mul_hi_u32 v31, v25, v27
	v_mul_lo_u32 v27, v25, v27
	v_mul_hi_u32 v33, v25, v26
	v_mul_lo_u32 v26, v25, v26
	v_add_co_u32 v28, vcc_lo, v28, v29
	v_add_co_ci_u32_e32 v29, vcc_lo, 0, v30, vcc_lo
	s_delay_alu instid0(VALU_DEP_2) | instskip(NEXT) | instid1(VALU_DEP_2)
	v_add_co_u32 v27, vcc_lo, v28, v27
	v_add_co_ci_u32_e32 v27, vcc_lo, v29, v31, vcc_lo
	v_add_co_ci_u32_e32 v28, vcc_lo, 0, v33, vcc_lo
	s_delay_alu instid0(VALU_DEP_2) | instskip(NEXT) | instid1(VALU_DEP_2)
	v_add_co_u32 v26, vcc_lo, v27, v26
	v_add_co_ci_u32_e32 v27, vcc_lo, 0, v28, vcc_lo
	s_delay_alu instid0(VALU_DEP_2) | instskip(NEXT) | instid1(VALU_DEP_2)
	v_add_co_u32 v3, vcc_lo, v3, v26
	v_add_co_ci_u32_e32 v25, vcc_lo, v25, v27, vcc_lo
	s_delay_alu instid0(VALU_DEP_2) | instskip(SKIP_1) | instid1(VALU_DEP_3)
	v_mul_hi_u32 v26, s0, v3
	v_mul_lo_u32 v28, s44, v3
	v_mul_lo_u32 v27, s0, v25
	s_delay_alu instid0(VALU_DEP_1) | instskip(SKIP_1) | instid1(VALU_DEP_2)
	v_add_nc_u32_e32 v26, v26, v27
	v_mul_lo_u32 v27, s0, v3
	v_add_nc_u32_e32 v26, v26, v28
	s_delay_alu instid0(VALU_DEP_2) | instskip(NEXT) | instid1(VALU_DEP_2)
	v_mul_hi_u32 v28, v3, v27
	v_mul_lo_u32 v29, v3, v26
	v_mul_hi_u32 v30, v3, v26
	v_mul_hi_u32 v31, v25, v27
	v_mul_lo_u32 v27, v25, v27
	v_mul_hi_u32 v33, v25, v26
	v_mul_lo_u32 v26, v25, v26
	v_add_co_u32 v28, vcc_lo, v28, v29
	v_add_co_ci_u32_e32 v29, vcc_lo, 0, v30, vcc_lo
	s_delay_alu instid0(VALU_DEP_2) | instskip(NEXT) | instid1(VALU_DEP_2)
	v_add_co_u32 v27, vcc_lo, v28, v27
	v_add_co_ci_u32_e32 v27, vcc_lo, v29, v31, vcc_lo
	v_add_co_ci_u32_e32 v28, vcc_lo, 0, v33, vcc_lo
	s_delay_alu instid0(VALU_DEP_2) | instskip(NEXT) | instid1(VALU_DEP_2)
	v_add_co_u32 v26, vcc_lo, v27, v26
	v_add_co_ci_u32_e32 v27, vcc_lo, 0, v28, vcc_lo
	s_delay_alu instid0(VALU_DEP_2) | instskip(NEXT) | instid1(VALU_DEP_2)
	v_add_co_u32 v3, vcc_lo, v3, v26
	v_add_co_ci_u32_e32 v31, vcc_lo, v25, v27, vcc_lo
	s_delay_alu instid0(VALU_DEP_2) | instskip(SKIP_1) | instid1(VALU_DEP_3)
	v_mul_hi_u32 v33, v21, v3
	v_mad_u64_u32 v[27:28], null, v22, v3, 0
	v_mad_u64_u32 v[25:26], null, v21, v31, 0
	;; [unrolled: 1-line block ×3, first 2 shown]
	s_delay_alu instid0(VALU_DEP_2) | instskip(NEXT) | instid1(VALU_DEP_3)
	v_add_co_u32 v3, vcc_lo, v33, v25
	v_add_co_ci_u32_e32 v25, vcc_lo, 0, v26, vcc_lo
	s_delay_alu instid0(VALU_DEP_2) | instskip(NEXT) | instid1(VALU_DEP_2)
	v_add_co_u32 v3, vcc_lo, v3, v27
	v_add_co_ci_u32_e32 v3, vcc_lo, v25, v28, vcc_lo
	v_add_co_ci_u32_e32 v25, vcc_lo, 0, v30, vcc_lo
	s_delay_alu instid0(VALU_DEP_2) | instskip(NEXT) | instid1(VALU_DEP_2)
	v_add_co_u32 v3, vcc_lo, v3, v29
	v_add_co_ci_u32_e32 v27, vcc_lo, 0, v25, vcc_lo
	s_delay_alu instid0(VALU_DEP_2) | instskip(SKIP_1) | instid1(VALU_DEP_3)
	v_mul_lo_u32 v28, s27, v3
	v_mad_u64_u32 v[25:26], null, s26, v3, 0
	v_mul_lo_u32 v29, s26, v27
	s_delay_alu instid0(VALU_DEP_2) | instskip(NEXT) | instid1(VALU_DEP_2)
	v_sub_co_u32 v25, vcc_lo, v21, v25
	v_add3_u32 v26, v26, v29, v28
	s_delay_alu instid0(VALU_DEP_1) | instskip(NEXT) | instid1(VALU_DEP_1)
	v_sub_nc_u32_e32 v28, v22, v26
	v_subrev_co_ci_u32_e64 v28, s0, s27, v28, vcc_lo
	v_add_co_u32 v29, s0, v3, 2
	s_delay_alu instid0(VALU_DEP_1) | instskip(SKIP_3) | instid1(VALU_DEP_3)
	v_add_co_ci_u32_e64 v30, s0, 0, v27, s0
	v_sub_co_u32 v31, s0, v25, s26
	v_sub_co_ci_u32_e32 v26, vcc_lo, v22, v26, vcc_lo
	v_subrev_co_ci_u32_e64 v28, s0, 0, v28, s0
	v_cmp_le_u32_e32 vcc_lo, s26, v31
	s_delay_alu instid0(VALU_DEP_3) | instskip(SKIP_1) | instid1(VALU_DEP_4)
	v_cmp_eq_u32_e64 s0, s27, v26
	v_cndmask_b32_e64 v31, 0, -1, vcc_lo
	v_cmp_le_u32_e32 vcc_lo, s27, v28
	v_cndmask_b32_e64 v33, 0, -1, vcc_lo
	v_cmp_le_u32_e32 vcc_lo, s26, v25
	;; [unrolled: 2-line block ×3, first 2 shown]
	v_cndmask_b32_e64 v34, 0, -1, vcc_lo
	v_cmp_eq_u32_e32 vcc_lo, s27, v28
	s_delay_alu instid0(VALU_DEP_2) | instskip(SKIP_3) | instid1(VALU_DEP_3)
	v_cndmask_b32_e64 v25, v34, v25, s0
	v_cndmask_b32_e32 v28, v33, v31, vcc_lo
	v_add_co_u32 v31, vcc_lo, v3, 1
	v_add_co_ci_u32_e32 v33, vcc_lo, 0, v27, vcc_lo
	v_cmp_ne_u32_e32 vcc_lo, 0, v28
	s_delay_alu instid0(VALU_DEP_3) | instskip(NEXT) | instid1(VALU_DEP_3)
	v_cndmask_b32_e32 v28, v31, v29, vcc_lo
	v_cndmask_b32_e32 v26, v33, v30, vcc_lo
	v_cmp_ne_u32_e32 vcc_lo, 0, v25
	s_delay_alu instid0(VALU_DEP_3) | instskip(NEXT) | instid1(VALU_DEP_3)
	v_cndmask_b32_e32 v25, v3, v28, vcc_lo
	v_cndmask_b32_e32 v26, v27, v26, vcc_lo
.LBB76_99:                              ;   in Loop: Header=BB76_97 Depth=2
	s_and_not1_saveexec_b32 s0, s43
	s_cbranch_execz .LBB76_96
; %bb.100:                              ;   in Loop: Header=BB76_97 Depth=2
	v_cvt_f32_u32_e32 v3, s26
	s_sub_i32 s43, 0, s26
	s_delay_alu instid0(VALU_DEP_1) | instskip(SKIP_2) | instid1(VALU_DEP_1)
	v_rcp_iflag_f32_e32 v3, v3
	s_waitcnt_depctr 0xfff
	v_mul_f32_e32 v3, 0x4f7ffffe, v3
	v_cvt_u32_f32_e32 v3, v3
	s_delay_alu instid0(VALU_DEP_1) | instskip(NEXT) | instid1(VALU_DEP_1)
	v_mul_lo_u32 v25, s43, v3
	v_mul_hi_u32 v25, v3, v25
	s_delay_alu instid0(VALU_DEP_1) | instskip(NEXT) | instid1(VALU_DEP_1)
	v_add_nc_u32_e32 v3, v3, v25
	v_mul_hi_u32 v3, v21, v3
	s_delay_alu instid0(VALU_DEP_1) | instskip(SKIP_1) | instid1(VALU_DEP_2)
	v_mul_lo_u32 v25, v3, s26
	v_add_nc_u32_e32 v26, 1, v3
	v_sub_nc_u32_e32 v25, v21, v25
	s_delay_alu instid0(VALU_DEP_1) | instskip(SKIP_1) | instid1(VALU_DEP_2)
	v_subrev_nc_u32_e32 v27, s26, v25
	v_cmp_le_u32_e32 vcc_lo, s26, v25
	v_cndmask_b32_e32 v25, v25, v27, vcc_lo
	v_cndmask_b32_e32 v3, v3, v26, vcc_lo
	s_delay_alu instid0(VALU_DEP_2) | instskip(NEXT) | instid1(VALU_DEP_2)
	v_cmp_le_u32_e32 vcc_lo, s26, v25
	v_add_nc_u32_e32 v26, 1, v3
	s_delay_alu instid0(VALU_DEP_1)
	v_dual_cndmask_b32 v25, v3, v26 :: v_dual_mov_b32 v26, v2
	s_branch .LBB76_96
.LBB76_101:                             ;   in Loop: Header=BB76_3 Depth=1
	v_cmp_le_f32_e32 vcc_lo, 0, v34
	v_cmp_ge_f32_e64 s0, 1.0, v34
	s_delay_alu instid0(VALU_DEP_1) | instskip(SKIP_2) | instid1(SALU_CYCLE_1)
	s_and_b32 s42, vcc_lo, s0
	s_mov_b32 s0, 0
	s_and_saveexec_b32 s43, s42
	s_xor_b32 s42, exec_lo, s43
	s_cbranch_execz .LBB76_103
; %bb.102:                              ;   in Loop: Header=BB76_3 Depth=1
	v_cvt_f32_u32_e32 v3, v12
	v_lshlrev_b64 v[9:10], 3, v[9:10]
	s_mov_b32 s0, exec_lo
	s_delay_alu instid0(VALU_DEP_2) | instskip(NEXT) | instid1(VALU_DEP_2)
	v_fmaak_f32 v3, 0x2f800000, v3, 0x2f800000
	v_add_co_u32 v9, vcc_lo, s16, v9
	s_delay_alu instid0(VALU_DEP_3) | instskip(NEXT) | instid1(VALU_DEP_3)
	v_add_co_ci_u32_e32 v10, vcc_lo, s17, v10, vcc_lo
	v_cmp_le_f32_e32 vcc_lo, v3, v34
	v_cndmask_b32_e64 v3, 0, 0x3ff00000, vcc_lo
	global_store_b64 v[9:10], v[2:3], off
.LBB76_103:                             ;   in Loop: Header=BB76_3 Depth=1
	s_or_b32 exec_lo, exec_lo, s42
	s_delay_alu instid0(SALU_CYCLE_1)
	s_and_not1_b32 s42, s27, exec_lo
	s_or_b32 s27, s27, exec_lo
	s_and_not1_b32 s26, s26, exec_lo
	s_and_not1_b32 s25, s25, exec_lo
	s_and_b32 s0, s0, exec_lo
	s_and_not1_b32 s1, s1, exec_lo
	s_or_b32 exec_lo, exec_lo, s44
	s_and_saveexec_b32 s43, s1
	s_cbranch_execz .LBB76_95
.LBB76_104:                             ;   in Loop: Header=BB76_3 Depth=1
	v_cmp_eq_u32_e32 vcc_lo, 1, v16
	s_and_not1_b32 s0, s0, exec_lo
	s_and_not1_b32 s42, s42, exec_lo
	;; [unrolled: 1-line block ×4, first 2 shown]
	s_and_b32 s1, vcc_lo, exec_lo
	s_and_not1_b32 s25, s25, exec_lo
	s_or_b32 s24, s24, exec_lo
	s_or_b32 s0, s0, s1
	s_or_b32 exec_lo, exec_lo, s43
	s_and_saveexec_b32 s1, s0
	s_cbranch_execz .LBB76_108
.LBB76_105:                             ;   in Loop: Header=BB76_3 Depth=1
	v_cmp_le_f32_e32 vcc_lo, 0, v33
	v_cmp_ge_f32_e64 s0, 1.0, v33
	s_delay_alu instid0(VALU_DEP_1)
	s_and_b32 s44, vcc_lo, s0
	s_mov_b32 s0, 0
	s_and_saveexec_b32 s43, s44
	s_cbranch_execz .LBB76_107
; %bb.106:                              ;   in Loop: Header=BB76_3 Depth=1
	v_cvt_f32_u32_e32 v3, v11
	v_lshlrev_b64 v[7:8], 3, v[7:8]
	s_mov_b32 s0, exec_lo
	s_delay_alu instid0(VALU_DEP_2) | instskip(NEXT) | instid1(VALU_DEP_2)
	v_fmaak_f32 v3, 0x2f800000, v3, 0x2f800000
	v_add_co_u32 v7, vcc_lo, s16, v7
	s_delay_alu instid0(VALU_DEP_3) | instskip(NEXT) | instid1(VALU_DEP_3)
	v_add_co_ci_u32_e32 v8, vcc_lo, s17, v8, vcc_lo
	v_cmp_le_f32_e32 vcc_lo, v3, v33
	v_cndmask_b32_e64 v3, 0, 0x3ff00000, vcc_lo
	global_store_b64 v[7:8], v[2:3], off
.LBB76_107:                             ;   in Loop: Header=BB76_3 Depth=1
	s_or_b32 exec_lo, exec_lo, s43
	s_delay_alu instid0(SALU_CYCLE_1)
	s_and_not1_b32 s24, s24, exec_lo
	s_and_b32 s0, s0, exec_lo
	s_or_b32 s42, s42, exec_lo
	s_and_not1_b32 s27, s27, exec_lo
	s_and_not1_b32 s26, s26, exec_lo
	;; [unrolled: 1-line block ×3, first 2 shown]
	s_or_b32 s24, s24, s0
.LBB76_108:                             ;   in Loop: Header=BB76_3 Depth=1
	s_or_b32 exec_lo, exec_lo, s1
	s_delay_alu instid0(SALU_CYCLE_1)
	s_and_not1_b32 s1, s41, exec_lo
	s_and_b32 s41, s42, exec_lo
	s_and_not1_b32 s39, s39, exec_lo
	s_and_b32 s27, s27, exec_lo
	s_or_b32 s41, s1, s41
	s_or_b32 s39, s39, s27
	s_and_not1_b32 s1, s40, exec_lo
	s_and_b32 s26, s26, exec_lo
	s_and_not1_b32 s27, s38, exec_lo
	s_and_b32 s25, s25, exec_lo
	s_mov_b32 s0, -1
	s_or_b32 s40, s1, s26
	s_or_b32 s38, s27, s25
	s_and_saveexec_b32 s1, s24
	s_cbranch_execz .LBB76_2
; %bb.109:                              ;   in Loop: Header=BB76_3 Depth=1
	v_add_co_u32 v4, vcc_lo, v4, s31
	v_add_co_ci_u32_e32 v5, vcc_lo, 0, v5, vcc_lo
	s_and_not1_b32 s41, s41, exec_lo
	s_and_not1_b32 s39, s39, exec_lo
	s_and_not1_b32 s40, s40, exec_lo
	s_delay_alu instid0(VALU_DEP_1)
	v_cmp_le_u64_e32 vcc_lo, s[4:5], v[4:5]
	s_and_not1_b32 s38, s38, exec_lo
	s_or_not1_b32 s0, vcc_lo, exec_lo
	s_branch .LBB76_2
.LBB76_110:
	s_or_b32 exec_lo, exec_lo, s19
	s_xor_b32 s3, s36, -1
	s_xor_b32 s4, s37, -1
	;; [unrolled: 1-line block ×3, first 2 shown]
	s_mov_b32 s1, 0
	s_and_saveexec_b32 s2, s0
	s_delay_alu instid0(SALU_CYCLE_1)
	s_xor_b32 s0, exec_lo, s2
	s_cbranch_execz .LBB76_119
; %bb.111:
	s_mov_b32 s2, 0
	s_and_saveexec_b32 s1, s4
	s_delay_alu instid0(SALU_CYCLE_1)
	s_xor_b32 s1, exec_lo, s1
	s_cbranch_execz .LBB76_117
; %bb.112:
	s_and_saveexec_b32 s4, s3
	s_delay_alu instid0(SALU_CYCLE_1)
	s_xor_b32 s3, exec_lo, s4
	s_cbranch_execz .LBB76_115
; %bb.113:
	s_and_saveexec_b32 s4, s18
	s_delay_alu instid0(SALU_CYCLE_1)
	s_xor_b32 s4, exec_lo, s4
	s_cbranch_execnz .LBB76_133
.LBB76_114:
	s_or_b32 exec_lo, exec_lo, s4
	s_delay_alu instid0(SALU_CYCLE_1)
	s_and_b32 s2, s2, exec_lo
.LBB76_115:
	s_and_not1_saveexec_b32 s3, s3
	s_cbranch_execnz .LBB76_129
.LBB76_116:
	s_or_b32 exec_lo, exec_lo, s3
	s_delay_alu instid0(SALU_CYCLE_1)
	s_and_b32 s2, s2, exec_lo
.LBB76_117:
	s_and_not1_saveexec_b32 s1, s1
	s_cbranch_execnz .LBB76_125
.LBB76_118:
	s_or_b32 exec_lo, exec_lo, s1
	s_delay_alu instid0(SALU_CYCLE_1)
	s_and_b32 s1, s2, exec_lo
.LBB76_119:
	s_and_not1_saveexec_b32 s0, s0
	s_cbranch_execnz .LBB76_123
; %bb.120:
	s_or_b32 exec_lo, exec_lo, s0
	s_delay_alu instid0(SALU_CYCLE_1)
	s_and_b32 exec_lo, exec_lo, s1
.LBB76_121:
	; divergent unreachable
.LBB76_122:
	s_nop 0
	s_sendmsg sendmsg(MSG_DEALLOC_VGPRS)
	s_endpgm
.LBB76_123:
	s_cbranch_execnz .LBB76_127
; %bb.124:
	s_or_b32 s1, s1, exec_lo
	s_or_b32 exec_lo, exec_lo, s0
	s_delay_alu instid0(SALU_CYCLE_1)
	s_and_b32 exec_lo, exec_lo, s1
	s_cbranch_execnz .LBB76_121
	s_branch .LBB76_122
.LBB76_125:
	s_cbranch_execnz .LBB76_131
; %bb.126:
	s_or_b32 s2, s2, exec_lo
	s_branch .LBB76_118
.LBB76_127:
	s_trap 2
	s_sendmsg_rtn_b32 s0, sendmsg(MSG_RTN_GET_DOORBELL)
	s_mov_b32 ttmp2, m0
	s_waitcnt lgkmcnt(0)
	s_and_b32 s0, s0, 0x3ff
	s_delay_alu instid0(SALU_CYCLE_1) | instskip(NEXT) | instid1(SALU_CYCLE_1)
	s_bitset1_b32 s0, 10
	s_mov_b32 m0, s0
	s_sendmsg sendmsg(MSG_INTERRUPT)
	s_mov_b32 m0, ttmp2
.LBB76_128:                             ; =>This Inner Loop Header: Depth=1
	s_sethalt 5
	s_branch .LBB76_128
.LBB76_129:
	s_cbranch_execnz .LBB76_135
; %bb.130:
	s_or_b32 s2, s2, exec_lo
	s_branch .LBB76_116
.LBB76_131:
	s_trap 2
	s_sendmsg_rtn_b32 s0, sendmsg(MSG_RTN_GET_DOORBELL)
	s_mov_b32 ttmp2, m0
	s_waitcnt lgkmcnt(0)
	s_and_b32 s0, s0, 0x3ff
	s_delay_alu instid0(SALU_CYCLE_1) | instskip(NEXT) | instid1(SALU_CYCLE_1)
	s_bitset1_b32 s0, 10
	s_mov_b32 m0, s0
	s_sendmsg sendmsg(MSG_INTERRUPT)
	s_mov_b32 m0, ttmp2
.LBB76_132:                             ; =>This Inner Loop Header: Depth=1
	s_sethalt 5
	s_branch .LBB76_132
.LBB76_133:
	s_cbranch_execnz .LBB76_137
; %bb.134:
	s_mov_b32 s2, exec_lo
	s_branch .LBB76_114
.LBB76_135:
	s_trap 2
	s_sendmsg_rtn_b32 s0, sendmsg(MSG_RTN_GET_DOORBELL)
	s_mov_b32 ttmp2, m0
	s_waitcnt lgkmcnt(0)
	s_and_b32 s0, s0, 0x3ff
	s_delay_alu instid0(SALU_CYCLE_1) | instskip(NEXT) | instid1(SALU_CYCLE_1)
	s_bitset1_b32 s0, 10
	s_mov_b32 m0, s0
	s_sendmsg sendmsg(MSG_INTERRUPT)
	s_mov_b32 m0, ttmp2
.LBB76_136:                             ; =>This Inner Loop Header: Depth=1
	s_sethalt 5
	s_branch .LBB76_136
.LBB76_137:
	s_trap 2
	s_sendmsg_rtn_b32 s0, sendmsg(MSG_RTN_GET_DOORBELL)
	s_mov_b32 ttmp2, m0
	s_waitcnt lgkmcnt(0)
	s_and_b32 s0, s0, 0x3ff
	s_delay_alu instid0(SALU_CYCLE_1) | instskip(NEXT) | instid1(SALU_CYCLE_1)
	s_bitset1_b32 s0, 10
	s_mov_b32 m0, s0
	s_sendmsg sendmsg(MSG_INTERRUPT)
	s_mov_b32 m0, ttmp2
.LBB76_138:                             ; =>This Inner Loop Header: Depth=1
	s_sethalt 5
	s_branch .LBB76_138
	.section	.rodata,"a",@progbits
	.p2align	6, 0x0
	.amdhsa_kernel _ZN2at4cuda12_GLOBAL__N_121kernelPointwiseApply2IZNS_6native9templates4cuda28bernoulli_tensor_cuda_kernelIdfEEvRKNS_10TensorBaseES9_NS_15PhiloxCudaStateEEUliRdSB_SB_SB_RKfSD_SD_SD_E_dSC_mLin1ELin1ELi4ELi512ELi2EEEvNS0_6detail10TensorInfoIT0_T2_EENSG_IT1_SI_EESI_T_
		.amdhsa_group_segment_fixed_size 0
		.amdhsa_private_segment_fixed_size 0
		.amdhsa_kernarg_size 1128
		.amdhsa_user_sgpr_count 15
		.amdhsa_user_sgpr_dispatch_ptr 0
		.amdhsa_user_sgpr_queue_ptr 0
		.amdhsa_user_sgpr_kernarg_segment_ptr 1
		.amdhsa_user_sgpr_dispatch_id 0
		.amdhsa_user_sgpr_private_segment_size 0
		.amdhsa_wavefront_size32 1
		.amdhsa_uses_dynamic_stack 0
		.amdhsa_enable_private_segment 0
		.amdhsa_system_sgpr_workgroup_id_x 1
		.amdhsa_system_sgpr_workgroup_id_y 0
		.amdhsa_system_sgpr_workgroup_id_z 0
		.amdhsa_system_sgpr_workgroup_info 0
		.amdhsa_system_vgpr_workitem_id 0
		.amdhsa_next_free_vgpr 44
		.amdhsa_next_free_sgpr 46
		.amdhsa_reserve_vcc 1
		.amdhsa_float_round_mode_32 0
		.amdhsa_float_round_mode_16_64 0
		.amdhsa_float_denorm_mode_32 3
		.amdhsa_float_denorm_mode_16_64 3
		.amdhsa_dx10_clamp 1
		.amdhsa_ieee_mode 1
		.amdhsa_fp16_overflow 0
		.amdhsa_workgroup_processor_mode 1
		.amdhsa_memory_ordered 1
		.amdhsa_forward_progress 0
		.amdhsa_shared_vgpr_count 0
		.amdhsa_exception_fp_ieee_invalid_op 0
		.amdhsa_exception_fp_denorm_src 0
		.amdhsa_exception_fp_ieee_div_zero 0
		.amdhsa_exception_fp_ieee_overflow 0
		.amdhsa_exception_fp_ieee_underflow 0
		.amdhsa_exception_fp_ieee_inexact 0
		.amdhsa_exception_int_div_zero 0
	.end_amdhsa_kernel
	.section	.text._ZN2at4cuda12_GLOBAL__N_121kernelPointwiseApply2IZNS_6native9templates4cuda28bernoulli_tensor_cuda_kernelIdfEEvRKNS_10TensorBaseES9_NS_15PhiloxCudaStateEEUliRdSB_SB_SB_RKfSD_SD_SD_E_dSC_mLin1ELin1ELi4ELi512ELi2EEEvNS0_6detail10TensorInfoIT0_T2_EENSG_IT1_SI_EESI_T_,"axG",@progbits,_ZN2at4cuda12_GLOBAL__N_121kernelPointwiseApply2IZNS_6native9templates4cuda28bernoulli_tensor_cuda_kernelIdfEEvRKNS_10TensorBaseES9_NS_15PhiloxCudaStateEEUliRdSB_SB_SB_RKfSD_SD_SD_E_dSC_mLin1ELin1ELi4ELi512ELi2EEEvNS0_6detail10TensorInfoIT0_T2_EENSG_IT1_SI_EESI_T_,comdat
.Lfunc_end76:
	.size	_ZN2at4cuda12_GLOBAL__N_121kernelPointwiseApply2IZNS_6native9templates4cuda28bernoulli_tensor_cuda_kernelIdfEEvRKNS_10TensorBaseES9_NS_15PhiloxCudaStateEEUliRdSB_SB_SB_RKfSD_SD_SD_E_dSC_mLin1ELin1ELi4ELi512ELi2EEEvNS0_6detail10TensorInfoIT0_T2_EENSG_IT1_SI_EESI_T_, .Lfunc_end76-_ZN2at4cuda12_GLOBAL__N_121kernelPointwiseApply2IZNS_6native9templates4cuda28bernoulli_tensor_cuda_kernelIdfEEvRKNS_10TensorBaseES9_NS_15PhiloxCudaStateEEUliRdSB_SB_SB_RKfSD_SD_SD_E_dSC_mLin1ELin1ELi4ELi512ELi2EEEvNS0_6detail10TensorInfoIT0_T2_EENSG_IT1_SI_EESI_T_
                                        ; -- End function
	.section	.AMDGPU.csdata,"",@progbits
; Kernel info:
; codeLenInByte = 12436
; NumSgprs: 48
; NumVgprs: 44
; ScratchSize: 0
; MemoryBound: 0
; FloatMode: 240
; IeeeMode: 1
; LDSByteSize: 0 bytes/workgroup (compile time only)
; SGPRBlocks: 5
; VGPRBlocks: 5
; NumSGPRsForWavesPerEU: 48
; NumVGPRsForWavesPerEU: 44
; Occupancy: 16
; WaveLimiterHint : 1
; COMPUTE_PGM_RSRC2:SCRATCH_EN: 0
; COMPUTE_PGM_RSRC2:USER_SGPR: 15
; COMPUTE_PGM_RSRC2:TRAP_HANDLER: 0
; COMPUTE_PGM_RSRC2:TGID_X_EN: 1
; COMPUTE_PGM_RSRC2:TGID_Y_EN: 0
; COMPUTE_PGM_RSRC2:TGID_Z_EN: 0
; COMPUTE_PGM_RSRC2:TIDIG_COMP_CNT: 0
	.section	.text._ZN2at4cuda12_GLOBAL__N_121kernelPointwiseApply2IZNS_6native9templates4cuda28bernoulli_tensor_cuda_kernelIffEEvRKNS_10TensorBaseES9_NS_15PhiloxCudaStateEEUliRfSB_SB_SB_RKfSD_SD_SD_E_fSC_jLi1ELi1ELi4ELi512ELi2EEEvNS0_6detail10TensorInfoIT0_T2_EENSG_IT1_SI_EESI_T_,"axG",@progbits,_ZN2at4cuda12_GLOBAL__N_121kernelPointwiseApply2IZNS_6native9templates4cuda28bernoulli_tensor_cuda_kernelIffEEvRKNS_10TensorBaseES9_NS_15PhiloxCudaStateEEUliRfSB_SB_SB_RKfSD_SD_SD_E_fSC_jLi1ELi1ELi4ELi512ELi2EEEvNS0_6detail10TensorInfoIT0_T2_EENSG_IT1_SI_EESI_T_,comdat
	.globl	_ZN2at4cuda12_GLOBAL__N_121kernelPointwiseApply2IZNS_6native9templates4cuda28bernoulli_tensor_cuda_kernelIffEEvRKNS_10TensorBaseES9_NS_15PhiloxCudaStateEEUliRfSB_SB_SB_RKfSD_SD_SD_E_fSC_jLi1ELi1ELi4ELi512ELi2EEEvNS0_6detail10TensorInfoIT0_T2_EENSG_IT1_SI_EESI_T_ ; -- Begin function _ZN2at4cuda12_GLOBAL__N_121kernelPointwiseApply2IZNS_6native9templates4cuda28bernoulli_tensor_cuda_kernelIffEEvRKNS_10TensorBaseES9_NS_15PhiloxCudaStateEEUliRfSB_SB_SB_RKfSD_SD_SD_E_fSC_jLi1ELi1ELi4ELi512ELi2EEEvNS0_6detail10TensorInfoIT0_T2_EENSG_IT1_SI_EESI_T_
	.p2align	8
	.type	_ZN2at4cuda12_GLOBAL__N_121kernelPointwiseApply2IZNS_6native9templates4cuda28bernoulli_tensor_cuda_kernelIffEEvRKNS_10TensorBaseES9_NS_15PhiloxCudaStateEEUliRfSB_SB_SB_RKfSD_SD_SD_E_fSC_jLi1ELi1ELi4ELi512ELi2EEEvNS0_6detail10TensorInfoIT0_T2_EENSG_IT1_SI_EESI_T_,@function
_ZN2at4cuda12_GLOBAL__N_121kernelPointwiseApply2IZNS_6native9templates4cuda28bernoulli_tensor_cuda_kernelIffEEvRKNS_10TensorBaseES9_NS_15PhiloxCudaStateEEUliRfSB_SB_SB_RKfSD_SD_SD_E_fSC_jLi1ELi1ELi4ELi512ELi2EEEvNS0_6detail10TensorInfoIT0_T2_EENSG_IT1_SI_EESI_T_: ; @_ZN2at4cuda12_GLOBAL__N_121kernelPointwiseApply2IZNS_6native9templates4cuda28bernoulli_tensor_cuda_kernelIffEEvRKNS_10TensorBaseES9_NS_15PhiloxCudaStateEEUliRfSB_SB_SB_RKfSD_SD_SD_E_fSC_jLi1ELi1ELi4ELi512ELi2EEEvNS0_6detail10TensorInfoIT0_T2_EENSG_IT1_SI_EESI_T_
; %bb.0:
	s_clause 0x1
	s_load_b32 s4, s[0:1], 0x1e4
	s_load_b32 s12, s[0:1], 0x1b0
	s_add_u32 s2, s0, 0x1d8
	s_addc_u32 s3, s1, 0
	s_waitcnt lgkmcnt(0)
	s_and_b32 s14, s4, 0xffff
	s_mov_b32 s4, exec_lo
	v_mad_u64_u32 v[1:2], null, s15, s14, v[0:1]
	s_delay_alu instid0(VALU_DEP_1) | instskip(NEXT) | instid1(VALU_DEP_1)
	v_lshlrev_b32_e32 v0, 2, v1
	v_cmpx_gt_u32_e64 s12, v0
	s_cbranch_execz .LBB77_51
; %bb.1:
	s_load_b32 s15, s[2:3], 0x0
	s_clause 0x4
	s_load_b32 s17, s[0:1], 0x1d0
	s_load_b32 s16, s[0:1], 0x6c
	s_load_b32 s18, s[0:1], 0x144
	s_load_b64 s[2:3], s[0:1], 0x0
	s_load_b64 s[8:9], s[0:1], 0xd8
	v_mad_u64_u32 v[2:3], null, 0xcd9e8d57, v1, 0
	s_clause 0x1
	s_load_b64 s[10:11], s[0:1], 0x1c8
	s_load_b128 s[4:7], s[0:1], 0x1b8
	v_dual_mov_b32 v4, 0 :: v_dual_add_nc_u32 v9, 3, v0
	v_add_nc_u32_e32 v8, 2, v0
	v_sub_nc_u32_e32 v24, s12, v0
	s_mov_b32 s13, 0
	v_mov_b32_e32 v25, v3
	s_mov_b32 s21, 0
                                        ; implicit-def: $sgpr20
                                        ; implicit-def: $sgpr23
                                        ; implicit-def: $sgpr22
                                        ; implicit-def: $sgpr24
                                        ; implicit-def: $sgpr26
                                        ; implicit-def: $sgpr25
                                        ; implicit-def: $sgpr27
	s_waitcnt lgkmcnt(0)
	s_mul_i32 s0, s15, s14
	s_bitcmp1_b32 s17, 0
	v_mul_lo_u32 v3, s16, v1
	v_mul_lo_u32 v10, s18, v1
	v_mad_u64_u32 v[5:6], null, s16, v0, s[16:17]
	v_mul_lo_u32 v26, s16, v8
	v_mul_lo_u32 v27, s16, v9
	v_mad_u64_u32 v[6:7], null, s18, v0, s[18:19]
	v_mul_lo_u32 v29, s18, v8
	v_mul_lo_u32 v30, s18, v9
	v_lshlrev_b32_e32 v28, 2, v3
	v_lshlrev_b32_e32 v31, 2, v10
	s_mul_i32 s1, s0, s16
	s_cselect_b32 s15, -1, 0
	s_lshl_b32 s16, s0, 2
	s_mul_i32 s0, s0, s18
	s_lshl_b32 s17, s1, 2
	s_lshl_b32 s18, s0, 2
	s_mov_b32 s19, 0
                                        ; implicit-def: $sgpr14
	s_branch .LBB77_3
.LBB77_2:                               ;   in Loop: Header=BB77_3 Depth=1
	s_or_b32 exec_lo, exec_lo, s1
	s_delay_alu instid0(SALU_CYCLE_1) | instskip(NEXT) | instid1(SALU_CYCLE_1)
	s_and_b32 s0, exec_lo, s0
	s_or_b32 s13, s0, s13
	s_and_not1_b32 s0, s14, exec_lo
	s_and_b32 s1, s27, exec_lo
	s_and_not1_b32 s22, s22, exec_lo
	s_and_b32 s28, s25, exec_lo
	s_or_b32 s14, s0, s1
	s_or_b32 s22, s22, s28
	s_and_not1_b32 s0, s23, exec_lo
	s_and_b32 s1, s26, exec_lo
	s_and_not1_b32 s20, s20, exec_lo
	s_and_b32 s28, s24, exec_lo
	s_or_b32 s23, s0, s1
	s_or_b32 s20, s20, s28
	s_and_not1_b32 exec_lo, exec_lo, s13
	s_cbranch_execz .LBB77_39
.LBB77_3:                               ; =>This Inner Loop Header: Depth=1
	v_dual_mov_b32 v12, s7 :: v_dual_add_nc_u32 v3, s19, v30
	v_cmp_lt_i32_e64 s0, 3, v24
	v_dual_mov_b32 v11, s6 :: v_dual_mov_b32 v14, s5
	v_mov_b32_e32 v13, s4
	s_delay_alu instid0(VALU_DEP_3) | instskip(NEXT) | instid1(VALU_DEP_1)
	v_cndmask_b32_e64 v3, 0, v3, s0
	v_lshlrev_b64 v[7:8], 2, v[3:4]
	s_delay_alu instid0(VALU_DEP_1) | instskip(NEXT) | instid1(VALU_DEP_2)
	v_add_co_u32 v7, vcc_lo, s8, v7
	v_add_co_ci_u32_e32 v8, vcc_lo, s9, v8, vcc_lo
	s_and_not1_b32 vcc_lo, exec_lo, s15
	global_load_b32 v32, v[7:8], off
	s_cbranch_vccnz .LBB77_5
; %bb.4:                                ;   in Loop: Header=BB77_3 Depth=1
	v_dual_mov_b32 v8, s7 :: v_dual_mov_b32 v7, s6
	v_dual_mov_b32 v10, s5 :: v_dual_mov_b32 v9, s4
	flat_load_b64 v[7:8], v[7:8]
	flat_load_b64 v[13:14], v[9:10]
	s_waitcnt vmcnt(1) lgkmcnt(1)
	v_add_co_u32 v11, vcc_lo, v7, s10
	v_add_co_ci_u32_e32 v12, vcc_lo, s11, v8, vcc_lo
.LBB77_5:                               ;   in Loop: Header=BB77_3 Depth=1
	s_delay_alu instid0(VALU_DEP_1)
	v_alignbit_b32 v3, v12, v11, 2
	v_lshrrev_b32_e32 v9, 2, v12
	s_waitcnt vmcnt(0) lgkmcnt(0)
	v_add_nc_u32_e32 v33, 0x9e3779b9, v13
	v_add_nc_u32_e32 v35, 0x76cf5d0a, v14
	;; [unrolled: 1-line block ×3, first 2 shown]
	v_add_co_u32 v10, vcc_lo, v3, 1
	s_delay_alu instid0(VALU_DEP_1) | instskip(SKIP_4) | instid1(VALU_DEP_4)
	v_cndmask_b32_e64 v7, 0, 1, vcc_lo
	v_add_co_ci_u32_e32 v12, vcc_lo, 0, v9, vcc_lo
	v_xor3_b32 v17, v25, v13, v9
	v_add_nc_u32_e32 v37, 0xed9eba14, v14
	v_add_nc_u32_e32 v39, 0xa9066899, v14
	v_cmp_eq_u32_e32 vcc_lo, 0, v12
	v_add_nc_u32_e32 v40, 0x646e171e, v14
	s_mov_b32 s1, exec_lo
	v_dual_cndmask_b32 v15, 0, v7 :: v_dual_add_nc_u32 v34, 0xbb67ae85, v14
	v_mad_u64_u32 v[7:8], null, 0xd2511f53, v10, 0
	s_delay_alu instid0(VALU_DEP_2) | instskip(NEXT) | instid1(VALU_DEP_2)
	v_add_nc_u32_e32 v10, v15, v1
	v_xor_b32_e32 v16, v8, v14
	s_delay_alu instid0(VALU_DEP_2) | instskip(SKIP_2) | instid1(VALU_DEP_1)
	v_cmp_eq_u32_e32 vcc_lo, 0, v10
	v_mad_u64_u32 v[8:9], null, 0xd2511f53, v3, 0
	v_cndmask_b32_e32 v15, 0, v15, vcc_lo
	v_xor_b32_e32 v3, v15, v16
	v_mad_u64_u32 v[15:16], null, 0xd2511f53, v17, 0
	v_mad_u64_u32 v[17:18], null, 0xcd9e8d57, v10, 0
	s_delay_alu instid0(VALU_DEP_3) | instskip(SKIP_3) | instid1(VALU_DEP_3)
	v_mad_u64_u32 v[19:20], null, 0xcd9e8d57, v3, 0
	v_xor_b32_e32 v3, v9, v14
	v_add_nc_u32_e32 v10, 0x3c6ef372, v13
	v_xor3_b32 v21, v34, v16, v8
	v_mad_u64_u32 v[8:9], null, 0xcd9e8d57, v3, 0
	v_xor3_b32 v3, v18, v13, v12
	v_xor3_b32 v12, v33, v20, v17
	s_delay_alu instid0(VALU_DEP_4) | instskip(NEXT) | instid1(VALU_DEP_3)
	v_mad_u64_u32 v[16:17], null, 0xcd9e8d57, v21, 0
	v_mad_u64_u32 v[20:21], null, 0xd2511f53, v3, 0
	s_delay_alu instid0(VALU_DEP_3) | instskip(SKIP_1) | instid1(VALU_DEP_4)
	v_mad_u64_u32 v[22:23], null, 0xd2511f53, v12, 0
	v_xor3_b32 v3, v2, v9, v33
	v_xor3_b32 v33, v10, v17, v8
	v_add_nc_u32_e32 v12, 0xdaa66d2b, v13
	s_delay_alu instid0(VALU_DEP_3) | instskip(SKIP_4) | instid1(VALU_DEP_4)
	v_mad_u64_u32 v[8:9], null, 0xd2511f53, v3, 0
	v_xor3_b32 v3, v34, v21, v7
	v_xor3_b32 v7, v35, v23, v20
	v_mad_u64_u32 v[17:18], null, 0xd2511f53, v33, 0
	v_add_nc_u32_e32 v23, 0x78dde6e4, v13
	v_mad_u64_u32 v[20:21], null, 0xcd9e8d57, v3, 0
	s_delay_alu instid0(VALU_DEP_4) | instskip(SKIP_2) | instid1(VALU_DEP_2)
	v_mad_u64_u32 v[33:34], null, 0xcd9e8d57, v7, 0
	v_xor3_b32 v3, v35, v9, v15
	v_xor3_b32 v15, v36, v18, v8
	v_mad_u64_u32 v[7:8], null, 0xcd9e8d57, v3, 0
	v_xor3_b32 v3, v10, v21, v19
	v_xor3_b32 v34, v12, v34, v20
	s_delay_alu instid0(VALU_DEP_4) | instskip(NEXT) | instid1(VALU_DEP_3)
	v_mad_u64_u32 v[9:10], null, 0xcd9e8d57, v15, 0
	v_mad_u64_u32 v[18:19], null, 0xd2511f53, v3, 0
	s_delay_alu instid0(VALU_DEP_3) | instskip(SKIP_1) | instid1(VALU_DEP_4)
	v_mad_u64_u32 v[20:21], null, 0xd2511f53, v34, 0
	v_xor3_b32 v3, v12, v8, v16
	v_xor3_b32 v10, v23, v10, v7
	v_add_nc_u32_e32 v12, 0x1715609d, v13
	s_delay_alu instid0(VALU_DEP_3) | instskip(SKIP_3) | instid1(VALU_DEP_3)
	v_mad_u64_u32 v[7:8], null, 0xd2511f53, v3, 0
	v_xor3_b32 v3, v36, v19, v22
	v_xor3_b32 v18, v37, v21, v18
	v_mad_u64_u32 v[21:22], null, 0xd2511f53, v10, 0
	v_mad_u64_u32 v[15:16], null, 0xcd9e8d57, v3, 0
	s_delay_alu instid0(VALU_DEP_3) | instskip(SKIP_1) | instid1(VALU_DEP_4)
	v_mad_u64_u32 v[34:35], null, 0xcd9e8d57, v18, 0
	v_xor3_b32 v3, v37, v8, v17
	v_xor3_b32 v10, v39, v22, v7
	v_add_nc_u32_e32 v17, 0xb54cda56, v13
	s_delay_alu instid0(VALU_DEP_3) | instskip(SKIP_4) | instid1(VALU_DEP_4)
	v_mad_u64_u32 v[7:8], null, 0xcd9e8d57, v3, 0
	v_xor3_b32 v3, v23, v16, v33
	v_xor3_b32 v18, v12, v35, v15
	v_mad_u64_u32 v[35:36], null, 0xcd9e8d57, v10, 0
	v_add_nc_u32_e32 v23, 0x1fd5c5a3, v14
	v_mad_u64_u32 v[15:16], null, 0xd2511f53, v3, 0
	s_delay_alu instid0(VALU_DEP_4) | instskip(SKIP_4) | instid1(VALU_DEP_4)
	v_mad_u64_u32 v[37:38], null, 0xd2511f53, v18, 0
	v_xor3_b32 v3, v12, v8, v9
	v_xor3_b32 v9, v17, v36, v7
	v_add_nc_u32_e32 v12, 0x5384540f, v13
	v_add_co_u32 v33, null, 0xf1bbcdc8, v13
	v_mad_u64_u32 v[7:8], null, 0xd2511f53, v3, 0
	v_xor3_b32 v3, v39, v16, v20
	v_xor3_b32 v20, v40, v38, v15
	v_mad_u64_u32 v[15:16], null, 0xd2511f53, v9, 0
	s_delay_alu instid0(VALU_DEP_3) | instskip(NEXT) | instid1(VALU_DEP_3)
	v_mad_u64_u32 v[9:10], null, 0xcd9e8d57, v3, 0
	v_mad_u64_u32 v[18:19], null, 0xcd9e8d57, v20, 0
	v_xor3_b32 v3, v40, v8, v21
	s_delay_alu instid0(VALU_DEP_4) | instskip(NEXT) | instid1(VALU_DEP_2)
	v_xor3_b32 v20, v23, v16, v7
	v_mad_u64_u32 v[7:8], null, 0xcd9e8d57, v3, 0
	v_xor3_b32 v3, v17, v10, v34
	v_xor3_b32 v19, v12, v19, v9
	s_delay_alu instid0(VALU_DEP_4) | instskip(SKIP_1) | instid1(VALU_DEP_4)
	v_mad_u64_u32 v[16:17], null, 0xcd9e8d57, v20, 0
	v_add_nc_u32_e32 v34, 0xdb3d7428, v14
	v_mad_u64_u32 v[9:10], null, 0xd2511f53, v3, 0
	s_delay_alu instid0(VALU_DEP_4) | instskip(SKIP_2) | instid1(VALU_DEP_2)
	v_mad_u64_u32 v[21:22], null, 0xd2511f53, v19, 0
	v_xor3_b32 v3, v12, v8, v35
	v_xor3_b32 v12, v33, v17, v7
	v_mad_u64_u32 v[19:20], null, 0xd2511f53, v3, 0
	v_xor3_b32 v3, v23, v10, v37
	v_xor3_b32 v17, v34, v22, v9
	s_delay_alu instid0(VALU_DEP_4) | instskip(NEXT) | instid1(VALU_DEP_3)
	v_mad_u64_u32 v[7:8], null, 0xd2511f53, v12, 0
                                        ; implicit-def: $vgpr12
	v_mad_u64_u32 v[22:23], null, 0xcd9e8d57, v3, 0
	s_delay_alu instid0(VALU_DEP_3) | instskip(SKIP_3) | instid1(VALU_DEP_3)
	v_mad_u64_u32 v[9:10], null, 0xcd9e8d57, v17, 0
	v_add_nc_u32_e32 v17, 0x96a522ad, v14
	v_add_nc_u32_e32 v14, 0x8ff34781, v13
	v_and_b32_e32 v13, 3, v11
	v_xor3_b32 v3, v8, v19, v17
	s_delay_alu instid0(VALU_DEP_3) | instskip(NEXT) | instid1(VALU_DEP_3)
	v_xor3_b32 v8, v10, v22, v14
	v_cmpx_lt_i32_e32 1, v13
	s_xor_b32 s1, exec_lo, s1
	s_cbranch_execz .LBB77_11
; %bb.6:                                ;   in Loop: Header=BB77_3 Depth=1
	s_mov_b32 s28, exec_lo
                                        ; implicit-def: $vgpr12
	v_cmpx_lt_i32_e32 2, v13
	s_xor_b32 s28, exec_lo, s28
; %bb.7:                                ;   in Loop: Header=BB77_3 Depth=1
	v_xor3_b32 v3, v33, v23, v18
	s_delay_alu instid0(VALU_DEP_1) | instskip(NEXT) | instid1(VALU_DEP_1)
	v_mul_hi_u32 v3, 0xd2511f53, v3
	v_xor3_b32 v12, v3, v21, v17
                                        ; implicit-def: $vgpr3
; %bb.8:                                ;   in Loop: Header=BB77_3 Depth=1
	s_and_not1_saveexec_b32 s28, s28
; %bb.9:                                ;   in Loop: Header=BB77_3 Depth=1
	v_dual_mov_b32 v12, v9 :: v_dual_mov_b32 v9, v8
	v_mov_b32_e32 v8, v7
	v_mov_b32_e32 v7, v3
; %bb.10:                               ;   in Loop: Header=BB77_3 Depth=1
	s_or_b32 exec_lo, exec_lo, s28
                                        ; implicit-def: $vgpr15_vgpr16
                                        ; implicit-def: $vgpr13
                                        ; implicit-def: $vgpr3
                                        ; implicit-def: $vgpr34
                                        ; implicit-def: $vgpr19_vgpr20
                                        ; implicit-def: $vgpr14
                                        ; implicit-def: $vgpr16_vgpr17
.LBB77_11:                              ;   in Loop: Header=BB77_3 Depth=1
	s_and_not1_saveexec_b32 s1, s1
	s_cbranch_execz .LBB77_15
; %bb.12:                               ;   in Loop: Header=BB77_3 Depth=1
	v_xor3_b32 v9, v34, v20, v15
	v_cmp_eq_u32_e32 vcc_lo, 1, v13
	s_delay_alu instid0(VALU_DEP_2) | instskip(SKIP_2) | instid1(VALU_DEP_3)
	v_mad_u64_u32 v[10:11], null, 0xcd9e8d57, v9, 0
	v_mov_b32_e32 v12, v7
	v_mov_b32_e32 v9, v3
	v_xor3_b32 v13, v11, v16, v14
	s_delay_alu instid0(VALU_DEP_4)
	v_mov_b32_e32 v11, v10
	s_and_saveexec_b32 s28, vcc_lo
; %bb.13:                               ;   in Loop: Header=BB77_3 Depth=1
	v_dual_mov_b32 v12, v8 :: v_dual_mov_b32 v9, v7
	v_mov_b32_e32 v11, v3
	v_mov_b32_e32 v13, v10
; %bb.14:                               ;   in Loop: Header=BB77_3 Depth=1
	s_or_b32 exec_lo, exec_lo, s28
	s_delay_alu instid0(VALU_DEP_1)
	v_dual_mov_b32 v7, v13 :: v_dual_mov_b32 v8, v11
.LBB77_15:                              ;   in Loop: Header=BB77_3 Depth=1
	s_or_b32 exec_lo, exec_lo, s1
	v_min_i32_e32 v10, 4, v24
	s_mov_b32 s28, 0
	s_mov_b32 s1, 0
	s_mov_b32 s33, exec_lo
                                        ; implicit-def: $sgpr29
                                        ; implicit-def: $sgpr30
                                        ; implicit-def: $sgpr31
	s_delay_alu instid0(VALU_DEP_1)
	v_cmpx_lt_i32_e32 2, v10
	s_xor_b32 s33, exec_lo, s33
	s_cbranch_execz .LBB77_25
; %bb.16:                               ;   in Loop: Header=BB77_3 Depth=1
	s_mov_b32 s1, -1
	s_mov_b32 s30, exec_lo
                                        ; implicit-def: $sgpr29
                                        ; implicit-def: $sgpr34
	v_cmpx_lt_i32_e32 3, v10
	s_cbranch_execz .LBB77_20
; %bb.17:                               ;   in Loop: Header=BB77_3 Depth=1
	v_cmp_le_f32_e32 vcc_lo, 0, v32
	v_cmp_ge_f32_e64 s1, 1.0, v32
	s_mov_b32 s29, 0
	s_delay_alu instid0(VALU_DEP_1)
	s_and_b32 s34, vcc_lo, s1
	s_mov_b32 s1, 0
	s_and_saveexec_b32 s31, s34
	s_cbranch_execz .LBB77_19
; %bb.18:                               ;   in Loop: Header=BB77_3 Depth=1
	v_add_nc_u32_e32 v3, s21, v27
	v_cvt_f32_u32_e32 v13, v12
	s_mov_b32 s1, exec_lo
	s_delay_alu instid0(VALU_DEP_2) | instskip(NEXT) | instid1(VALU_DEP_1)
	v_cndmask_b32_e64 v3, 0, v3, s0
	v_lshlrev_b64 v[11:12], 2, v[3:4]
	s_delay_alu instid0(VALU_DEP_3) | instskip(NEXT) | instid1(VALU_DEP_2)
	v_fmaak_f32 v3, 0x2f800000, v13, 0x2f800000
	v_add_co_u32 v11, vcc_lo, s2, v11
	s_delay_alu instid0(VALU_DEP_3) | instskip(NEXT) | instid1(VALU_DEP_3)
	v_add_co_ci_u32_e32 v12, vcc_lo, s3, v12, vcc_lo
	v_cmp_le_f32_e32 vcc_lo, v3, v32
	v_cndmask_b32_e64 v3, 0, 1.0, vcc_lo
	global_store_b32 v[11:12], v3, off
.LBB77_19:                              ;   in Loop: Header=BB77_3 Depth=1
	s_or_b32 exec_lo, exec_lo, s31
	s_mov_b32 s34, -1
	s_or_not1_b32 s1, s1, exec_lo
.LBB77_20:                              ;   in Loop: Header=BB77_3 Depth=1
	s_or_b32 exec_lo, exec_lo, s30
	s_mov_b32 s0, 0
	s_mov_b32 s35, s29
	s_and_saveexec_b32 s30, s1
	s_cbranch_execz .LBB77_24
; %bb.21:                               ;   in Loop: Header=BB77_3 Depth=1
	v_add_nc_u32_e32 v3, s19, v29
	v_cmp_lt_i32_e32 vcc_lo, 2, v24
	s_mov_b32 s31, 0
	s_delay_alu instid0(VALU_DEP_2) | instskip(NEXT) | instid1(VALU_DEP_1)
	v_cndmask_b32_e32 v3, 0, v3, vcc_lo
	v_lshlrev_b64 v[11:12], 2, v[3:4]
	s_delay_alu instid0(VALU_DEP_1) | instskip(NEXT) | instid1(VALU_DEP_1)
	v_add_co_u32 v11, s0, s8, v11
	v_add_co_ci_u32_e64 v12, s0, s9, v12, s0
	global_load_b32 v11, v[11:12], off
	s_waitcnt vmcnt(0)
	v_cmp_le_f32_e64 s0, 0, v11
	v_cmp_ge_f32_e64 s1, 1.0, v11
	s_delay_alu instid0(VALU_DEP_1) | instskip(NEXT) | instid1(SALU_CYCLE_1)
	s_and_b32 s0, s0, s1
	s_and_saveexec_b32 s1, s0
	s_delay_alu instid0(SALU_CYCLE_1)
	s_xor_b32 s0, exec_lo, s1
	s_cbranch_execz .LBB77_23
; %bb.22:                               ;   in Loop: Header=BB77_3 Depth=1
	v_add_nc_u32_e32 v3, s21, v26
	v_cvt_f32_u32_e32 v9, v9
	s_mov_b32 s31, exec_lo
	s_delay_alu instid0(VALU_DEP_2) | instskip(NEXT) | instid1(VALU_DEP_1)
	v_cndmask_b32_e32 v3, 0, v3, vcc_lo
	v_lshlrev_b64 v[12:13], 2, v[3:4]
	s_delay_alu instid0(VALU_DEP_3) | instskip(NEXT) | instid1(VALU_DEP_2)
	v_fmaak_f32 v3, 0x2f800000, v9, 0x2f800000
	v_add_co_u32 v12, vcc_lo, s2, v12
	s_delay_alu instid0(VALU_DEP_3) | instskip(NEXT) | instid1(VALU_DEP_3)
	v_add_co_ci_u32_e32 v13, vcc_lo, s3, v13, vcc_lo
	v_cmp_le_f32_e32 vcc_lo, v3, v11
	v_cndmask_b32_e64 v3, 0, 1.0, vcc_lo
	global_store_b32 v[12:13], v3, off
.LBB77_23:                              ;   in Loop: Header=BB77_3 Depth=1
	s_or_b32 exec_lo, exec_lo, s0
	s_delay_alu instid0(SALU_CYCLE_1)
	s_and_not1_b32 s35, s29, exec_lo
	s_or_b32 s29, s29, exec_lo
	s_and_not1_b32 s34, s34, exec_lo
	s_and_b32 s0, s31, exec_lo
.LBB77_24:                              ;   in Loop: Header=BB77_3 Depth=1
	s_or_b32 exec_lo, exec_lo, s30
	s_delay_alu instid0(SALU_CYCLE_1)
	s_and_b32 s31, s35, exec_lo
	s_and_b32 s30, s29, exec_lo
	s_and_b32 s29, s34, exec_lo
	s_and_b32 s1, s0, exec_lo
.LBB77_25:                              ;   in Loop: Header=BB77_3 Depth=1
	s_and_not1_saveexec_b32 s0, s33
; %bb.26:                               ;   in Loop: Header=BB77_3 Depth=1
	v_cmp_lt_i32_e32 vcc_lo, 1, v10
	s_and_not1_b32 s1, s1, exec_lo
	s_mov_b32 s28, exec_lo
	s_and_not1_b32 s31, s31, exec_lo
	s_and_not1_b32 s30, s30, exec_lo
	s_and_b32 s33, vcc_lo, exec_lo
	s_and_not1_b32 s29, s29, exec_lo
	s_or_b32 s1, s1, s33
; %bb.27:                               ;   in Loop: Header=BB77_3 Depth=1
	s_or_b32 exec_lo, exec_lo, s0
	s_mov_b32 s33, 0
	s_mov_b32 s0, 0
	;; [unrolled: 1-line block ×3, first 2 shown]
	s_and_saveexec_b32 s35, s1
	s_cbranch_execnz .LBB77_30
; %bb.28:                               ;   in Loop: Header=BB77_3 Depth=1
	s_or_b32 exec_lo, exec_lo, s35
	s_and_saveexec_b32 s1, s28
	s_cbranch_execnz .LBB77_33
.LBB77_29:                              ;   in Loop: Header=BB77_3 Depth=1
	s_or_b32 exec_lo, exec_lo, s1
	s_and_saveexec_b32 s28, s0
	s_cbranch_execnz .LBB77_34
	s_branch .LBB77_37
.LBB77_30:                              ;   in Loop: Header=BB77_3 Depth=1
	v_add_nc_u32_e32 v3, s19, v6
	v_cmp_lt_i32_e32 vcc_lo, 1, v24
	s_mov_b32 s36, 0
	s_delay_alu instid0(VALU_DEP_2) | instskip(NEXT) | instid1(VALU_DEP_1)
	v_cndmask_b32_e32 v3, 0, v3, vcc_lo
	v_lshlrev_b64 v[11:12], 2, v[3:4]
	s_delay_alu instid0(VALU_DEP_1) | instskip(NEXT) | instid1(VALU_DEP_1)
	v_add_co_u32 v11, s0, s8, v11
	v_add_co_ci_u32_e64 v12, s0, s9, v12, s0
	global_load_b32 v9, v[11:12], off
	s_waitcnt vmcnt(0)
	v_cmp_le_f32_e64 s0, 0, v9
	v_cmp_ge_f32_e64 s1, 1.0, v9
	s_delay_alu instid0(VALU_DEP_1) | instskip(NEXT) | instid1(SALU_CYCLE_1)
	s_and_b32 s0, s0, s1
	s_and_saveexec_b32 s1, s0
	s_delay_alu instid0(SALU_CYCLE_1)
	s_xor_b32 s0, exec_lo, s1
	s_cbranch_execz .LBB77_32
; %bb.31:                               ;   in Loop: Header=BB77_3 Depth=1
	v_add_nc_u32_e32 v3, s21, v5
	v_cvt_f32_u32_e32 v8, v8
	s_mov_b32 s36, exec_lo
	s_delay_alu instid0(VALU_DEP_2) | instskip(NEXT) | instid1(VALU_DEP_1)
	v_cndmask_b32_e32 v3, 0, v3, vcc_lo
	v_lshlrev_b64 v[11:12], 2, v[3:4]
	s_delay_alu instid0(VALU_DEP_3) | instskip(NEXT) | instid1(VALU_DEP_2)
	v_fmaak_f32 v3, 0x2f800000, v8, 0x2f800000
	v_add_co_u32 v11, vcc_lo, s2, v11
	s_delay_alu instid0(VALU_DEP_3) | instskip(NEXT) | instid1(VALU_DEP_3)
	v_add_co_ci_u32_e32 v12, vcc_lo, s3, v12, vcc_lo
	v_cmp_le_f32_e32 vcc_lo, v3, v9
	v_cndmask_b32_e64 v3, 0, 1.0, vcc_lo
	global_store_b32 v[11:12], v3, off
.LBB77_32:                              ;   in Loop: Header=BB77_3 Depth=1
	s_or_b32 exec_lo, exec_lo, s0
	s_delay_alu instid0(SALU_CYCLE_1)
	s_and_not1_b32 s34, s31, exec_lo
	s_or_b32 s31, s31, exec_lo
	s_and_not1_b32 s30, s30, exec_lo
	s_and_not1_b32 s29, s29, exec_lo
	s_and_b32 s0, s36, exec_lo
	s_and_not1_b32 s28, s28, exec_lo
	s_or_b32 exec_lo, exec_lo, s35
	s_and_saveexec_b32 s1, s28
	s_cbranch_execz .LBB77_29
.LBB77_33:                              ;   in Loop: Header=BB77_3 Depth=1
	v_cmp_eq_u32_e32 vcc_lo, 1, v10
	s_and_not1_b32 s0, s0, exec_lo
	s_mov_b32 s33, exec_lo
	s_and_not1_b32 s34, s34, exec_lo
	s_and_not1_b32 s31, s31, exec_lo
	s_and_b32 s28, vcc_lo, exec_lo
	s_and_not1_b32 s30, s30, exec_lo
	s_and_not1_b32 s29, s29, exec_lo
	s_or_b32 s0, s0, s28
	s_or_b32 exec_lo, exec_lo, s1
	s_and_saveexec_b32 s28, s0
	s_cbranch_execz .LBB77_37
.LBB77_34:                              ;   in Loop: Header=BB77_3 Depth=1
	v_add_nc_u32_e32 v3, s19, v31
	v_cmp_lt_i32_e32 vcc_lo, 0, v24
	s_mov_b32 s35, 0
	s_delay_alu instid0(VALU_DEP_2) | instskip(NEXT) | instid1(VALU_DEP_1)
	v_cndmask_b32_e32 v3, 0, v3, vcc_lo
	v_lshlrev_b64 v[8:9], 2, v[3:4]
	s_delay_alu instid0(VALU_DEP_1) | instskip(NEXT) | instid1(VALU_DEP_1)
	v_add_co_u32 v8, s0, s8, v8
	v_add_co_ci_u32_e64 v9, s0, s9, v9, s0
	global_load_b32 v8, v[8:9], off
	s_waitcnt vmcnt(0)
	v_cmp_le_f32_e64 s0, 0, v8
	v_cmp_ge_f32_e64 s1, 1.0, v8
	s_delay_alu instid0(VALU_DEP_1) | instskip(NEXT) | instid1(SALU_CYCLE_1)
	s_and_b32 s1, s0, s1
	s_and_saveexec_b32 s0, s1
	s_cbranch_execz .LBB77_36
; %bb.35:                               ;   in Loop: Header=BB77_3 Depth=1
	v_add_nc_u32_e32 v3, s21, v28
	v_cvt_f32_u32_e32 v7, v7
	s_mov_b32 s35, exec_lo
	s_delay_alu instid0(VALU_DEP_2) | instskip(NEXT) | instid1(VALU_DEP_1)
	v_cndmask_b32_e32 v3, 0, v3, vcc_lo
	v_lshlrev_b64 v[9:10], 2, v[3:4]
	s_delay_alu instid0(VALU_DEP_3) | instskip(NEXT) | instid1(VALU_DEP_2)
	v_fmaak_f32 v3, 0x2f800000, v7, 0x2f800000
	v_add_co_u32 v9, vcc_lo, s2, v9
	s_delay_alu instid0(VALU_DEP_3) | instskip(NEXT) | instid1(VALU_DEP_3)
	v_add_co_ci_u32_e32 v10, vcc_lo, s3, v10, vcc_lo
	v_cmp_le_f32_e32 vcc_lo, v3, v8
	v_cndmask_b32_e64 v3, 0, 1.0, vcc_lo
	global_store_b32 v[9:10], v3, off
.LBB77_36:                              ;   in Loop: Header=BB77_3 Depth=1
	s_or_b32 exec_lo, exec_lo, s0
	s_delay_alu instid0(SALU_CYCLE_1)
	s_and_not1_b32 s0, s33, exec_lo
	s_and_b32 s1, s35, exec_lo
	s_or_b32 s34, s34, exec_lo
	s_and_not1_b32 s31, s31, exec_lo
	s_and_not1_b32 s30, s30, exec_lo
	s_and_not1_b32 s29, s29, exec_lo
	s_or_b32 s33, s0, s1
.LBB77_37:                              ;   in Loop: Header=BB77_3 Depth=1
	s_or_b32 exec_lo, exec_lo, s28
	s_delay_alu instid0(SALU_CYCLE_1)
	s_and_not1_b32 s1, s27, exec_lo
	s_and_b32 s27, s34, exec_lo
	s_and_not1_b32 s25, s25, exec_lo
	s_and_b32 s28, s31, exec_lo
	s_or_b32 s27, s1, s27
	s_or_b32 s25, s25, s28
	s_and_not1_b32 s1, s26, exec_lo
	s_and_b32 s26, s30, exec_lo
	s_and_not1_b32 s24, s24, exec_lo
	s_and_b32 s28, s29, exec_lo
	s_mov_b32 s0, -1
	s_or_b32 s26, s1, s26
	s_or_b32 s24, s24, s28
	s_and_saveexec_b32 s1, s33
	s_cbranch_execz .LBB77_2
; %bb.38:                               ;   in Loop: Header=BB77_3 Depth=1
	v_add_nc_u32_e32 v0, s16, v0
	v_subrev_nc_u32_e32 v24, s16, v24
	s_add_i32 s21, s21, s17
	s_add_i32 s19, s19, s18
	s_and_not1_b32 s27, s27, exec_lo
	v_cmp_le_u32_e32 vcc_lo, s12, v0
	s_and_not1_b32 s25, s25, exec_lo
	s_and_not1_b32 s26, s26, exec_lo
	;; [unrolled: 1-line block ×3, first 2 shown]
	s_or_not1_b32 s0, vcc_lo, exec_lo
	s_branch .LBB77_2
.LBB77_39:
	s_or_b32 exec_lo, exec_lo, s13
	s_xor_b32 s3, s22, -1
	s_xor_b32 s4, s23, -1
	;; [unrolled: 1-line block ×3, first 2 shown]
	s_mov_b32 s1, 0
	s_and_saveexec_b32 s2, s0
	s_delay_alu instid0(SALU_CYCLE_1)
	s_xor_b32 s0, exec_lo, s2
	s_cbranch_execz .LBB77_48
; %bb.40:
	s_mov_b32 s2, 0
	s_and_saveexec_b32 s1, s4
	s_delay_alu instid0(SALU_CYCLE_1)
	s_xor_b32 s1, exec_lo, s1
	s_cbranch_execz .LBB77_46
; %bb.41:
	s_and_saveexec_b32 s4, s3
	s_delay_alu instid0(SALU_CYCLE_1)
	s_xor_b32 s3, exec_lo, s4
	s_cbranch_execz .LBB77_44
; %bb.42:
	s_and_saveexec_b32 s4, s14
	s_delay_alu instid0(SALU_CYCLE_1)
	s_xor_b32 s4, exec_lo, s4
	s_cbranch_execnz .LBB77_62
.LBB77_43:
	s_or_b32 exec_lo, exec_lo, s4
	s_delay_alu instid0(SALU_CYCLE_1)
	s_and_b32 s2, s2, exec_lo
.LBB77_44:
	s_and_not1_saveexec_b32 s3, s3
	s_cbranch_execnz .LBB77_58
.LBB77_45:
	s_or_b32 exec_lo, exec_lo, s3
	s_delay_alu instid0(SALU_CYCLE_1)
	s_and_b32 s2, s2, exec_lo
.LBB77_46:
	s_and_not1_saveexec_b32 s1, s1
	s_cbranch_execnz .LBB77_54
.LBB77_47:
	s_or_b32 exec_lo, exec_lo, s1
	s_delay_alu instid0(SALU_CYCLE_1)
	s_and_b32 s1, s2, exec_lo
.LBB77_48:
	s_and_not1_saveexec_b32 s0, s0
	s_cbranch_execnz .LBB77_52
; %bb.49:
	s_or_b32 exec_lo, exec_lo, s0
	s_delay_alu instid0(SALU_CYCLE_1)
	s_and_b32 exec_lo, exec_lo, s1
.LBB77_50:
	; divergent unreachable
.LBB77_51:
	s_nop 0
	s_sendmsg sendmsg(MSG_DEALLOC_VGPRS)
	s_endpgm
.LBB77_52:
	s_cbranch_execnz .LBB77_56
; %bb.53:
	s_or_b32 s1, s1, exec_lo
	s_or_b32 exec_lo, exec_lo, s0
	s_delay_alu instid0(SALU_CYCLE_1)
	s_and_b32 exec_lo, exec_lo, s1
	s_cbranch_execnz .LBB77_50
	s_branch .LBB77_51
.LBB77_54:
	s_cbranch_execnz .LBB77_60
; %bb.55:
	s_or_b32 s2, s2, exec_lo
	s_branch .LBB77_47
.LBB77_56:
	s_trap 2
	s_sendmsg_rtn_b32 s0, sendmsg(MSG_RTN_GET_DOORBELL)
	s_mov_b32 ttmp2, m0
	s_waitcnt lgkmcnt(0)
	s_and_b32 s0, s0, 0x3ff
	s_delay_alu instid0(SALU_CYCLE_1) | instskip(NEXT) | instid1(SALU_CYCLE_1)
	s_bitset1_b32 s0, 10
	s_mov_b32 m0, s0
	s_sendmsg sendmsg(MSG_INTERRUPT)
	s_mov_b32 m0, ttmp2
.LBB77_57:                              ; =>This Inner Loop Header: Depth=1
	s_sethalt 5
	s_branch .LBB77_57
.LBB77_58:
	s_cbranch_execnz .LBB77_64
; %bb.59:
	s_or_b32 s2, s2, exec_lo
	s_branch .LBB77_45
.LBB77_60:
	s_trap 2
	s_sendmsg_rtn_b32 s0, sendmsg(MSG_RTN_GET_DOORBELL)
	s_mov_b32 ttmp2, m0
	s_waitcnt lgkmcnt(0)
	s_and_b32 s0, s0, 0x3ff
	s_delay_alu instid0(SALU_CYCLE_1) | instskip(NEXT) | instid1(SALU_CYCLE_1)
	s_bitset1_b32 s0, 10
	s_mov_b32 m0, s0
	s_sendmsg sendmsg(MSG_INTERRUPT)
	s_mov_b32 m0, ttmp2
.LBB77_61:                              ; =>This Inner Loop Header: Depth=1
	s_sethalt 5
	s_branch .LBB77_61
.LBB77_62:
	s_cbranch_execnz .LBB77_66
; %bb.63:
	s_mov_b32 s2, exec_lo
	s_branch .LBB77_43
.LBB77_64:
	s_trap 2
	s_sendmsg_rtn_b32 s0, sendmsg(MSG_RTN_GET_DOORBELL)
	s_mov_b32 ttmp2, m0
	s_waitcnt lgkmcnt(0)
	s_and_b32 s0, s0, 0x3ff
	s_delay_alu instid0(SALU_CYCLE_1) | instskip(NEXT) | instid1(SALU_CYCLE_1)
	s_bitset1_b32 s0, 10
	s_mov_b32 m0, s0
	s_sendmsg sendmsg(MSG_INTERRUPT)
	s_mov_b32 m0, ttmp2
.LBB77_65:                              ; =>This Inner Loop Header: Depth=1
	s_sethalt 5
	s_branch .LBB77_65
.LBB77_66:
	s_trap 2
	s_sendmsg_rtn_b32 s0, sendmsg(MSG_RTN_GET_DOORBELL)
	s_mov_b32 ttmp2, m0
	s_waitcnt lgkmcnt(0)
	s_and_b32 s0, s0, 0x3ff
	s_delay_alu instid0(SALU_CYCLE_1) | instskip(NEXT) | instid1(SALU_CYCLE_1)
	s_bitset1_b32 s0, 10
	s_mov_b32 m0, s0
	s_sendmsg sendmsg(MSG_INTERRUPT)
	s_mov_b32 m0, ttmp2
.LBB77_67:                              ; =>This Inner Loop Header: Depth=1
	s_sethalt 5
	s_branch .LBB77_67
	.section	.rodata,"a",@progbits
	.p2align	6, 0x0
	.amdhsa_kernel _ZN2at4cuda12_GLOBAL__N_121kernelPointwiseApply2IZNS_6native9templates4cuda28bernoulli_tensor_cuda_kernelIffEEvRKNS_10TensorBaseES9_NS_15PhiloxCudaStateEEUliRfSB_SB_SB_RKfSD_SD_SD_E_fSC_jLi1ELi1ELi4ELi512ELi2EEEvNS0_6detail10TensorInfoIT0_T2_EENSG_IT1_SI_EESI_T_
		.amdhsa_group_segment_fixed_size 0
		.amdhsa_private_segment_fixed_size 0
		.amdhsa_kernarg_size 728
		.amdhsa_user_sgpr_count 15
		.amdhsa_user_sgpr_dispatch_ptr 0
		.amdhsa_user_sgpr_queue_ptr 0
		.amdhsa_user_sgpr_kernarg_segment_ptr 1
		.amdhsa_user_sgpr_dispatch_id 0
		.amdhsa_user_sgpr_private_segment_size 0
		.amdhsa_wavefront_size32 1
		.amdhsa_uses_dynamic_stack 0
		.amdhsa_enable_private_segment 0
		.amdhsa_system_sgpr_workgroup_id_x 1
		.amdhsa_system_sgpr_workgroup_id_y 0
		.amdhsa_system_sgpr_workgroup_id_z 0
		.amdhsa_system_sgpr_workgroup_info 0
		.amdhsa_system_vgpr_workitem_id 0
		.amdhsa_next_free_vgpr 41
		.amdhsa_next_free_sgpr 37
		.amdhsa_reserve_vcc 1
		.amdhsa_float_round_mode_32 0
		.amdhsa_float_round_mode_16_64 0
		.amdhsa_float_denorm_mode_32 3
		.amdhsa_float_denorm_mode_16_64 3
		.amdhsa_dx10_clamp 1
		.amdhsa_ieee_mode 1
		.amdhsa_fp16_overflow 0
		.amdhsa_workgroup_processor_mode 1
		.amdhsa_memory_ordered 1
		.amdhsa_forward_progress 0
		.amdhsa_shared_vgpr_count 0
		.amdhsa_exception_fp_ieee_invalid_op 0
		.amdhsa_exception_fp_denorm_src 0
		.amdhsa_exception_fp_ieee_div_zero 0
		.amdhsa_exception_fp_ieee_overflow 0
		.amdhsa_exception_fp_ieee_underflow 0
		.amdhsa_exception_fp_ieee_inexact 0
		.amdhsa_exception_int_div_zero 0
	.end_amdhsa_kernel
	.section	.text._ZN2at4cuda12_GLOBAL__N_121kernelPointwiseApply2IZNS_6native9templates4cuda28bernoulli_tensor_cuda_kernelIffEEvRKNS_10TensorBaseES9_NS_15PhiloxCudaStateEEUliRfSB_SB_SB_RKfSD_SD_SD_E_fSC_jLi1ELi1ELi4ELi512ELi2EEEvNS0_6detail10TensorInfoIT0_T2_EENSG_IT1_SI_EESI_T_,"axG",@progbits,_ZN2at4cuda12_GLOBAL__N_121kernelPointwiseApply2IZNS_6native9templates4cuda28bernoulli_tensor_cuda_kernelIffEEvRKNS_10TensorBaseES9_NS_15PhiloxCudaStateEEUliRfSB_SB_SB_RKfSD_SD_SD_E_fSC_jLi1ELi1ELi4ELi512ELi2EEEvNS0_6detail10TensorInfoIT0_T2_EENSG_IT1_SI_EESI_T_,comdat
.Lfunc_end77:
	.size	_ZN2at4cuda12_GLOBAL__N_121kernelPointwiseApply2IZNS_6native9templates4cuda28bernoulli_tensor_cuda_kernelIffEEvRKNS_10TensorBaseES9_NS_15PhiloxCudaStateEEUliRfSB_SB_SB_RKfSD_SD_SD_E_fSC_jLi1ELi1ELi4ELi512ELi2EEEvNS0_6detail10TensorInfoIT0_T2_EENSG_IT1_SI_EESI_T_, .Lfunc_end77-_ZN2at4cuda12_GLOBAL__N_121kernelPointwiseApply2IZNS_6native9templates4cuda28bernoulli_tensor_cuda_kernelIffEEvRKNS_10TensorBaseES9_NS_15PhiloxCudaStateEEUliRfSB_SB_SB_RKfSD_SD_SD_E_fSC_jLi1ELi1ELi4ELi512ELi2EEEvNS0_6detail10TensorInfoIT0_T2_EENSG_IT1_SI_EESI_T_
                                        ; -- End function
	.section	.AMDGPU.csdata,"",@progbits
; Kernel info:
; codeLenInByte = 3248
; NumSgprs: 39
; NumVgprs: 41
; ScratchSize: 0
; MemoryBound: 0
; FloatMode: 240
; IeeeMode: 1
; LDSByteSize: 0 bytes/workgroup (compile time only)
; SGPRBlocks: 4
; VGPRBlocks: 5
; NumSGPRsForWavesPerEU: 39
; NumVGPRsForWavesPerEU: 41
; Occupancy: 16
; WaveLimiterHint : 1
; COMPUTE_PGM_RSRC2:SCRATCH_EN: 0
; COMPUTE_PGM_RSRC2:USER_SGPR: 15
; COMPUTE_PGM_RSRC2:TRAP_HANDLER: 0
; COMPUTE_PGM_RSRC2:TGID_X_EN: 1
; COMPUTE_PGM_RSRC2:TGID_Y_EN: 0
; COMPUTE_PGM_RSRC2:TGID_Z_EN: 0
; COMPUTE_PGM_RSRC2:TIDIG_COMP_CNT: 0
	.section	.text._ZN2at4cuda12_GLOBAL__N_121kernelPointwiseApply2IZNS_6native9templates4cuda28bernoulli_tensor_cuda_kernelIffEEvRKNS_10TensorBaseES9_NS_15PhiloxCudaStateEEUliRfSB_SB_SB_RKfSD_SD_SD_E_fSC_jLi1ELi2ELi4ELi512ELi2EEEvNS0_6detail10TensorInfoIT0_T2_EENSG_IT1_SI_EESI_T_,"axG",@progbits,_ZN2at4cuda12_GLOBAL__N_121kernelPointwiseApply2IZNS_6native9templates4cuda28bernoulli_tensor_cuda_kernelIffEEvRKNS_10TensorBaseES9_NS_15PhiloxCudaStateEEUliRfSB_SB_SB_RKfSD_SD_SD_E_fSC_jLi1ELi2ELi4ELi512ELi2EEEvNS0_6detail10TensorInfoIT0_T2_EENSG_IT1_SI_EESI_T_,comdat
	.globl	_ZN2at4cuda12_GLOBAL__N_121kernelPointwiseApply2IZNS_6native9templates4cuda28bernoulli_tensor_cuda_kernelIffEEvRKNS_10TensorBaseES9_NS_15PhiloxCudaStateEEUliRfSB_SB_SB_RKfSD_SD_SD_E_fSC_jLi1ELi2ELi4ELi512ELi2EEEvNS0_6detail10TensorInfoIT0_T2_EENSG_IT1_SI_EESI_T_ ; -- Begin function _ZN2at4cuda12_GLOBAL__N_121kernelPointwiseApply2IZNS_6native9templates4cuda28bernoulli_tensor_cuda_kernelIffEEvRKNS_10TensorBaseES9_NS_15PhiloxCudaStateEEUliRfSB_SB_SB_RKfSD_SD_SD_E_fSC_jLi1ELi2ELi4ELi512ELi2EEEvNS0_6detail10TensorInfoIT0_T2_EENSG_IT1_SI_EESI_T_
	.p2align	8
	.type	_ZN2at4cuda12_GLOBAL__N_121kernelPointwiseApply2IZNS_6native9templates4cuda28bernoulli_tensor_cuda_kernelIffEEvRKNS_10TensorBaseES9_NS_15PhiloxCudaStateEEUliRfSB_SB_SB_RKfSD_SD_SD_E_fSC_jLi1ELi2ELi4ELi512ELi2EEEvNS0_6detail10TensorInfoIT0_T2_EENSG_IT1_SI_EESI_T_,@function
_ZN2at4cuda12_GLOBAL__N_121kernelPointwiseApply2IZNS_6native9templates4cuda28bernoulli_tensor_cuda_kernelIffEEvRKNS_10TensorBaseES9_NS_15PhiloxCudaStateEEUliRfSB_SB_SB_RKfSD_SD_SD_E_fSC_jLi1ELi2ELi4ELi512ELi2EEEvNS0_6detail10TensorInfoIT0_T2_EENSG_IT1_SI_EESI_T_: ; @_ZN2at4cuda12_GLOBAL__N_121kernelPointwiseApply2IZNS_6native9templates4cuda28bernoulli_tensor_cuda_kernelIffEEvRKNS_10TensorBaseES9_NS_15PhiloxCudaStateEEUliRfSB_SB_SB_RKfSD_SD_SD_E_fSC_jLi1ELi2ELi4ELi512ELi2EEEvNS0_6detail10TensorInfoIT0_T2_EENSG_IT1_SI_EESI_T_
; %bb.0:
	s_clause 0x1
	s_load_b32 s4, s[0:1], 0x1e4
	s_load_b32 s16, s[0:1], 0x1b0
	s_add_u32 s2, s0, 0x1d8
	s_addc_u32 s3, s1, 0
	s_waitcnt lgkmcnt(0)
	s_and_b32 s20, s4, 0xffff
	s_mov_b32 s4, exec_lo
	v_mad_u64_u32 v[1:2], null, s15, s20, v[0:1]
	s_delay_alu instid0(VALU_DEP_1) | instskip(NEXT) | instid1(VALU_DEP_1)
	v_lshlrev_b32_e32 v0, 2, v1
	v_cmpx_gt_u32_e64 s16, v0
	s_cbranch_execz .LBB78_59
; %bb.1:
	s_clause 0x3
	s_load_b32 s17, s[0:1], 0xe4
	s_load_b32 s4, s[0:1], 0x1d0
	;; [unrolled: 1-line block ×3, first 2 shown]
	s_load_b64 s[8:9], s[0:1], 0x0
	s_load_b32 s2, s[2:3], 0x0
	s_clause 0x1
	s_load_b64 s[10:11], s[0:1], 0xd8
	s_load_b64 s[12:13], s[0:1], 0x1c8
	v_add_nc_u32_e32 v8, 3, v0
	v_sub_nc_u32_e32 v31, s16, v0
	s_mov_b32 s22, 0
	s_mov_b32 s25, 0
                                        ; implicit-def: $sgpr24
                                        ; implicit-def: $sgpr27
                                        ; implicit-def: $sgpr26
                                        ; implicit-def: $sgpr28
                                        ; implicit-def: $sgpr30
                                        ; implicit-def: $sgpr29
                                        ; implicit-def: $sgpr31
	v_add_nc_u32_e32 v7, 2, v0
	s_waitcnt lgkmcnt(0)
	v_cvt_f32_u32_e32 v2, s17
	s_bitcmp1_b32 s4, 0
	s_clause 0x1
	s_load_b64 s[14:15], s[0:1], 0x144
	s_load_b128 s[4:7], s[0:1], 0x1b8
	s_cselect_b32 s18, -1, 0
	s_sub_i32 s19, 0, s17
	v_rcp_iflag_f32_e32 v2, v2
	v_mul_lo_u32 v30, v0, s23
	v_mul_lo_u32 v34, s23, v8
	s_mul_i32 s2, s2, s20
	v_mov_b32_e32 v4, 0
	s_lshl_b32 s21, s2, 2
                                        ; implicit-def: $sgpr20
	v_mul_lo_u32 v33, s23, v7
	s_delay_alu instid0(VALU_DEP_4) | instskip(SKIP_3) | instid1(VALU_DEP_1)
	v_add_nc_u32_e32 v35, s23, v30
	s_waitcnt_depctr 0xfff
	v_mul_f32_e32 v2, 0x4f7ffffe, v2
	s_mul_i32 s23, s21, s23
	v_cvt_u32_f32_e32 v5, v2
	v_mad_u64_u32 v[2:3], null, 0xcd9e8d57, v1, 0
	s_delay_alu instid0(VALU_DEP_2) | instskip(NEXT) | instid1(VALU_DEP_2)
	v_mul_lo_u32 v6, s19, v5
	v_mov_b32_e32 v32, v3
	s_delay_alu instid0(VALU_DEP_2) | instskip(NEXT) | instid1(VALU_DEP_1)
	v_mul_hi_u32 v6, v5, v6
	v_add_nc_u32_e32 v36, v5, v6
	s_branch .LBB78_3
.LBB78_2:                               ;   in Loop: Header=BB78_3 Depth=1
	s_or_b32 exec_lo, exec_lo, s1
	s_delay_alu instid0(SALU_CYCLE_1) | instskip(NEXT) | instid1(SALU_CYCLE_1)
	s_and_b32 s0, exec_lo, s0
	s_or_b32 s22, s0, s22
	s_and_not1_b32 s0, s20, exec_lo
	s_and_b32 s1, s31, exec_lo
	s_and_not1_b32 s2, s26, exec_lo
	s_and_b32 s3, s29, exec_lo
	s_or_b32 s20, s0, s1
	s_or_b32 s26, s2, s3
	s_and_not1_b32 s0, s27, exec_lo
	s_and_b32 s1, s30, exec_lo
	s_and_not1_b32 s2, s24, exec_lo
	s_and_b32 s3, s28, exec_lo
	s_or_b32 s27, s0, s1
	s_or_b32 s24, s2, s3
	s_and_not1_b32 exec_lo, exec_lo, s22
	s_cbranch_execz .LBB78_47
.LBB78_3:                               ; =>This Inner Loop Header: Depth=1
	v_mov_b32_e32 v7, 0
	v_mov_b32_e32 v8, 0
	v_cmp_lt_i32_e64 s0, 0, v31
	s_delay_alu instid0(VALU_DEP_2) | instskip(NEXT) | instid1(VALU_DEP_2)
	v_dual_mov_b32 v5, v7 :: v_dual_mov_b32 v6, v8
	s_and_saveexec_b32 s1, s0
	s_cbranch_execz .LBB78_5
; %bb.4:                                ;   in Loop: Header=BB78_3 Depth=1
	v_mul_hi_u32 v3, v36, v0
	s_delay_alu instid0(VALU_DEP_1) | instskip(SKIP_1) | instid1(VALU_DEP_2)
	v_not_b32_e32 v11, v3
	v_mad_u64_u32 v[5:6], null, s19, v3, v[0:1]
	v_mad_u64_u32 v[9:10], null, s17, v11, v[0:1]
	s_delay_alu instid0(VALU_DEP_2) | instskip(NEXT) | instid1(VALU_DEP_2)
	v_cmp_le_u32_e32 vcc_lo, s17, v5
	v_dual_cndmask_b32 v5, v5, v9 :: v_dual_add_nc_u32 v6, 1, v3
	s_delay_alu instid0(VALU_DEP_1) | instskip(NEXT) | instid1(VALU_DEP_2)
	v_cndmask_b32_e32 v3, v3, v6, vcc_lo
	v_cmp_le_u32_e32 vcc_lo, s17, v5
	s_delay_alu instid0(VALU_DEP_2) | instskip(NEXT) | instid1(VALU_DEP_1)
	v_add_nc_u32_e32 v6, 1, v3
	v_cndmask_b32_e32 v9, v3, v6, vcc_lo
	s_delay_alu instid0(VALU_DEP_1) | instskip(SKIP_1) | instid1(VALU_DEP_1)
	v_mad_u64_u32 v[5:6], null, s19, v9, v[0:1]
	s_waitcnt lgkmcnt(0)
	v_mul_lo_u32 v3, v5, s15
	s_delay_alu instid0(VALU_DEP_1)
	v_mad_u64_u32 v[5:6], null, v9, s14, v[3:4]
	v_mov_b32_e32 v6, v4
.LBB78_5:                               ;   in Loop: Header=BB78_3 Depth=1
	s_or_b32 exec_lo, exec_lo, s1
	v_cmp_lt_i32_e64 s1, 1, v31
	s_delay_alu instid0(VALU_DEP_1)
	s_and_saveexec_b32 s2, s1
	s_cbranch_execz .LBB78_7
; %bb.6:                                ;   in Loop: Header=BB78_3 Depth=1
	v_add_nc_u32_e32 v3, 1, v0
	s_delay_alu instid0(VALU_DEP_1) | instskip(NEXT) | instid1(VALU_DEP_1)
	v_mul_hi_u32 v7, v3, v36
	v_mul_lo_u32 v8, v7, s17
	v_add_nc_u32_e32 v9, 1, v7
	s_delay_alu instid0(VALU_DEP_2) | instskip(NEXT) | instid1(VALU_DEP_1)
	v_sub_nc_u32_e32 v8, v3, v8
	v_subrev_nc_u32_e32 v10, s17, v8
	v_cmp_le_u32_e32 vcc_lo, s17, v8
	s_delay_alu instid0(VALU_DEP_2) | instskip(NEXT) | instid1(VALU_DEP_1)
	v_dual_cndmask_b32 v7, v7, v9 :: v_dual_cndmask_b32 v8, v8, v10
	v_add_nc_u32_e32 v9, 1, v7
	s_delay_alu instid0(VALU_DEP_2) | instskip(NEXT) | instid1(VALU_DEP_2)
	v_cmp_le_u32_e32 vcc_lo, s17, v8
	v_cndmask_b32_e32 v9, v7, v9, vcc_lo
	s_delay_alu instid0(VALU_DEP_1) | instskip(NEXT) | instid1(VALU_DEP_1)
	v_mul_lo_u32 v7, v9, s17
	v_sub_nc_u32_e32 v3, v3, v7
	s_waitcnt lgkmcnt(0)
	s_delay_alu instid0(VALU_DEP_1) | instskip(NEXT) | instid1(VALU_DEP_1)
	v_mul_lo_u32 v3, v3, s15
	v_mad_u64_u32 v[7:8], null, v9, s14, v[3:4]
	v_mov_b32_e32 v8, v4
.LBB78_7:                               ;   in Loop: Header=BB78_3 Depth=1
	s_or_b32 exec_lo, exec_lo, s2
	v_mov_b32_e32 v13, 0
	v_mov_b32_e32 v14, 0
	v_cmp_lt_i32_e64 s2, 2, v31
	s_delay_alu instid0(VALU_DEP_2) | instskip(NEXT) | instid1(VALU_DEP_2)
	v_dual_mov_b32 v9, v13 :: v_dual_mov_b32 v10, v14
	s_and_saveexec_b32 s3, s2
	s_cbranch_execz .LBB78_9
; %bb.8:                                ;   in Loop: Header=BB78_3 Depth=1
	v_add_nc_u32_e32 v3, 2, v0
	s_delay_alu instid0(VALU_DEP_1) | instskip(NEXT) | instid1(VALU_DEP_1)
	v_mul_hi_u32 v9, v3, v36
	v_mul_lo_u32 v10, v9, s17
	s_delay_alu instid0(VALU_DEP_1) | instskip(NEXT) | instid1(VALU_DEP_1)
	v_sub_nc_u32_e32 v10, v3, v10
	v_subrev_nc_u32_e32 v12, s17, v10
	v_cmp_le_u32_e32 vcc_lo, s17, v10
	s_delay_alu instid0(VALU_DEP_2) | instskip(NEXT) | instid1(VALU_DEP_1)
	v_dual_cndmask_b32 v10, v10, v12 :: v_dual_add_nc_u32 v11, 1, v9
	v_cndmask_b32_e32 v9, v9, v11, vcc_lo
	s_delay_alu instid0(VALU_DEP_2) | instskip(NEXT) | instid1(VALU_DEP_2)
	v_cmp_le_u32_e32 vcc_lo, s17, v10
	v_add_nc_u32_e32 v11, 1, v9
	s_delay_alu instid0(VALU_DEP_1) | instskip(NEXT) | instid1(VALU_DEP_1)
	v_cndmask_b32_e32 v11, v9, v11, vcc_lo
	v_mul_lo_u32 v9, v11, s17
	s_delay_alu instid0(VALU_DEP_1) | instskip(SKIP_1) | instid1(VALU_DEP_1)
	v_sub_nc_u32_e32 v3, v3, v9
	s_waitcnt lgkmcnt(0)
	v_mul_lo_u32 v3, v3, s15
	s_delay_alu instid0(VALU_DEP_1)
	v_mad_u64_u32 v[9:10], null, v11, s14, v[3:4]
	v_mov_b32_e32 v10, v4
.LBB78_9:                               ;   in Loop: Header=BB78_3 Depth=1
	s_or_b32 exec_lo, exec_lo, s3
	v_dual_mov_b32 v11, v13 :: v_dual_mov_b32 v12, v14
	s_mov_b32 s3, exec_lo
	v_cmpx_lt_i32_e32 3, v31
	s_cbranch_execz .LBB78_11
; %bb.10:                               ;   in Loop: Header=BB78_3 Depth=1
	v_add_nc_u32_e32 v3, 3, v0
	s_delay_alu instid0(VALU_DEP_1) | instskip(NEXT) | instid1(VALU_DEP_1)
	v_mul_hi_u32 v11, v3, v36
	v_mul_lo_u32 v12, v11, s17
	v_add_nc_u32_e32 v13, 1, v11
	s_delay_alu instid0(VALU_DEP_2) | instskip(NEXT) | instid1(VALU_DEP_1)
	v_sub_nc_u32_e32 v12, v3, v12
	v_subrev_nc_u32_e32 v14, s17, v12
	v_cmp_le_u32_e32 vcc_lo, s17, v12
	s_delay_alu instid0(VALU_DEP_2) | instskip(NEXT) | instid1(VALU_DEP_1)
	v_dual_cndmask_b32 v11, v11, v13 :: v_dual_cndmask_b32 v12, v12, v14
	v_add_nc_u32_e32 v13, 1, v11
	s_delay_alu instid0(VALU_DEP_2) | instskip(NEXT) | instid1(VALU_DEP_2)
	v_cmp_le_u32_e32 vcc_lo, s17, v12
	v_cndmask_b32_e32 v14, v11, v13, vcc_lo
	s_delay_alu instid0(VALU_DEP_1) | instskip(NEXT) | instid1(VALU_DEP_1)
	v_mul_lo_u32 v11, v14, s17
	v_sub_nc_u32_e32 v3, v3, v11
	s_waitcnt lgkmcnt(0)
	s_delay_alu instid0(VALU_DEP_1) | instskip(SKIP_1) | instid1(VALU_DEP_2)
	v_mul_lo_u32 v13, v3, s15
	v_add_nc_u32_e32 v3, s25, v34
	v_mad_u64_u32 v[11:12], null, v14, s14, v[13:14]
	v_mov_b32_e32 v14, v4
	s_delay_alu instid0(VALU_DEP_3)
	v_dual_mov_b32 v12, v4 :: v_dual_mov_b32 v13, v3
.LBB78_11:                              ;   in Loop: Header=BB78_3 Depth=1
	s_or_b32 exec_lo, exec_lo, s3
	s_delay_alu instid0(VALU_DEP_1) | instskip(SKIP_3) | instid1(VALU_DEP_3)
	v_lshlrev_b64 v[11:12], 2, v[11:12]
	s_waitcnt lgkmcnt(0)
	v_dual_mov_b32 v18, s7 :: v_dual_mov_b32 v17, s6
	v_dual_mov_b32 v20, s5 :: v_dual_mov_b32 v19, s4
	v_add_co_u32 v11, vcc_lo, s10, v11
	s_delay_alu instid0(VALU_DEP_4)
	v_add_co_ci_u32_e32 v12, vcc_lo, s11, v12, vcc_lo
	s_and_not1_b32 vcc_lo, exec_lo, s18
	global_load_b32 v3, v[11:12], off
	s_cbranch_vccnz .LBB78_13
; %bb.12:                               ;   in Loop: Header=BB78_3 Depth=1
	v_dual_mov_b32 v12, s7 :: v_dual_mov_b32 v11, s6
	v_dual_mov_b32 v16, s5 :: v_dual_mov_b32 v15, s4
	flat_load_b64 v[11:12], v[11:12]
	flat_load_b64 v[19:20], v[15:16]
	s_waitcnt vmcnt(1) lgkmcnt(1)
	v_add_co_u32 v17, vcc_lo, v11, s12
	v_add_co_ci_u32_e32 v18, vcc_lo, s13, v12, vcc_lo
.LBB78_13:                              ;   in Loop: Header=BB78_3 Depth=1
	s_delay_alu instid0(VALU_DEP_1)
	v_alignbit_b32 v21, v18, v17, 2
	v_lshrrev_b32_e32 v15, 2, v18
	s_waitcnt vmcnt(0) lgkmcnt(0)
	v_add_nc_u32_e32 v37, 0x9e3779b9, v19
	v_add_nc_u32_e32 v38, 0xbb67ae85, v20
	v_add_nc_u32_e32 v39, 0x3c6ef372, v19
	v_add_co_u32 v16, vcc_lo, v21, 1
	s_delay_alu instid0(VALU_DEP_1) | instskip(SKIP_4) | instid1(VALU_DEP_4)
	v_cndmask_b32_e64 v11, 0, 1, vcc_lo
	v_add_co_ci_u32_e32 v18, vcc_lo, 0, v15, vcc_lo
	v_xor3_b32 v23, v32, v19, v15
	v_add_nc_u32_e32 v40, 0x76cf5d0a, v20
	v_add_nc_u32_e32 v42, 0xed9eba14, v20
	v_cmp_eq_u32_e32 vcc_lo, 0, v18
	v_add_nc_u32_e32 v43, 0x1fd5c5a3, v20
	s_mov_b32 s3, exec_lo
	v_dual_cndmask_b32 v22, 0, v11 :: v_dual_add_nc_u32 v41, 0x32370b8f, v20
	v_mad_u64_u32 v[11:12], null, 0xd2511f53, v16, 0
	v_mad_u64_u32 v[15:16], null, 0xd2511f53, v21, 0
	s_delay_alu instid0(VALU_DEP_3) | instskip(NEXT) | instid1(VALU_DEP_3)
	v_add_nc_u32_e32 v25, v22, v1
	v_xor_b32_e32 v12, v12, v20
	s_delay_alu instid0(VALU_DEP_2) | instskip(SKIP_1) | instid1(VALU_DEP_1)
	v_cmp_eq_u32_e32 vcc_lo, 0, v25
	v_cndmask_b32_e32 v22, 0, v22, vcc_lo
	v_xor_b32_e32 v12, v22, v12
	v_mad_u64_u32 v[21:22], null, 0xd2511f53, v23, 0
	v_mad_u64_u32 v[23:24], null, 0xcd9e8d57, v25, 0
	s_delay_alu instid0(VALU_DEP_3) | instskip(SKIP_1) | instid1(VALU_DEP_4)
	v_mad_u64_u32 v[25:26], null, 0xcd9e8d57, v12, 0
	v_xor_b32_e32 v12, v16, v20
	v_xor3_b32 v27, v38, v22, v15
	s_delay_alu instid0(VALU_DEP_2) | instskip(SKIP_2) | instid1(VALU_DEP_4)
	v_mad_u64_u32 v[15:16], null, 0xcd9e8d57, v12, 0
	v_xor3_b32 v12, v24, v19, v18
	v_xor3_b32 v18, v37, v26, v23
	v_mad_u64_u32 v[22:23], null, 0xcd9e8d57, v27, 0
	s_delay_alu instid0(VALU_DEP_3) | instskip(NEXT) | instid1(VALU_DEP_3)
	v_mad_u64_u32 v[26:27], null, 0xd2511f53, v12, 0
	v_mad_u64_u32 v[28:29], null, 0xd2511f53, v18, 0
	v_xor3_b32 v12, v2, v16, v37
	s_delay_alu instid0(VALU_DEP_4) | instskip(SKIP_2) | instid1(VALU_DEP_4)
	v_xor3_b32 v23, v39, v23, v15
	v_add_nc_u32_e32 v18, 0xdaa66d2b, v19
	v_xor3_b32 v27, v38, v27, v11
	v_mad_u64_u32 v[15:16], null, 0xd2511f53, v12, 0
	v_xor3_b32 v29, v40, v29, v26
	v_mad_u64_u32 v[11:12], null, 0xd2511f53, v23, 0
	s_delay_alu instid0(VALU_DEP_4) | instskip(NEXT) | instid1(VALU_DEP_3)
	v_mad_u64_u32 v[23:24], null, 0xcd9e8d57, v27, 0
	v_mad_u64_u32 v[26:27], null, 0xcd9e8d57, v29, 0
	v_xor3_b32 v21, v40, v16, v21
	v_add_nc_u32_e32 v29, 0x78dde6e4, v19
	v_xor3_b32 v12, v41, v12, v15
	s_delay_alu instid0(VALU_DEP_3) | instskip(SKIP_2) | instid1(VALU_DEP_4)
	v_mad_u64_u32 v[15:16], null, 0xcd9e8d57, v21, 0
	v_xor3_b32 v21, v39, v24, v25
	v_xor3_b32 v25, v18, v27, v23
	v_mad_u64_u32 v[23:24], null, 0xcd9e8d57, v12, 0
	s_delay_alu instid0(VALU_DEP_3) | instskip(NEXT) | instid1(VALU_DEP_3)
	v_mad_u64_u32 v[37:38], null, 0xd2511f53, v21, 0
	v_mad_u64_u32 v[39:40], null, 0xd2511f53, v25, 0
	v_xor3_b32 v12, v18, v16, v22
	s_delay_alu instid0(VALU_DEP_4) | instskip(SKIP_2) | instid1(VALU_DEP_4)
	v_xor3_b32 v21, v29, v24, v15
	v_add_nc_u32_e32 v18, 0x1715609d, v19
	v_add_nc_u32_e32 v25, 0xa9066899, v20
	v_mad_u64_u32 v[15:16], null, 0xd2511f53, v12, 0
	v_xor3_b32 v12, v41, v38, v28
	v_xor3_b32 v24, v42, v40, v37
	v_mad_u64_u32 v[27:28], null, 0xd2511f53, v21, 0
	v_add_nc_u32_e32 v38, 0xb54cda56, v19
	s_delay_alu instid0(VALU_DEP_4) | instskip(NEXT) | instid1(VALU_DEP_4)
	v_mad_u64_u32 v[21:22], null, 0xcd9e8d57, v12, 0
	v_mad_u64_u32 v[40:41], null, 0xcd9e8d57, v24, 0
	v_xor3_b32 v16, v42, v16, v11
	v_xor3_b32 v24, v25, v28, v15
	v_add_nc_u32_e32 v37, 0x646e171e, v20
	v_xor3_b32 v26, v29, v22, v26
	s_delay_alu instid0(VALU_DEP_4) | instskip(SKIP_2) | instid1(VALU_DEP_4)
	v_mad_u64_u32 v[11:12], null, 0xcd9e8d57, v16, 0
	v_xor3_b32 v28, v18, v41, v21
	v_mad_u64_u32 v[15:16], null, 0xcd9e8d57, v24, 0
	v_mad_u64_u32 v[21:22], null, 0xd2511f53, v26, 0
	s_delay_alu instid0(VALU_DEP_3) | instskip(SKIP_3) | instid1(VALU_DEP_3)
	v_mad_u64_u32 v[41:42], null, 0xd2511f53, v28, 0
	v_xor3_b32 v18, v18, v12, v23
	v_add_nc_u32_e32 v26, 0x5384540f, v19
	v_xor3_b32 v16, v38, v16, v11
	v_mad_u64_u32 v[11:12], null, 0xd2511f53, v18, 0
	v_xor3_b32 v18, v25, v22, v39
	v_xor3_b32 v23, v37, v42, v21
	s_delay_alu instid0(VALU_DEP_4) | instskip(NEXT) | instid1(VALU_DEP_3)
	v_mad_u64_u32 v[21:22], null, 0xd2511f53, v16, 0
	v_mad_u64_u32 v[28:29], null, 0xcd9e8d57, v18, 0
	s_delay_alu instid0(VALU_DEP_3) | instskip(SKIP_1) | instid1(VALU_DEP_4)
	v_mad_u64_u32 v[24:25], null, 0xcd9e8d57, v23, 0
	v_xor3_b32 v16, v37, v12, v27
	v_xor3_b32 v18, v43, v22, v11
	v_add_co_u32 v37, null, 0xf1bbcdc8, v19
	s_delay_alu instid0(VALU_DEP_3) | instskip(SKIP_4) | instid1(VALU_DEP_4)
	v_mad_u64_u32 v[11:12], null, 0xcd9e8d57, v16, 0
	v_xor3_b32 v16, v38, v29, v40
	v_xor3_b32 v25, v26, v25, v28
	v_mad_u64_u32 v[22:23], null, 0xcd9e8d57, v18, 0
	v_add_nc_u32_e32 v38, 0xdb3d7428, v20
	v_mad_u64_u32 v[39:40], null, 0xd2511f53, v16, 0
	s_delay_alu instid0(VALU_DEP_4) | instskip(SKIP_4) | instid1(VALU_DEP_4)
	v_mad_u64_u32 v[27:28], null, 0xd2511f53, v25, 0
	v_xor3_b32 v12, v26, v12, v15
	v_xor3_b32 v15, v37, v23, v11
	v_add_nc_u32_e32 v23, 0x8ff34781, v19
	v_xor3_b32 v16, v43, v40, v41
	v_mad_u64_u32 v[25:26], null, 0xd2511f53, v12, 0
	v_xor3_b32 v18, v38, v28, v39
	v_mad_u64_u32 v[11:12], null, 0xd2511f53, v15, 0
	s_delay_alu instid0(VALU_DEP_4) | instskip(NEXT) | instid1(VALU_DEP_3)
	v_mad_u64_u32 v[28:29], null, 0xcd9e8d57, v16, 0
	v_mad_u64_u32 v[15:16], null, 0xcd9e8d57, v18, 0
	v_add_nc_u32_e32 v39, 0x96a522ad, v20
	v_and_b32_e32 v20, 3, v17
                                        ; implicit-def: $vgpr18
	s_delay_alu instid0(VALU_DEP_2) | instskip(NEXT) | instid1(VALU_DEP_4)
	v_xor3_b32 v19, v12, v25, v39
	v_xor3_b32 v12, v16, v28, v23
	s_delay_alu instid0(VALU_DEP_3)
	v_cmpx_lt_i32_e32 1, v20
	s_xor_b32 s3, exec_lo, s3
	s_cbranch_execz .LBB78_19
; %bb.14:                               ;   in Loop: Header=BB78_3 Depth=1
	s_mov_b32 s33, exec_lo
                                        ; implicit-def: $vgpr18
	v_cmpx_lt_i32_e32 2, v20
	s_xor_b32 s33, exec_lo, s33
; %bb.15:                               ;   in Loop: Header=BB78_3 Depth=1
	v_xor3_b32 v16, v37, v29, v24
                                        ; implicit-def: $vgpr19
	s_delay_alu instid0(VALU_DEP_1) | instskip(NEXT) | instid1(VALU_DEP_1)
	v_mul_hi_u32 v16, 0xd2511f53, v16
	v_xor3_b32 v18, v16, v27, v39
; %bb.16:                               ;   in Loop: Header=BB78_3 Depth=1
	s_and_not1_saveexec_b32 s33, s33
; %bb.17:                               ;   in Loop: Header=BB78_3 Depth=1
	v_dual_mov_b32 v18, v15 :: v_dual_mov_b32 v15, v12
	v_mov_b32_e32 v12, v11
	v_mov_b32_e32 v11, v19
; %bb.18:                               ;   in Loop: Header=BB78_3 Depth=1
	s_or_b32 exec_lo, exec_lo, s33
                                        ; implicit-def: $vgpr21_vgpr22
                                        ; implicit-def: $vgpr20
                                        ; implicit-def: $vgpr19
                                        ; implicit-def: $vgpr38
                                        ; implicit-def: $vgpr25_vgpr26
                                        ; implicit-def: $vgpr22_vgpr23
                                        ; implicit-def: $vgpr23
.LBB78_19:                              ;   in Loop: Header=BB78_3 Depth=1
	s_and_not1_saveexec_b32 s3, s3
	s_cbranch_execz .LBB78_23
; %bb.20:                               ;   in Loop: Header=BB78_3 Depth=1
	v_xor3_b32 v15, v38, v26, v21
	v_cmp_eq_u32_e32 vcc_lo, 1, v20
	s_delay_alu instid0(VALU_DEP_2) | instskip(SKIP_2) | instid1(VALU_DEP_3)
	v_mad_u64_u32 v[16:17], null, 0xcd9e8d57, v15, 0
	v_mov_b32_e32 v18, v11
	v_mov_b32_e32 v15, v19
	v_xor3_b32 v20, v17, v22, v23
	s_delay_alu instid0(VALU_DEP_4)
	v_mov_b32_e32 v17, v16
	s_and_saveexec_b32 s33, vcc_lo
; %bb.21:                               ;   in Loop: Header=BB78_3 Depth=1
	v_dual_mov_b32 v18, v12 :: v_dual_mov_b32 v15, v11
	v_dual_mov_b32 v17, v19 :: v_dual_mov_b32 v20, v16
; %bb.22:                               ;   in Loop: Header=BB78_3 Depth=1
	s_or_b32 exec_lo, exec_lo, s33
	s_delay_alu instid0(VALU_DEP_1)
	v_dual_mov_b32 v11, v20 :: v_dual_mov_b32 v12, v17
.LBB78_23:                              ;   in Loop: Header=BB78_3 Depth=1
	s_or_b32 exec_lo, exec_lo, s3
	v_min_i32_e32 v16, 4, v31
	s_mov_b32 s33, 0
	s_mov_b32 s39, 0
	s_mov_b32 s36, exec_lo
                                        ; implicit-def: $sgpr3
                                        ; implicit-def: $sgpr34
                                        ; implicit-def: $sgpr35
	s_delay_alu instid0(VALU_DEP_1)
	v_cmpx_lt_i32_e32 2, v16
	s_xor_b32 s36, exec_lo, s36
	s_cbranch_execz .LBB78_33
; %bb.24:                               ;   in Loop: Header=BB78_3 Depth=1
	s_mov_b32 s3, -1
	s_mov_b32 s35, exec_lo
                                        ; implicit-def: $sgpr34
                                        ; implicit-def: $sgpr37
	v_cmpx_lt_i32_e32 3, v16
	s_cbranch_execz .LBB78_28
; %bb.25:                               ;   in Loop: Header=BB78_3 Depth=1
	v_cmp_le_f32_e32 vcc_lo, 0, v3
	v_cmp_ge_f32_e64 s3, 1.0, v3
	s_mov_b32 s34, 0
	s_delay_alu instid0(VALU_DEP_1)
	s_and_b32 s38, vcc_lo, s3
	s_mov_b32 s3, 0
	s_and_saveexec_b32 s37, s38
	s_cbranch_execz .LBB78_27
; %bb.26:                               ;   in Loop: Header=BB78_3 Depth=1
	v_cvt_f32_u32_e32 v17, v18
	v_lshlrev_b64 v[13:14], 2, v[13:14]
	s_mov_b32 s3, exec_lo
	s_delay_alu instid0(VALU_DEP_2) | instskip(NEXT) | instid1(VALU_DEP_2)
	v_fmaak_f32 v17, 0x2f800000, v17, 0x2f800000
	v_add_co_u32 v13, vcc_lo, s8, v13
	s_delay_alu instid0(VALU_DEP_3) | instskip(NEXT) | instid1(VALU_DEP_3)
	v_add_co_ci_u32_e32 v14, vcc_lo, s9, v14, vcc_lo
	v_cmp_le_f32_e32 vcc_lo, v17, v3
	v_cndmask_b32_e64 v3, 0, 1.0, vcc_lo
	global_store_b32 v[13:14], v3, off
.LBB78_27:                              ;   in Loop: Header=BB78_3 Depth=1
	s_or_b32 exec_lo, exec_lo, s37
	s_mov_b32 s37, -1
	s_or_not1_b32 s3, s3, exec_lo
.LBB78_28:                              ;   in Loop: Header=BB78_3 Depth=1
	s_or_b32 exec_lo, exec_lo, s35
	s_mov_b32 s38, 0
	s_mov_b32 s39, s34
	s_and_saveexec_b32 s35, s3
	s_cbranch_execz .LBB78_32
; %bb.29:                               ;   in Loop: Header=BB78_3 Depth=1
	v_lshlrev_b64 v[9:10], 2, v[9:10]
	s_delay_alu instid0(VALU_DEP_1) | instskip(NEXT) | instid1(VALU_DEP_2)
	v_add_co_u32 v9, vcc_lo, s10, v9
	v_add_co_ci_u32_e32 v10, vcc_lo, s11, v10, vcc_lo
	global_load_b32 v9, v[9:10], off
	s_waitcnt vmcnt(0)
	v_cmp_le_f32_e32 vcc_lo, 0, v9
	v_cmp_ge_f32_e64 s3, 1.0, v9
	s_delay_alu instid0(VALU_DEP_1) | instskip(SKIP_2) | instid1(SALU_CYCLE_1)
	s_and_b32 s38, vcc_lo, s3
	s_mov_b32 s3, 0
	s_and_saveexec_b32 s39, s38
	s_xor_b32 s38, exec_lo, s39
	s_cbranch_execz .LBB78_31
; %bb.30:                               ;   in Loop: Header=BB78_3 Depth=1
	v_add_nc_u32_e32 v3, s25, v33
	v_cvt_f32_u32_e32 v10, v15
	s_mov_b32 s3, exec_lo
	s_delay_alu instid0(VALU_DEP_2) | instskip(NEXT) | instid1(VALU_DEP_1)
	v_cndmask_b32_e64 v3, 0, v3, s2
	v_lshlrev_b64 v[13:14], 2, v[3:4]
	s_delay_alu instid0(VALU_DEP_3) | instskip(NEXT) | instid1(VALU_DEP_2)
	v_fmaak_f32 v3, 0x2f800000, v10, 0x2f800000
	v_add_co_u32 v13, vcc_lo, s8, v13
	s_delay_alu instid0(VALU_DEP_3) | instskip(NEXT) | instid1(VALU_DEP_3)
	v_add_co_ci_u32_e32 v14, vcc_lo, s9, v14, vcc_lo
	v_cmp_le_f32_e32 vcc_lo, v3, v9
	v_cndmask_b32_e64 v3, 0, 1.0, vcc_lo
	global_store_b32 v[13:14], v3, off
.LBB78_31:                              ;   in Loop: Header=BB78_3 Depth=1
	s_or_b32 exec_lo, exec_lo, s38
	s_delay_alu instid0(SALU_CYCLE_1)
	s_and_not1_b32 s39, s34, exec_lo
	s_or_b32 s34, s34, exec_lo
	s_and_not1_b32 s37, s37, exec_lo
	s_and_b32 s38, s3, exec_lo
.LBB78_32:                              ;   in Loop: Header=BB78_3 Depth=1
	s_or_b32 exec_lo, exec_lo, s35
	s_delay_alu instid0(SALU_CYCLE_1)
	s_and_b32 s35, s39, exec_lo
	s_and_b32 s34, s34, exec_lo
	;; [unrolled: 1-line block ×4, first 2 shown]
.LBB78_33:                              ;   in Loop: Header=BB78_3 Depth=1
	s_and_not1_saveexec_b32 s2, s36
; %bb.34:                               ;   in Loop: Header=BB78_3 Depth=1
	v_cmp_lt_i32_e32 vcc_lo, 1, v16
	s_and_not1_b32 s36, s39, exec_lo
	s_mov_b32 s33, exec_lo
	s_and_not1_b32 s35, s35, exec_lo
	s_and_not1_b32 s34, s34, exec_lo
	s_and_b32 s37, vcc_lo, exec_lo
	s_and_not1_b32 s3, s3, exec_lo
	s_or_b32 s39, s36, s37
; %bb.35:                               ;   in Loop: Header=BB78_3 Depth=1
	s_or_b32 exec_lo, exec_lo, s2
	s_mov_b32 s36, 0
	s_mov_b32 s37, 0
	;; [unrolled: 1-line block ×3, first 2 shown]
	s_and_saveexec_b32 s38, s39
	s_cbranch_execnz .LBB78_38
; %bb.36:                               ;   in Loop: Header=BB78_3 Depth=1
	s_or_b32 exec_lo, exec_lo, s38
	s_and_saveexec_b32 s1, s33
	s_cbranch_execnz .LBB78_41
.LBB78_37:                              ;   in Loop: Header=BB78_3 Depth=1
	s_or_b32 exec_lo, exec_lo, s1
	s_and_saveexec_b32 s33, s37
	s_cbranch_execnz .LBB78_42
	s_branch .LBB78_45
.LBB78_38:                              ;   in Loop: Header=BB78_3 Depth=1
	v_lshlrev_b64 v[7:8], 2, v[7:8]
	s_delay_alu instid0(VALU_DEP_1) | instskip(NEXT) | instid1(VALU_DEP_2)
	v_add_co_u32 v7, vcc_lo, s10, v7
	v_add_co_ci_u32_e32 v8, vcc_lo, s11, v8, vcc_lo
	global_load_b32 v7, v[7:8], off
	s_waitcnt vmcnt(0)
	v_cmp_le_f32_e32 vcc_lo, 0, v7
	v_cmp_ge_f32_e64 s2, 1.0, v7
	s_delay_alu instid0(VALU_DEP_1) | instskip(NEXT) | instid1(SALU_CYCLE_1)
	s_and_b32 s2, vcc_lo, s2
	s_and_saveexec_b32 s39, s2
	s_delay_alu instid0(SALU_CYCLE_1)
	s_xor_b32 s2, exec_lo, s39
	s_cbranch_execz .LBB78_40
; %bb.39:                               ;   in Loop: Header=BB78_3 Depth=1
	v_add_nc_u32_e32 v3, s25, v35
	v_cvt_f32_u32_e32 v10, v12
	s_mov_b32 s37, exec_lo
	s_delay_alu instid0(VALU_DEP_2) | instskip(NEXT) | instid1(VALU_DEP_1)
	v_cndmask_b32_e64 v3, 0, v3, s1
	v_lshlrev_b64 v[8:9], 2, v[3:4]
	s_delay_alu instid0(VALU_DEP_3) | instskip(NEXT) | instid1(VALU_DEP_2)
	v_fmaak_f32 v3, 0x2f800000, v10, 0x2f800000
	v_add_co_u32 v8, vcc_lo, s8, v8
	s_delay_alu instid0(VALU_DEP_3) | instskip(NEXT) | instid1(VALU_DEP_3)
	v_add_co_ci_u32_e32 v9, vcc_lo, s9, v9, vcc_lo
	v_cmp_le_f32_e32 vcc_lo, v3, v7
	v_cndmask_b32_e64 v3, 0, 1.0, vcc_lo
	global_store_b32 v[8:9], v3, off
.LBB78_40:                              ;   in Loop: Header=BB78_3 Depth=1
	s_or_b32 exec_lo, exec_lo, s2
	s_delay_alu instid0(SALU_CYCLE_1)
	s_and_not1_b32 s2, s35, exec_lo
	s_or_b32 s35, s35, exec_lo
	s_and_not1_b32 s34, s34, exec_lo
	s_and_not1_b32 s3, s3, exec_lo
	s_and_b32 s37, s37, exec_lo
	s_and_not1_b32 s33, s33, exec_lo
	s_or_b32 exec_lo, exec_lo, s38
	s_and_saveexec_b32 s1, s33
	s_cbranch_execz .LBB78_37
.LBB78_41:                              ;   in Loop: Header=BB78_3 Depth=1
	v_cmp_eq_u32_e32 vcc_lo, 1, v16
	s_and_not1_b32 s33, s37, exec_lo
	s_mov_b32 s36, exec_lo
	s_and_not1_b32 s2, s2, exec_lo
	s_and_not1_b32 s35, s35, exec_lo
	s_and_b32 s37, vcc_lo, exec_lo
	s_and_not1_b32 s34, s34, exec_lo
	s_and_not1_b32 s3, s3, exec_lo
	s_or_b32 s37, s33, s37
	s_or_b32 exec_lo, exec_lo, s1
	s_and_saveexec_b32 s33, s37
	s_cbranch_execz .LBB78_45
.LBB78_42:                              ;   in Loop: Header=BB78_3 Depth=1
	v_lshlrev_b64 v[5:6], 2, v[5:6]
	s_delay_alu instid0(VALU_DEP_1) | instskip(NEXT) | instid1(VALU_DEP_2)
	v_add_co_u32 v5, vcc_lo, s10, v5
	v_add_co_ci_u32_e32 v6, vcc_lo, s11, v6, vcc_lo
	global_load_b32 v5, v[5:6], off
	s_waitcnt vmcnt(0)
	v_cmp_le_f32_e32 vcc_lo, 0, v5
	v_cmp_ge_f32_e64 s1, 1.0, v5
	s_delay_alu instid0(VALU_DEP_1)
	s_and_b32 s38, vcc_lo, s1
	s_mov_b32 s1, 0
	s_and_saveexec_b32 s37, s38
	s_cbranch_execz .LBB78_44
; %bb.43:                               ;   in Loop: Header=BB78_3 Depth=1
	v_add_nc_u32_e32 v3, s25, v30
	v_cvt_f32_u32_e32 v8, v11
	s_mov_b32 s1, exec_lo
	s_delay_alu instid0(VALU_DEP_2) | instskip(NEXT) | instid1(VALU_DEP_1)
	v_cndmask_b32_e64 v3, 0, v3, s0
	v_lshlrev_b64 v[6:7], 2, v[3:4]
	s_delay_alu instid0(VALU_DEP_3) | instskip(NEXT) | instid1(VALU_DEP_2)
	v_fmaak_f32 v3, 0x2f800000, v8, 0x2f800000
	v_add_co_u32 v6, vcc_lo, s8, v6
	s_delay_alu instid0(VALU_DEP_3) | instskip(NEXT) | instid1(VALU_DEP_3)
	v_add_co_ci_u32_e32 v7, vcc_lo, s9, v7, vcc_lo
	v_cmp_le_f32_e32 vcc_lo, v3, v5
	v_cndmask_b32_e64 v3, 0, 1.0, vcc_lo
	global_store_b32 v[6:7], v3, off
.LBB78_44:                              ;   in Loop: Header=BB78_3 Depth=1
	s_or_b32 exec_lo, exec_lo, s37
	s_delay_alu instid0(SALU_CYCLE_1)
	s_and_not1_b32 s0, s36, exec_lo
	s_and_b32 s1, s1, exec_lo
	s_or_b32 s2, s2, exec_lo
	s_and_not1_b32 s35, s35, exec_lo
	s_and_not1_b32 s34, s34, exec_lo
	;; [unrolled: 1-line block ×3, first 2 shown]
	s_or_b32 s36, s0, s1
.LBB78_45:                              ;   in Loop: Header=BB78_3 Depth=1
	s_or_b32 exec_lo, exec_lo, s33
	s_delay_alu instid0(SALU_CYCLE_1)
	s_and_not1_b32 s1, s31, exec_lo
	s_and_b32 s2, s2, exec_lo
	s_and_not1_b32 s29, s29, exec_lo
	s_and_b32 s33, s35, exec_lo
	s_or_b32 s31, s1, s2
	s_and_not1_b32 s1, s30, exec_lo
	s_and_b32 s2, s34, exec_lo
	s_and_not1_b32 s28, s28, exec_lo
	s_and_b32 s3, s3, exec_lo
	s_mov_b32 s0, -1
	s_or_b32 s29, s29, s33
	s_or_b32 s30, s1, s2
	;; [unrolled: 1-line block ×3, first 2 shown]
	s_and_saveexec_b32 s1, s36
	s_cbranch_execz .LBB78_2
; %bb.46:                               ;   in Loop: Header=BB78_3 Depth=1
	v_add_nc_u32_e32 v0, s21, v0
	v_subrev_nc_u32_e32 v31, s21, v31
	s_add_i32 s25, s25, s23
	s_and_not1_b32 s31, s31, exec_lo
	s_and_not1_b32 s29, s29, exec_lo
	v_cmp_le_u32_e32 vcc_lo, s16, v0
	s_and_not1_b32 s30, s30, exec_lo
	s_and_not1_b32 s28, s28, exec_lo
	s_or_not1_b32 s0, vcc_lo, exec_lo
	s_branch .LBB78_2
.LBB78_47:
	s_or_b32 exec_lo, exec_lo, s22
	s_xor_b32 s3, s26, -1
	s_xor_b32 s4, s27, -1
	;; [unrolled: 1-line block ×3, first 2 shown]
	s_mov_b32 s1, 0
	s_and_saveexec_b32 s2, s0
	s_delay_alu instid0(SALU_CYCLE_1)
	s_xor_b32 s0, exec_lo, s2
	s_cbranch_execz .LBB78_56
; %bb.48:
	s_mov_b32 s2, 0
	s_and_saveexec_b32 s1, s4
	s_delay_alu instid0(SALU_CYCLE_1)
	s_xor_b32 s1, exec_lo, s1
	s_cbranch_execz .LBB78_54
; %bb.49:
	s_and_saveexec_b32 s4, s3
	s_delay_alu instid0(SALU_CYCLE_1)
	s_xor_b32 s3, exec_lo, s4
	s_cbranch_execz .LBB78_52
; %bb.50:
	s_and_saveexec_b32 s4, s20
	s_delay_alu instid0(SALU_CYCLE_1)
	s_xor_b32 s4, exec_lo, s4
	s_cbranch_execnz .LBB78_70
.LBB78_51:
	s_or_b32 exec_lo, exec_lo, s4
	s_delay_alu instid0(SALU_CYCLE_1)
	s_and_b32 s2, s2, exec_lo
.LBB78_52:
	s_and_not1_saveexec_b32 s3, s3
	s_cbranch_execnz .LBB78_66
.LBB78_53:
	s_or_b32 exec_lo, exec_lo, s3
	s_delay_alu instid0(SALU_CYCLE_1)
	s_and_b32 s2, s2, exec_lo
.LBB78_54:
	s_and_not1_saveexec_b32 s1, s1
	s_cbranch_execnz .LBB78_62
.LBB78_55:
	s_or_b32 exec_lo, exec_lo, s1
	s_delay_alu instid0(SALU_CYCLE_1)
	s_and_b32 s1, s2, exec_lo
.LBB78_56:
	s_and_not1_saveexec_b32 s0, s0
	s_cbranch_execnz .LBB78_60
; %bb.57:
	s_or_b32 exec_lo, exec_lo, s0
	s_delay_alu instid0(SALU_CYCLE_1)
	s_and_b32 exec_lo, exec_lo, s1
.LBB78_58:
	; divergent unreachable
.LBB78_59:
	s_nop 0
	s_sendmsg sendmsg(MSG_DEALLOC_VGPRS)
	s_endpgm
.LBB78_60:
	s_cbranch_execnz .LBB78_64
; %bb.61:
	s_or_b32 s1, s1, exec_lo
	s_or_b32 exec_lo, exec_lo, s0
	s_delay_alu instid0(SALU_CYCLE_1)
	s_and_b32 exec_lo, exec_lo, s1
	s_cbranch_execnz .LBB78_58
	s_branch .LBB78_59
.LBB78_62:
	s_cbranch_execnz .LBB78_68
; %bb.63:
	s_or_b32 s2, s2, exec_lo
	s_branch .LBB78_55
.LBB78_64:
	s_trap 2
	s_sendmsg_rtn_b32 s0, sendmsg(MSG_RTN_GET_DOORBELL)
	s_mov_b32 ttmp2, m0
	s_waitcnt lgkmcnt(0)
	s_and_b32 s0, s0, 0x3ff
	s_delay_alu instid0(SALU_CYCLE_1) | instskip(NEXT) | instid1(SALU_CYCLE_1)
	s_bitset1_b32 s0, 10
	s_mov_b32 m0, s0
	s_sendmsg sendmsg(MSG_INTERRUPT)
	s_mov_b32 m0, ttmp2
.LBB78_65:                              ; =>This Inner Loop Header: Depth=1
	s_sethalt 5
	s_branch .LBB78_65
.LBB78_66:
	s_cbranch_execnz .LBB78_72
; %bb.67:
	s_or_b32 s2, s2, exec_lo
	s_branch .LBB78_53
.LBB78_68:
	s_trap 2
	s_sendmsg_rtn_b32 s0, sendmsg(MSG_RTN_GET_DOORBELL)
	s_mov_b32 ttmp2, m0
	s_waitcnt lgkmcnt(0)
	s_and_b32 s0, s0, 0x3ff
	s_delay_alu instid0(SALU_CYCLE_1) | instskip(NEXT) | instid1(SALU_CYCLE_1)
	s_bitset1_b32 s0, 10
	s_mov_b32 m0, s0
	s_sendmsg sendmsg(MSG_INTERRUPT)
	s_mov_b32 m0, ttmp2
.LBB78_69:                              ; =>This Inner Loop Header: Depth=1
	s_sethalt 5
	s_branch .LBB78_69
.LBB78_70:
	s_cbranch_execnz .LBB78_74
; %bb.71:
	s_mov_b32 s2, exec_lo
	s_branch .LBB78_51
.LBB78_72:
	s_trap 2
	s_sendmsg_rtn_b32 s0, sendmsg(MSG_RTN_GET_DOORBELL)
	s_mov_b32 ttmp2, m0
	s_waitcnt lgkmcnt(0)
	s_and_b32 s0, s0, 0x3ff
	s_delay_alu instid0(SALU_CYCLE_1) | instskip(NEXT) | instid1(SALU_CYCLE_1)
	s_bitset1_b32 s0, 10
	s_mov_b32 m0, s0
	s_sendmsg sendmsg(MSG_INTERRUPT)
	s_mov_b32 m0, ttmp2
.LBB78_73:                              ; =>This Inner Loop Header: Depth=1
	s_sethalt 5
	s_branch .LBB78_73
.LBB78_74:
	s_trap 2
	s_sendmsg_rtn_b32 s0, sendmsg(MSG_RTN_GET_DOORBELL)
	s_mov_b32 ttmp2, m0
	s_waitcnt lgkmcnt(0)
	s_and_b32 s0, s0, 0x3ff
	s_delay_alu instid0(SALU_CYCLE_1) | instskip(NEXT) | instid1(SALU_CYCLE_1)
	s_bitset1_b32 s0, 10
	s_mov_b32 m0, s0
	s_sendmsg sendmsg(MSG_INTERRUPT)
	s_mov_b32 m0, ttmp2
.LBB78_75:                              ; =>This Inner Loop Header: Depth=1
	s_sethalt 5
	s_branch .LBB78_75
	.section	.rodata,"a",@progbits
	.p2align	6, 0x0
	.amdhsa_kernel _ZN2at4cuda12_GLOBAL__N_121kernelPointwiseApply2IZNS_6native9templates4cuda28bernoulli_tensor_cuda_kernelIffEEvRKNS_10TensorBaseES9_NS_15PhiloxCudaStateEEUliRfSB_SB_SB_RKfSD_SD_SD_E_fSC_jLi1ELi2ELi4ELi512ELi2EEEvNS0_6detail10TensorInfoIT0_T2_EENSG_IT1_SI_EESI_T_
		.amdhsa_group_segment_fixed_size 0
		.amdhsa_private_segment_fixed_size 0
		.amdhsa_kernarg_size 728
		.amdhsa_user_sgpr_count 15
		.amdhsa_user_sgpr_dispatch_ptr 0
		.amdhsa_user_sgpr_queue_ptr 0
		.amdhsa_user_sgpr_kernarg_segment_ptr 1
		.amdhsa_user_sgpr_dispatch_id 0
		.amdhsa_user_sgpr_private_segment_size 0
		.amdhsa_wavefront_size32 1
		.amdhsa_uses_dynamic_stack 0
		.amdhsa_enable_private_segment 0
		.amdhsa_system_sgpr_workgroup_id_x 1
		.amdhsa_system_sgpr_workgroup_id_y 0
		.amdhsa_system_sgpr_workgroup_id_z 0
		.amdhsa_system_sgpr_workgroup_info 0
		.amdhsa_system_vgpr_workitem_id 0
		.amdhsa_next_free_vgpr 44
		.amdhsa_next_free_sgpr 40
		.amdhsa_reserve_vcc 1
		.amdhsa_float_round_mode_32 0
		.amdhsa_float_round_mode_16_64 0
		.amdhsa_float_denorm_mode_32 3
		.amdhsa_float_denorm_mode_16_64 3
		.amdhsa_dx10_clamp 1
		.amdhsa_ieee_mode 1
		.amdhsa_fp16_overflow 0
		.amdhsa_workgroup_processor_mode 1
		.amdhsa_memory_ordered 1
		.amdhsa_forward_progress 0
		.amdhsa_shared_vgpr_count 0
		.amdhsa_exception_fp_ieee_invalid_op 0
		.amdhsa_exception_fp_denorm_src 0
		.amdhsa_exception_fp_ieee_div_zero 0
		.amdhsa_exception_fp_ieee_overflow 0
		.amdhsa_exception_fp_ieee_underflow 0
		.amdhsa_exception_fp_ieee_inexact 0
		.amdhsa_exception_int_div_zero 0
	.end_amdhsa_kernel
	.section	.text._ZN2at4cuda12_GLOBAL__N_121kernelPointwiseApply2IZNS_6native9templates4cuda28bernoulli_tensor_cuda_kernelIffEEvRKNS_10TensorBaseES9_NS_15PhiloxCudaStateEEUliRfSB_SB_SB_RKfSD_SD_SD_E_fSC_jLi1ELi2ELi4ELi512ELi2EEEvNS0_6detail10TensorInfoIT0_T2_EENSG_IT1_SI_EESI_T_,"axG",@progbits,_ZN2at4cuda12_GLOBAL__N_121kernelPointwiseApply2IZNS_6native9templates4cuda28bernoulli_tensor_cuda_kernelIffEEvRKNS_10TensorBaseES9_NS_15PhiloxCudaStateEEUliRfSB_SB_SB_RKfSD_SD_SD_E_fSC_jLi1ELi2ELi4ELi512ELi2EEEvNS0_6detail10TensorInfoIT0_T2_EENSG_IT1_SI_EESI_T_,comdat
.Lfunc_end78:
	.size	_ZN2at4cuda12_GLOBAL__N_121kernelPointwiseApply2IZNS_6native9templates4cuda28bernoulli_tensor_cuda_kernelIffEEvRKNS_10TensorBaseES9_NS_15PhiloxCudaStateEEUliRfSB_SB_SB_RKfSD_SD_SD_E_fSC_jLi1ELi2ELi4ELi512ELi2EEEvNS0_6detail10TensorInfoIT0_T2_EENSG_IT1_SI_EESI_T_, .Lfunc_end78-_ZN2at4cuda12_GLOBAL__N_121kernelPointwiseApply2IZNS_6native9templates4cuda28bernoulli_tensor_cuda_kernelIffEEvRKNS_10TensorBaseES9_NS_15PhiloxCudaStateEEUliRfSB_SB_SB_RKfSD_SD_SD_E_fSC_jLi1ELi2ELi4ELi512ELi2EEEvNS0_6detail10TensorInfoIT0_T2_EENSG_IT1_SI_EESI_T_
                                        ; -- End function
	.section	.AMDGPU.csdata,"",@progbits
; Kernel info:
; codeLenInByte = 3764
; NumSgprs: 42
; NumVgprs: 44
; ScratchSize: 0
; MemoryBound: 0
; FloatMode: 240
; IeeeMode: 1
; LDSByteSize: 0 bytes/workgroup (compile time only)
; SGPRBlocks: 5
; VGPRBlocks: 5
; NumSGPRsForWavesPerEU: 42
; NumVGPRsForWavesPerEU: 44
; Occupancy: 16
; WaveLimiterHint : 1
; COMPUTE_PGM_RSRC2:SCRATCH_EN: 0
; COMPUTE_PGM_RSRC2:USER_SGPR: 15
; COMPUTE_PGM_RSRC2:TRAP_HANDLER: 0
; COMPUTE_PGM_RSRC2:TGID_X_EN: 1
; COMPUTE_PGM_RSRC2:TGID_Y_EN: 0
; COMPUTE_PGM_RSRC2:TGID_Z_EN: 0
; COMPUTE_PGM_RSRC2:TIDIG_COMP_CNT: 0
	.section	.text._ZN2at4cuda12_GLOBAL__N_121kernelPointwiseApply2IZNS_6native9templates4cuda28bernoulli_tensor_cuda_kernelIffEEvRKNS_10TensorBaseES9_NS_15PhiloxCudaStateEEUliRfSB_SB_SB_RKfSD_SD_SD_E_fSC_jLi1ELin1ELi4ELi512ELi2EEEvNS0_6detail10TensorInfoIT0_T2_EENSG_IT1_SI_EESI_T_,"axG",@progbits,_ZN2at4cuda12_GLOBAL__N_121kernelPointwiseApply2IZNS_6native9templates4cuda28bernoulli_tensor_cuda_kernelIffEEvRKNS_10TensorBaseES9_NS_15PhiloxCudaStateEEUliRfSB_SB_SB_RKfSD_SD_SD_E_fSC_jLi1ELin1ELi4ELi512ELi2EEEvNS0_6detail10TensorInfoIT0_T2_EENSG_IT1_SI_EESI_T_,comdat
	.globl	_ZN2at4cuda12_GLOBAL__N_121kernelPointwiseApply2IZNS_6native9templates4cuda28bernoulli_tensor_cuda_kernelIffEEvRKNS_10TensorBaseES9_NS_15PhiloxCudaStateEEUliRfSB_SB_SB_RKfSD_SD_SD_E_fSC_jLi1ELin1ELi4ELi512ELi2EEEvNS0_6detail10TensorInfoIT0_T2_EENSG_IT1_SI_EESI_T_ ; -- Begin function _ZN2at4cuda12_GLOBAL__N_121kernelPointwiseApply2IZNS_6native9templates4cuda28bernoulli_tensor_cuda_kernelIffEEvRKNS_10TensorBaseES9_NS_15PhiloxCudaStateEEUliRfSB_SB_SB_RKfSD_SD_SD_E_fSC_jLi1ELin1ELi4ELi512ELi2EEEvNS0_6detail10TensorInfoIT0_T2_EENSG_IT1_SI_EESI_T_
	.p2align	8
	.type	_ZN2at4cuda12_GLOBAL__N_121kernelPointwiseApply2IZNS_6native9templates4cuda28bernoulli_tensor_cuda_kernelIffEEvRKNS_10TensorBaseES9_NS_15PhiloxCudaStateEEUliRfSB_SB_SB_RKfSD_SD_SD_E_fSC_jLi1ELin1ELi4ELi512ELi2EEEvNS0_6detail10TensorInfoIT0_T2_EENSG_IT1_SI_EESI_T_,@function
_ZN2at4cuda12_GLOBAL__N_121kernelPointwiseApply2IZNS_6native9templates4cuda28bernoulli_tensor_cuda_kernelIffEEvRKNS_10TensorBaseES9_NS_15PhiloxCudaStateEEUliRfSB_SB_SB_RKfSD_SD_SD_E_fSC_jLi1ELin1ELi4ELi512ELi2EEEvNS0_6detail10TensorInfoIT0_T2_EENSG_IT1_SI_EESI_T_: ; @_ZN2at4cuda12_GLOBAL__N_121kernelPointwiseApply2IZNS_6native9templates4cuda28bernoulli_tensor_cuda_kernelIffEEvRKNS_10TensorBaseES9_NS_15PhiloxCudaStateEEUliRfSB_SB_SB_RKfSD_SD_SD_E_fSC_jLi1ELin1ELi4ELi512ELi2EEEvNS0_6detail10TensorInfoIT0_T2_EENSG_IT1_SI_EESI_T_
; %bb.0:
	s_clause 0x1
	s_load_b32 s4, s[0:1], 0x1e4
	s_load_b32 s20, s[0:1], 0x1b0
	s_add_u32 s2, s0, 0x1d8
	s_addc_u32 s3, s1, 0
	s_waitcnt lgkmcnt(0)
	s_and_b32 s14, s4, 0xffff
	s_mov_b32 s4, exec_lo
	v_mad_u64_u32 v[1:2], null, s15, s14, v[0:1]
	s_delay_alu instid0(VALU_DEP_1) | instskip(NEXT) | instid1(VALU_DEP_1)
	v_lshlrev_b32_e32 v28, 2, v1
	v_cmpx_gt_u32_e64 s20, v28
	s_cbranch_execz .LBB79_73
; %bb.1:
	s_load_b32 s16, s[0:1], 0x1a8
	s_load_b32 s2, s[2:3], 0x0
	s_clause 0x6
	s_load_b32 s3, s[0:1], 0x1d0
	s_load_b128 s[4:7], s[0:1], 0x1b8
	s_load_b64 s[8:9], s[0:1], 0x1c8
	s_load_b64 s[10:11], s[0:1], 0x0
	s_load_b32 s21, s[0:1], 0x6c
	s_load_b32 s22, s[0:1], 0x144
	s_load_b64 s[12:13], s[0:1], 0xd8
	s_add_u32 s17, s0, 0xd8
	s_addc_u32 s18, s1, 0
	v_mad_u64_u32 v[2:3], null, 0xcd9e8d57, v1, 0
	s_mov_b32 s15, 0
	v_mov_b32_e32 v4, 0
                                        ; implicit-def: $sgpr27
                                        ; implicit-def: $sgpr29
                                        ; implicit-def: $sgpr28
                                        ; implicit-def: $sgpr30
                                        ; implicit-def: $sgpr33
                                        ; implicit-def: $sgpr31
                                        ; implicit-def: $sgpr34
	s_delay_alu instid0(VALU_DEP_2)
	v_mov_b32_e32 v29, v3
	s_waitcnt lgkmcnt(0)
	s_cmp_gt_i32 s16, 1
	s_mul_i32 s2, s2, s14
	s_cselect_b32 s23, -1, 0
	s_bitcmp1_b32 s3, 0
	s_cselect_b32 s24, -1, 0
	s_add_i32 s14, s16, -1
	s_lshl_b32 s25, s2, 2
	s_lshl_b64 s[0:1], s[14:15], 2
	s_add_i32 s26, s16, 1
	s_add_u32 s0, s0, s17
	s_addc_u32 s1, s1, s18
	s_add_u32 s16, s0, 8
	s_addc_u32 s17, s1, 0
                                        ; implicit-def: $sgpr14
	s_branch .LBB79_3
.LBB79_2:                               ;   in Loop: Header=BB79_3 Depth=1
	s_or_b32 exec_lo, exec_lo, s1
	s_delay_alu instid0(SALU_CYCLE_1) | instskip(NEXT) | instid1(SALU_CYCLE_1)
	s_and_b32 s0, exec_lo, s0
	s_or_b32 s15, s0, s15
	s_and_not1_b32 s0, s14, exec_lo
	s_and_b32 s1, s34, exec_lo
	s_and_not1_b32 s2, s28, exec_lo
	s_and_b32 s3, s31, exec_lo
	s_or_b32 s14, s0, s1
	s_or_b32 s28, s2, s3
	s_and_not1_b32 s0, s29, exec_lo
	s_and_b32 s1, s33, exec_lo
	s_and_not1_b32 s2, s27, exec_lo
	s_and_b32 s3, s30, exec_lo
	s_or_b32 s29, s0, s1
	s_or_b32 s27, s2, s3
	s_and_not1_b32 exec_lo, exec_lo, s15
	s_cbranch_execz .LBB79_61
.LBB79_3:                               ; =>This Loop Header: Depth=1
                                        ;     Child Loop BB79_6 Depth 2
                                        ;     Child Loop BB79_11 Depth 2
	;; [unrolled: 1-line block ×4, first 2 shown]
	v_sub_nc_u32_e32 v31, s20, v28
	v_mov_b32_e32 v3, 0
	s_delay_alu instid0(VALU_DEP_2) | instskip(NEXT) | instid1(VALU_DEP_1)
	v_cmp_lt_i32_e64 s0, 0, v31
	s_and_saveexec_b32 s1, s0
	s_cbranch_execz .LBB79_8
; %bb.4:                                ;   in Loop: Header=BB79_3 Depth=1
	v_dual_mov_b32 v0, 0 :: v_dual_mov_b32 v3, v28
	s_and_not1_b32 vcc_lo, exec_lo, s23
	s_cbranch_vccnz .LBB79_7
; %bb.5:                                ;   in Loop: Header=BB79_3 Depth=1
	v_dual_mov_b32 v0, 0 :: v_dual_mov_b32 v3, v28
	s_mov_b64 s[2:3], s[16:17]
	s_mov_b32 s18, s26
	s_set_inst_prefetch_distance 0x1
	.p2align	6
.LBB79_6:                               ;   Parent Loop BB79_3 Depth=1
                                        ; =>  This Inner Loop Header: Depth=2
	s_clause 0x1
	s_load_b32 s19, s[2:3], 0x0
	s_load_b32 s35, s[2:3], 0x64
	v_mov_b32_e32 v7, v3
	s_add_i32 s18, s18, -1
	s_waitcnt lgkmcnt(0)
	v_cvt_f32_u32_e32 v5, s19
	s_sub_i32 s36, 0, s19
	s_add_u32 s2, s2, -4
	s_addc_u32 s3, s3, -1
	s_cmp_gt_u32 s18, 2
	v_rcp_iflag_f32_e32 v5, v5
	s_waitcnt_depctr 0xfff
	v_mul_f32_e32 v5, 0x4f7ffffe, v5
	s_delay_alu instid0(VALU_DEP_1) | instskip(NEXT) | instid1(VALU_DEP_1)
	v_cvt_u32_f32_e32 v5, v5
	v_mul_lo_u32 v6, s36, v5
	s_delay_alu instid0(VALU_DEP_1) | instskip(NEXT) | instid1(VALU_DEP_1)
	v_mul_hi_u32 v6, v5, v6
	v_add_nc_u32_e32 v3, v5, v6
	s_delay_alu instid0(VALU_DEP_1) | instskip(NEXT) | instid1(VALU_DEP_1)
	v_mul_hi_u32 v3, v7, v3
	v_add_nc_u32_e32 v6, 1, v3
	v_mul_lo_u32 v5, v3, s19
	s_delay_alu instid0(VALU_DEP_1) | instskip(NEXT) | instid1(VALU_DEP_1)
	v_sub_nc_u32_e32 v5, v7, v5
	v_subrev_nc_u32_e32 v8, s19, v5
	v_cmp_le_u32_e32 vcc_lo, s19, v5
	v_cndmask_b32_e32 v3, v3, v6, vcc_lo
	s_delay_alu instid0(VALU_DEP_1) | instskip(NEXT) | instid1(VALU_DEP_1)
	v_dual_cndmask_b32 v5, v5, v8 :: v_dual_add_nc_u32 v6, 1, v3
	v_cmp_le_u32_e32 vcc_lo, s19, v5
	s_delay_alu instid0(VALU_DEP_2) | instskip(NEXT) | instid1(VALU_DEP_1)
	v_cndmask_b32_e32 v3, v3, v6, vcc_lo
	v_mul_lo_u32 v5, v3, s19
	s_delay_alu instid0(VALU_DEP_1) | instskip(NEXT) | instid1(VALU_DEP_1)
	v_sub_nc_u32_e32 v7, v7, v5
	v_mad_u64_u32 v[5:6], null, s35, v7, v[0:1]
	s_delay_alu instid0(VALU_DEP_1)
	v_mov_b32_e32 v0, v5
	s_cbranch_scc1 .LBB79_6
.LBB79_7:                               ;   in Loop: Header=BB79_3 Depth=1
	s_set_inst_prefetch_distance 0x2
	s_delay_alu instid0(VALU_DEP_1) | instskip(NEXT) | instid1(VALU_DEP_1)
	v_mad_u64_u32 v[5:6], null, s22, v3, v[0:1]
	v_mov_b32_e32 v3, v5
.LBB79_8:                               ;   in Loop: Header=BB79_3 Depth=1
	s_or_b32 exec_lo, exec_lo, s1
	v_mov_b32_e32 v5, 0
	v_mov_b32_e32 v6, 0
	v_cmp_lt_i32_e64 s1, 1, v31
	s_delay_alu instid0(VALU_DEP_1)
	s_and_saveexec_b32 s18, s1
	s_cbranch_execz .LBB79_13
; %bb.9:                                ;   in Loop: Header=BB79_3 Depth=1
	v_or_b32_e32 v7, 1, v28
	v_mov_b32_e32 v0, 0
	s_and_not1_b32 vcc_lo, exec_lo, s23
	s_cbranch_vccnz .LBB79_12
; %bb.10:                               ;   in Loop: Header=BB79_3 Depth=1
	v_mov_b32_e32 v0, 0
	s_mov_b64 s[2:3], s[16:17]
	s_mov_b32 s19, s26
	s_set_inst_prefetch_distance 0x1
	.p2align	6
.LBB79_11:                              ;   Parent Loop BB79_3 Depth=1
                                        ; =>  This Inner Loop Header: Depth=2
	s_clause 0x1
	s_load_b32 s35, s[2:3], 0x0
	s_load_b32 s36, s[2:3], 0x64
	s_add_i32 s19, s19, -1
	v_mov_b32_e32 v8, v7
	s_waitcnt lgkmcnt(0)
	v_cvt_f32_u32_e32 v5, s35
	s_sub_i32 s37, 0, s35
	s_add_u32 s2, s2, -4
	s_addc_u32 s3, s3, -1
	s_cmp_gt_u32 s19, 2
	v_rcp_iflag_f32_e32 v5, v5
	s_waitcnt_depctr 0xfff
	v_mul_f32_e32 v5, 0x4f7ffffe, v5
	s_delay_alu instid0(VALU_DEP_1) | instskip(NEXT) | instid1(VALU_DEP_1)
	v_cvt_u32_f32_e32 v5, v5
	v_mul_lo_u32 v6, s37, v5
	s_delay_alu instid0(VALU_DEP_1) | instskip(NEXT) | instid1(VALU_DEP_1)
	v_mul_hi_u32 v6, v5, v6
	v_add_nc_u32_e32 v5, v5, v6
	s_delay_alu instid0(VALU_DEP_1) | instskip(NEXT) | instid1(VALU_DEP_1)
	v_mul_hi_u32 v5, v8, v5
	v_mul_lo_u32 v6, v5, s35
	v_add_nc_u32_e32 v7, 1, v5
	s_delay_alu instid0(VALU_DEP_2) | instskip(NEXT) | instid1(VALU_DEP_1)
	v_sub_nc_u32_e32 v6, v8, v6
	v_subrev_nc_u32_e32 v9, s35, v6
	v_cmp_le_u32_e32 vcc_lo, s35, v6
	s_delay_alu instid0(VALU_DEP_2) | instskip(NEXT) | instid1(VALU_DEP_1)
	v_dual_cndmask_b32 v5, v5, v7 :: v_dual_cndmask_b32 v6, v6, v9
	v_add_nc_u32_e32 v7, 1, v5
	s_delay_alu instid0(VALU_DEP_2) | instskip(NEXT) | instid1(VALU_DEP_2)
	v_cmp_le_u32_e32 vcc_lo, s35, v6
	v_cndmask_b32_e32 v7, v5, v7, vcc_lo
	s_delay_alu instid0(VALU_DEP_1) | instskip(NEXT) | instid1(VALU_DEP_1)
	v_mul_lo_u32 v5, v7, s35
	v_sub_nc_u32_e32 v8, v8, v5
	s_delay_alu instid0(VALU_DEP_1) | instskip(NEXT) | instid1(VALU_DEP_1)
	v_mad_u64_u32 v[5:6], null, s36, v8, v[0:1]
	v_mov_b32_e32 v0, v5
	s_cbranch_scc1 .LBB79_11
.LBB79_12:                              ;   in Loop: Header=BB79_3 Depth=1
	s_set_inst_prefetch_distance 0x2
	s_delay_alu instid0(VALU_DEP_1)
	v_mad_u64_u32 v[5:6], null, s22, v7, v[0:1]
	v_mov_b32_e32 v6, v4
.LBB79_13:                              ;   in Loop: Header=BB79_3 Depth=1
	s_or_b32 exec_lo, exec_lo, s18
	v_mov_b32_e32 v7, 0
	v_mov_b32_e32 v8, 0
	v_cmp_lt_i32_e64 s2, 2, v31
	s_delay_alu instid0(VALU_DEP_1)
	s_and_saveexec_b32 s3, s2
	s_cbranch_execz .LBB79_18
; %bb.14:                               ;   in Loop: Header=BB79_3 Depth=1
	v_or_b32_e32 v9, 2, v28
	v_mov_b32_e32 v0, 0
	s_and_not1_b32 vcc_lo, exec_lo, s23
	s_cbranch_vccnz .LBB79_17
; %bb.15:                               ;   in Loop: Header=BB79_3 Depth=1
	v_mov_b32_e32 v0, 0
	s_mov_b64 s[18:19], s[16:17]
	s_mov_b32 s35, s26
	s_set_inst_prefetch_distance 0x1
	.p2align	6
.LBB79_16:                              ;   Parent Loop BB79_3 Depth=1
                                        ; =>  This Inner Loop Header: Depth=2
	s_clause 0x1
	s_load_b32 s36, s[18:19], 0x0
	s_load_b32 s37, s[18:19], 0x64
	s_add_i32 s35, s35, -1
	v_mov_b32_e32 v10, v9
	s_waitcnt lgkmcnt(0)
	v_cvt_f32_u32_e32 v7, s36
	s_sub_i32 s38, 0, s36
	s_add_u32 s18, s18, -4
	s_addc_u32 s19, s19, -1
	s_cmp_gt_u32 s35, 2
	v_rcp_iflag_f32_e32 v7, v7
	s_waitcnt_depctr 0xfff
	v_mul_f32_e32 v7, 0x4f7ffffe, v7
	s_delay_alu instid0(VALU_DEP_1) | instskip(NEXT) | instid1(VALU_DEP_1)
	v_cvt_u32_f32_e32 v7, v7
	v_mul_lo_u32 v8, s38, v7
	s_delay_alu instid0(VALU_DEP_1) | instskip(NEXT) | instid1(VALU_DEP_1)
	v_mul_hi_u32 v8, v7, v8
	v_add_nc_u32_e32 v7, v7, v8
	s_delay_alu instid0(VALU_DEP_1) | instskip(NEXT) | instid1(VALU_DEP_1)
	v_mul_hi_u32 v7, v10, v7
	v_mul_lo_u32 v8, v7, s36
	v_add_nc_u32_e32 v9, 1, v7
	s_delay_alu instid0(VALU_DEP_2) | instskip(NEXT) | instid1(VALU_DEP_1)
	v_sub_nc_u32_e32 v8, v10, v8
	v_subrev_nc_u32_e32 v11, s36, v8
	v_cmp_le_u32_e32 vcc_lo, s36, v8
	s_delay_alu instid0(VALU_DEP_2) | instskip(NEXT) | instid1(VALU_DEP_1)
	v_dual_cndmask_b32 v7, v7, v9 :: v_dual_cndmask_b32 v8, v8, v11
	v_add_nc_u32_e32 v9, 1, v7
	s_delay_alu instid0(VALU_DEP_2) | instskip(NEXT) | instid1(VALU_DEP_2)
	v_cmp_le_u32_e32 vcc_lo, s36, v8
	v_cndmask_b32_e32 v9, v7, v9, vcc_lo
	s_delay_alu instid0(VALU_DEP_1) | instskip(NEXT) | instid1(VALU_DEP_1)
	v_mul_lo_u32 v7, v9, s36
	v_sub_nc_u32_e32 v10, v10, v7
	s_delay_alu instid0(VALU_DEP_1) | instskip(NEXT) | instid1(VALU_DEP_1)
	v_mad_u64_u32 v[7:8], null, s37, v10, v[0:1]
	v_mov_b32_e32 v0, v7
	s_cbranch_scc1 .LBB79_16
.LBB79_17:                              ;   in Loop: Header=BB79_3 Depth=1
	s_set_inst_prefetch_distance 0x2
	s_delay_alu instid0(VALU_DEP_1)
	v_mad_u64_u32 v[7:8], null, s22, v9, v[0:1]
	v_mov_b32_e32 v8, v4
.LBB79_18:                              ;   in Loop: Header=BB79_3 Depth=1
	s_or_b32 exec_lo, exec_lo, s3
	v_mul_lo_u32 v30, v28, s21
	v_mov_b32_e32 v9, 0
	s_mov_b32 s3, exec_lo
	s_delay_alu instid0(VALU_DEP_2) | instskip(NEXT) | instid1(VALU_DEP_1)
	v_add_nc_u32_e32 v32, s21, v30
	v_dual_mov_b32 v10, 0 :: v_dual_add_nc_u32 v33, s21, v32
	s_delay_alu instid0(VALU_DEP_1)
	v_dual_mov_b32 v12, v10 :: v_dual_mov_b32 v11, v9
	v_cmpx_lt_i32_e32 3, v31
	s_cbranch_execz .LBB79_23
; %bb.19:                               ;   in Loop: Header=BB79_3 Depth=1
	v_or_b32_e32 v11, 3, v28
	v_mov_b32_e32 v0, 0
	s_and_not1_b32 vcc_lo, exec_lo, s23
	s_cbranch_vccnz .LBB79_22
; %bb.20:                               ;   in Loop: Header=BB79_3 Depth=1
	v_mov_b32_e32 v0, 0
	s_mov_b64 s[18:19], s[16:17]
	s_mov_b32 s35, s26
	s_set_inst_prefetch_distance 0x1
	.p2align	6
.LBB79_21:                              ;   Parent Loop BB79_3 Depth=1
                                        ; =>  This Inner Loop Header: Depth=2
	s_clause 0x1
	s_load_b32 s36, s[18:19], 0x0
	s_load_b32 s37, s[18:19], 0x64
	s_add_i32 s35, s35, -1
	v_mov_b32_e32 v12, v11
	s_waitcnt lgkmcnt(0)
	v_cvt_f32_u32_e32 v9, s36
	s_sub_i32 s38, 0, s36
	s_add_u32 s18, s18, -4
	s_addc_u32 s19, s19, -1
	s_cmp_gt_u32 s35, 2
	v_rcp_iflag_f32_e32 v9, v9
	s_waitcnt_depctr 0xfff
	v_mul_f32_e32 v9, 0x4f7ffffe, v9
	s_delay_alu instid0(VALU_DEP_1) | instskip(NEXT) | instid1(VALU_DEP_1)
	v_cvt_u32_f32_e32 v9, v9
	v_mul_lo_u32 v10, s38, v9
	s_delay_alu instid0(VALU_DEP_1) | instskip(NEXT) | instid1(VALU_DEP_1)
	v_mul_hi_u32 v10, v9, v10
	v_add_nc_u32_e32 v9, v9, v10
	s_delay_alu instid0(VALU_DEP_1) | instskip(NEXT) | instid1(VALU_DEP_1)
	v_mul_hi_u32 v9, v12, v9
	v_mul_lo_u32 v10, v9, s36
	v_add_nc_u32_e32 v11, 1, v9
	s_delay_alu instid0(VALU_DEP_2) | instskip(NEXT) | instid1(VALU_DEP_1)
	v_sub_nc_u32_e32 v10, v12, v10
	v_subrev_nc_u32_e32 v13, s36, v10
	v_cmp_le_u32_e32 vcc_lo, s36, v10
	s_delay_alu instid0(VALU_DEP_2) | instskip(NEXT) | instid1(VALU_DEP_1)
	v_dual_cndmask_b32 v9, v9, v11 :: v_dual_cndmask_b32 v10, v10, v13
	v_add_nc_u32_e32 v11, 1, v9
	s_delay_alu instid0(VALU_DEP_2) | instskip(NEXT) | instid1(VALU_DEP_2)
	v_cmp_le_u32_e32 vcc_lo, s36, v10
	v_cndmask_b32_e32 v11, v9, v11, vcc_lo
	s_delay_alu instid0(VALU_DEP_1) | instskip(NEXT) | instid1(VALU_DEP_1)
	v_mul_lo_u32 v9, v11, s36
	v_sub_nc_u32_e32 v12, v12, v9
	s_delay_alu instid0(VALU_DEP_1) | instskip(NEXT) | instid1(VALU_DEP_1)
	v_mad_u64_u32 v[9:10], null, s37, v12, v[0:1]
	v_mov_b32_e32 v0, v9
	s_cbranch_scc1 .LBB79_21
.LBB79_22:                              ;   in Loop: Header=BB79_3 Depth=1
	s_set_inst_prefetch_distance 0x2
	s_delay_alu instid0(VALU_DEP_1)
	v_mad_u64_u32 v[9:10], null, s22, v11, v[0:1]
	v_dual_mov_b32 v12, v4 :: v_dual_add_nc_u32 v11, s21, v33
	v_mov_b32_e32 v10, v4
.LBB79_23:                              ;   in Loop: Header=BB79_3 Depth=1
	s_or_b32 exec_lo, exec_lo, s3
	s_delay_alu instid0(VALU_DEP_1) | instskip(SKIP_2) | instid1(VALU_DEP_3)
	v_lshlrev_b64 v[9:10], 2, v[9:10]
	v_dual_mov_b32 v16, s7 :: v_dual_mov_b32 v15, s6
	v_dual_mov_b32 v18, s5 :: v_dual_mov_b32 v17, s4
	v_add_co_u32 v9, vcc_lo, s12, v9
	s_delay_alu instid0(VALU_DEP_4)
	v_add_co_ci_u32_e32 v10, vcc_lo, s13, v10, vcc_lo
	s_and_not1_b32 vcc_lo, exec_lo, s24
	global_load_b32 v0, v[9:10], off
	s_cbranch_vccnz .LBB79_25
; %bb.24:                               ;   in Loop: Header=BB79_3 Depth=1
	v_dual_mov_b32 v10, s7 :: v_dual_mov_b32 v9, s6
	v_dual_mov_b32 v14, s5 :: v_dual_mov_b32 v13, s4
	flat_load_b64 v[9:10], v[9:10]
	flat_load_b64 v[17:18], v[13:14]
	s_waitcnt vmcnt(1) lgkmcnt(1)
	v_add_co_u32 v15, vcc_lo, v9, s8
	v_add_co_ci_u32_e32 v16, vcc_lo, s9, v10, vcc_lo
.LBB79_25:                              ;   in Loop: Header=BB79_3 Depth=1
	s_delay_alu instid0(VALU_DEP_1)
	v_alignbit_b32 v19, v16, v15, 2
	v_lshrrev_b32_e32 v13, 2, v16
	s_waitcnt vmcnt(0) lgkmcnt(0)
	v_add_nc_u32_e32 v34, 0x9e3779b9, v17
	v_add_nc_u32_e32 v36, 0x3c6ef372, v17
	;; [unrolled: 1-line block ×3, first 2 shown]
	v_add_co_u32 v14, vcc_lo, v19, 1
	s_delay_alu instid0(VALU_DEP_1) | instskip(SKIP_4) | instid1(VALU_DEP_4)
	v_cndmask_b32_e64 v9, 0, 1, vcc_lo
	v_add_co_ci_u32_e32 v16, vcc_lo, 0, v13, vcc_lo
	v_xor3_b32 v21, v29, v17, v13
	v_add_nc_u32_e32 v38, 0x32370b8f, v18
	v_add_nc_u32_e32 v39, 0xed9eba14, v18
	v_cmp_eq_u32_e32 vcc_lo, 0, v16
	v_add_nc_u32_e32 v40, 0x1fd5c5a3, v18
	s_mov_b32 s3, exec_lo
	v_dual_cndmask_b32 v20, 0, v9 :: v_dual_add_nc_u32 v35, 0xbb67ae85, v18
	v_mad_u64_u32 v[9:10], null, 0xd2511f53, v14, 0
	v_mad_u64_u32 v[13:14], null, 0xd2511f53, v19, 0
	s_delay_alu instid0(VALU_DEP_3) | instskip(NEXT) | instid1(VALU_DEP_3)
	v_add_nc_u32_e32 v23, v20, v1
	v_xor_b32_e32 v10, v10, v18
	s_delay_alu instid0(VALU_DEP_2) | instskip(SKIP_1) | instid1(VALU_DEP_1)
	v_cmp_eq_u32_e32 vcc_lo, 0, v23
	v_cndmask_b32_e32 v20, 0, v20, vcc_lo
	v_xor_b32_e32 v10, v20, v10
	v_mad_u64_u32 v[19:20], null, 0xd2511f53, v21, 0
	v_mad_u64_u32 v[21:22], null, 0xcd9e8d57, v23, 0
	s_delay_alu instid0(VALU_DEP_3) | instskip(SKIP_1) | instid1(VALU_DEP_4)
	v_mad_u64_u32 v[23:24], null, 0xcd9e8d57, v10, 0
	v_xor_b32_e32 v10, v14, v18
	v_xor3_b32 v25, v35, v20, v13
	s_delay_alu instid0(VALU_DEP_2) | instskip(SKIP_2) | instid1(VALU_DEP_4)
	v_mad_u64_u32 v[13:14], null, 0xcd9e8d57, v10, 0
	v_xor3_b32 v10, v22, v17, v16
	v_xor3_b32 v16, v34, v24, v21
	v_mad_u64_u32 v[20:21], null, 0xcd9e8d57, v25, 0
	s_delay_alu instid0(VALU_DEP_3) | instskip(NEXT) | instid1(VALU_DEP_3)
	v_mad_u64_u32 v[24:25], null, 0xd2511f53, v10, 0
	v_mad_u64_u32 v[26:27], null, 0xd2511f53, v16, 0
	v_xor3_b32 v10, v2, v14, v34
	s_delay_alu instid0(VALU_DEP_4) | instskip(SKIP_2) | instid1(VALU_DEP_4)
	v_xor3_b32 v21, v36, v21, v13
	v_add_nc_u32_e32 v16, 0xdaa66d2b, v17
	v_xor3_b32 v25, v35, v25, v9
	v_mad_u64_u32 v[13:14], null, 0xd2511f53, v10, 0
	v_xor3_b32 v27, v37, v27, v24
	v_mad_u64_u32 v[9:10], null, 0xd2511f53, v21, 0
	s_delay_alu instid0(VALU_DEP_4) | instskip(NEXT) | instid1(VALU_DEP_3)
	v_mad_u64_u32 v[21:22], null, 0xcd9e8d57, v25, 0
	v_mad_u64_u32 v[24:25], null, 0xcd9e8d57, v27, 0
	v_xor3_b32 v19, v37, v14, v19
	v_add_nc_u32_e32 v27, 0x78dde6e4, v17
	v_xor3_b32 v10, v38, v10, v13
	s_delay_alu instid0(VALU_DEP_3) | instskip(SKIP_2) | instid1(VALU_DEP_4)
	v_mad_u64_u32 v[13:14], null, 0xcd9e8d57, v19, 0
	v_xor3_b32 v19, v36, v22, v23
	v_xor3_b32 v23, v16, v25, v21
	v_mad_u64_u32 v[21:22], null, 0xcd9e8d57, v10, 0
	s_delay_alu instid0(VALU_DEP_3) | instskip(NEXT) | instid1(VALU_DEP_3)
	v_mad_u64_u32 v[34:35], null, 0xd2511f53, v19, 0
	v_mad_u64_u32 v[36:37], null, 0xd2511f53, v23, 0
	v_xor3_b32 v10, v16, v14, v20
	s_delay_alu instid0(VALU_DEP_4) | instskip(SKIP_2) | instid1(VALU_DEP_4)
	v_xor3_b32 v19, v27, v22, v13
	v_add_nc_u32_e32 v16, 0x1715609d, v17
	v_add_nc_u32_e32 v23, 0xa9066899, v18
	v_mad_u64_u32 v[13:14], null, 0xd2511f53, v10, 0
	v_xor3_b32 v10, v38, v35, v26
	v_xor3_b32 v22, v39, v37, v34
	v_mad_u64_u32 v[25:26], null, 0xd2511f53, v19, 0
	v_add_nc_u32_e32 v35, 0xb54cda56, v17
	s_delay_alu instid0(VALU_DEP_4) | instskip(NEXT) | instid1(VALU_DEP_4)
	v_mad_u64_u32 v[19:20], null, 0xcd9e8d57, v10, 0
	v_mad_u64_u32 v[37:38], null, 0xcd9e8d57, v22, 0
	v_xor3_b32 v14, v39, v14, v9
	v_xor3_b32 v22, v23, v26, v13
	v_add_nc_u32_e32 v34, 0x646e171e, v18
	v_xor3_b32 v24, v27, v20, v24
	s_delay_alu instid0(VALU_DEP_4) | instskip(SKIP_2) | instid1(VALU_DEP_4)
	v_mad_u64_u32 v[9:10], null, 0xcd9e8d57, v14, 0
	v_xor3_b32 v26, v16, v38, v19
	v_mad_u64_u32 v[13:14], null, 0xcd9e8d57, v22, 0
	v_mad_u64_u32 v[19:20], null, 0xd2511f53, v24, 0
	s_delay_alu instid0(VALU_DEP_3) | instskip(SKIP_3) | instid1(VALU_DEP_3)
	v_mad_u64_u32 v[38:39], null, 0xd2511f53, v26, 0
	v_xor3_b32 v16, v16, v10, v21
	v_add_nc_u32_e32 v24, 0x5384540f, v17
	v_xor3_b32 v14, v35, v14, v9
	v_mad_u64_u32 v[9:10], null, 0xd2511f53, v16, 0
	v_xor3_b32 v16, v23, v20, v36
	v_xor3_b32 v21, v34, v39, v19
	s_delay_alu instid0(VALU_DEP_4) | instskip(NEXT) | instid1(VALU_DEP_3)
	v_mad_u64_u32 v[19:20], null, 0xd2511f53, v14, 0
	v_mad_u64_u32 v[26:27], null, 0xcd9e8d57, v16, 0
	s_delay_alu instid0(VALU_DEP_3) | instskip(SKIP_1) | instid1(VALU_DEP_4)
	v_mad_u64_u32 v[22:23], null, 0xcd9e8d57, v21, 0
	v_xor3_b32 v14, v34, v10, v25
	v_xor3_b32 v16, v40, v20, v9
	v_add_co_u32 v34, null, 0xf1bbcdc8, v17
	s_delay_alu instid0(VALU_DEP_3) | instskip(SKIP_4) | instid1(VALU_DEP_4)
	v_mad_u64_u32 v[9:10], null, 0xcd9e8d57, v14, 0
	v_xor3_b32 v14, v35, v27, v37
	v_xor3_b32 v23, v24, v23, v26
	v_mad_u64_u32 v[20:21], null, 0xcd9e8d57, v16, 0
	v_add_nc_u32_e32 v35, 0xdb3d7428, v18
	v_mad_u64_u32 v[36:37], null, 0xd2511f53, v14, 0
	s_delay_alu instid0(VALU_DEP_4) | instskip(SKIP_4) | instid1(VALU_DEP_4)
	v_mad_u64_u32 v[25:26], null, 0xd2511f53, v23, 0
	v_xor3_b32 v10, v24, v10, v13
	v_xor3_b32 v13, v34, v21, v9
	v_add_nc_u32_e32 v21, 0x8ff34781, v17
	v_xor3_b32 v14, v40, v37, v38
	v_mad_u64_u32 v[23:24], null, 0xd2511f53, v10, 0
	v_xor3_b32 v16, v35, v26, v36
	v_mad_u64_u32 v[9:10], null, 0xd2511f53, v13, 0
	s_delay_alu instid0(VALU_DEP_4) | instskip(NEXT) | instid1(VALU_DEP_3)
	v_mad_u64_u32 v[26:27], null, 0xcd9e8d57, v14, 0
	v_mad_u64_u32 v[13:14], null, 0xcd9e8d57, v16, 0
	v_add_nc_u32_e32 v36, 0x96a522ad, v18
	v_and_b32_e32 v18, 3, v15
                                        ; implicit-def: $vgpr16
	s_delay_alu instid0(VALU_DEP_2) | instskip(NEXT) | instid1(VALU_DEP_4)
	v_xor3_b32 v17, v10, v23, v36
	v_xor3_b32 v10, v14, v26, v21
	s_delay_alu instid0(VALU_DEP_3)
	v_cmpx_lt_i32_e32 1, v18
	s_xor_b32 s3, exec_lo, s3
	s_cbranch_execz .LBB79_31
; %bb.26:                               ;   in Loop: Header=BB79_3 Depth=1
	s_mov_b32 s18, exec_lo
                                        ; implicit-def: $vgpr16
	v_cmpx_lt_i32_e32 2, v18
	s_xor_b32 s18, exec_lo, s18
; %bb.27:                               ;   in Loop: Header=BB79_3 Depth=1
	v_xor3_b32 v14, v34, v27, v22
                                        ; implicit-def: $vgpr17
	s_delay_alu instid0(VALU_DEP_1) | instskip(NEXT) | instid1(VALU_DEP_1)
	v_mul_hi_u32 v14, 0xd2511f53, v14
	v_xor3_b32 v16, v14, v25, v36
; %bb.28:                               ;   in Loop: Header=BB79_3 Depth=1
	s_and_not1_saveexec_b32 s18, s18
; %bb.29:                               ;   in Loop: Header=BB79_3 Depth=1
	v_dual_mov_b32 v16, v13 :: v_dual_mov_b32 v13, v10
	v_mov_b32_e32 v10, v9
	v_mov_b32_e32 v9, v17
; %bb.30:                               ;   in Loop: Header=BB79_3 Depth=1
	s_or_b32 exec_lo, exec_lo, s18
                                        ; implicit-def: $vgpr19_vgpr20
                                        ; implicit-def: $vgpr18
                                        ; implicit-def: $vgpr17
                                        ; implicit-def: $vgpr35
                                        ; implicit-def: $vgpr23_vgpr24
                                        ; implicit-def: $vgpr20_vgpr21
                                        ; implicit-def: $vgpr21
.LBB79_31:                              ;   in Loop: Header=BB79_3 Depth=1
	s_and_not1_saveexec_b32 s3, s3
	s_cbranch_execz .LBB79_35
; %bb.32:                               ;   in Loop: Header=BB79_3 Depth=1
	v_xor3_b32 v13, v35, v24, v19
	v_cmp_eq_u32_e32 vcc_lo, 1, v18
	s_delay_alu instid0(VALU_DEP_2) | instskip(SKIP_2) | instid1(VALU_DEP_3)
	v_mad_u64_u32 v[14:15], null, 0xcd9e8d57, v13, 0
	v_mov_b32_e32 v16, v9
	v_mov_b32_e32 v13, v17
	v_xor3_b32 v18, v15, v20, v21
	s_delay_alu instid0(VALU_DEP_4)
	v_mov_b32_e32 v15, v14
	s_and_saveexec_b32 s18, vcc_lo
; %bb.33:                               ;   in Loop: Header=BB79_3 Depth=1
	v_dual_mov_b32 v16, v10 :: v_dual_mov_b32 v13, v9
	v_dual_mov_b32 v15, v17 :: v_dual_mov_b32 v18, v14
; %bb.34:                               ;   in Loop: Header=BB79_3 Depth=1
	s_or_b32 exec_lo, exec_lo, s18
	s_delay_alu instid0(VALU_DEP_1)
	v_dual_mov_b32 v9, v18 :: v_dual_mov_b32 v10, v15
.LBB79_35:                              ;   in Loop: Header=BB79_3 Depth=1
	s_or_b32 exec_lo, exec_lo, s3
	v_min_i32_e32 v14, 4, v31
	s_mov_b32 s18, 0
	s_mov_b32 s38, 0
	;; [unrolled: 1-line block ×3, first 2 shown]
	s_mov_b32 s37, exec_lo
                                        ; implicit-def: $sgpr19
                                        ; implicit-def: $sgpr35
                                        ; implicit-def: $sgpr36
	v_cmpx_lt_i32_e32 2, v14
	s_xor_b32 s37, exec_lo, s37
	s_cbranch_execz .LBB79_47
; %bb.36:                               ;   in Loop: Header=BB79_3 Depth=1
	s_mov_b32 s3, -1
	s_mov_b32 s39, 0
	s_mov_b32 s40, 0
	s_mov_b32 s35, exec_lo
                                        ; implicit-def: $sgpr19
                                        ; implicit-def: $sgpr38
	v_cmpx_lt_i32_e32 3, v14
	s_cbranch_execz .LBB79_42
; %bb.37:                               ;   in Loop: Header=BB79_3 Depth=1
	s_mov_b32 s3, 0
	s_mov_b32 s40, -1
	s_mov_b32 s36, exec_lo
                                        ; implicit-def: $sgpr19
                                        ; implicit-def: $sgpr38
	v_cmpx_eq_u32_e32 4, v14
	s_cbranch_execz .LBB79_41
; %bb.38:                               ;   in Loop: Header=BB79_3 Depth=1
	v_cmp_le_f32_e32 vcc_lo, 0, v0
	v_cmp_ge_f32_e64 s3, 1.0, v0
	s_mov_b32 s19, 0
	s_delay_alu instid0(VALU_DEP_1)
	s_and_b32 s40, vcc_lo, s3
	s_mov_b32 s3, 0
	s_and_saveexec_b32 s38, s40
	s_cbranch_execz .LBB79_40
; %bb.39:                               ;   in Loop: Header=BB79_3 Depth=1
	v_cvt_f32_u32_e32 v15, v16
	v_lshlrev_b64 v[11:12], 2, v[11:12]
	s_mov_b32 s3, exec_lo
	s_delay_alu instid0(VALU_DEP_2) | instskip(NEXT) | instid1(VALU_DEP_2)
	v_fmaak_f32 v15, 0x2f800000, v15, 0x2f800000
	v_add_co_u32 v11, vcc_lo, s10, v11
	s_delay_alu instid0(VALU_DEP_3) | instskip(NEXT) | instid1(VALU_DEP_3)
	v_add_co_ci_u32_e32 v12, vcc_lo, s11, v12, vcc_lo
	v_cmp_le_f32_e32 vcc_lo, v15, v0
	v_cndmask_b32_e64 v0, 0, 1.0, vcc_lo
	global_store_b32 v[11:12], v0, off
.LBB79_40:                              ;   in Loop: Header=BB79_3 Depth=1
	s_or_b32 exec_lo, exec_lo, s38
	s_mov_b32 s38, -1
	s_xor_b32 s40, exec_lo, -1
	s_and_b32 s3, s3, exec_lo
.LBB79_41:                              ;   in Loop: Header=BB79_3 Depth=1
	s_or_b32 exec_lo, exec_lo, s36
	s_delay_alu instid0(SALU_CYCLE_1)
	s_and_b32 s40, s40, exec_lo
	s_or_not1_b32 s3, s3, exec_lo
.LBB79_42:                              ;   in Loop: Header=BB79_3 Depth=1
	s_or_b32 exec_lo, exec_lo, s35
	s_mov_b32 s36, s19
	s_and_saveexec_b32 s35, s3
	s_cbranch_execz .LBB79_46
; %bb.43:                               ;   in Loop: Header=BB79_3 Depth=1
	v_lshlrev_b64 v[7:8], 2, v[7:8]
	s_delay_alu instid0(VALU_DEP_1) | instskip(NEXT) | instid1(VALU_DEP_2)
	v_add_co_u32 v7, vcc_lo, s12, v7
	v_add_co_ci_u32_e32 v8, vcc_lo, s13, v8, vcc_lo
	global_load_b32 v0, v[7:8], off
	s_waitcnt vmcnt(0)
	v_cmp_le_f32_e32 vcc_lo, 0, v0
	v_cmp_ge_f32_e64 s3, 1.0, v0
	s_delay_alu instid0(VALU_DEP_1) | instskip(SKIP_2) | instid1(SALU_CYCLE_1)
	s_and_b32 s36, vcc_lo, s3
	s_mov_b32 s3, 0
	s_and_saveexec_b32 s39, s36
	s_xor_b32 s36, exec_lo, s39
	s_cbranch_execz .LBB79_45
; %bb.44:                               ;   in Loop: Header=BB79_3 Depth=1
	v_cndmask_b32_e64 v7, 0, v33, s2
	v_cvt_f32_u32_e32 v11, v13
	v_mov_b32_e32 v8, v4
	s_mov_b32 s3, exec_lo
	s_delay_alu instid0(VALU_DEP_2) | instskip(NEXT) | instid1(VALU_DEP_2)
	v_fmaak_f32 v11, 0x2f800000, v11, 0x2f800000
	v_lshlrev_b64 v[7:8], 2, v[7:8]
	s_delay_alu instid0(VALU_DEP_1) | instskip(NEXT) | instid1(VALU_DEP_2)
	v_add_co_u32 v7, vcc_lo, s10, v7
	v_add_co_ci_u32_e32 v8, vcc_lo, s11, v8, vcc_lo
	s_delay_alu instid0(VALU_DEP_4)
	v_cmp_le_f32_e32 vcc_lo, v11, v0
	v_cndmask_b32_e64 v0, 0, 1.0, vcc_lo
	global_store_b32 v[7:8], v0, off
.LBB79_45:                              ;   in Loop: Header=BB79_3 Depth=1
	s_or_b32 exec_lo, exec_lo, s36
	s_delay_alu instid0(SALU_CYCLE_1)
	s_and_not1_b32 s36, s19, exec_lo
	s_or_b32 s19, s19, exec_lo
	s_and_not1_b32 s38, s38, exec_lo
	s_and_b32 s39, s3, exec_lo
.LBB79_46:                              ;   in Loop: Header=BB79_3 Depth=1
	s_or_b32 exec_lo, exec_lo, s35
	s_delay_alu instid0(SALU_CYCLE_1)
	s_and_b32 s36, s36, exec_lo
	s_and_b32 s35, s19, exec_lo
	;; [unrolled: 1-line block ×5, first 2 shown]
.LBB79_47:                              ;   in Loop: Header=BB79_3 Depth=1
	s_and_not1_saveexec_b32 s2, s37
; %bb.48:                               ;   in Loop: Header=BB79_3 Depth=1
	v_cmp_lt_i32_e32 vcc_lo, 1, v14
	s_and_not1_b32 s37, s38, exec_lo
	s_mov_b32 s18, exec_lo
	s_and_not1_b32 s36, s36, exec_lo
	s_and_not1_b32 s35, s35, exec_lo
	s_and_b32 s38, vcc_lo, exec_lo
	s_and_not1_b32 s19, s19, exec_lo
	s_or_b32 s38, s37, s38
; %bb.49:                               ;   in Loop: Header=BB79_3 Depth=1
	s_or_b32 exec_lo, exec_lo, s2
	s_mov_b32 s37, 0
	s_mov_b32 s2, s36
	s_and_saveexec_b32 s39, s38
	s_cbranch_execnz .LBB79_52
; %bb.50:                               ;   in Loop: Header=BB79_3 Depth=1
	s_or_b32 exec_lo, exec_lo, s39
	s_and_saveexec_b32 s1, s18
	s_cbranch_execnz .LBB79_55
.LBB79_51:                              ;   in Loop: Header=BB79_3 Depth=1
	s_or_b32 exec_lo, exec_lo, s1
	s_and_saveexec_b32 s18, s37
	s_cbranch_execnz .LBB79_56
	s_branch .LBB79_59
.LBB79_52:                              ;   in Loop: Header=BB79_3 Depth=1
	v_lshlrev_b64 v[5:6], 2, v[5:6]
	s_delay_alu instid0(VALU_DEP_1) | instskip(NEXT) | instid1(VALU_DEP_2)
	v_add_co_u32 v5, vcc_lo, s12, v5
	v_add_co_ci_u32_e32 v6, vcc_lo, s13, v6, vcc_lo
	global_load_b32 v0, v[5:6], off
	s_waitcnt vmcnt(0)
	v_cmp_le_f32_e32 vcc_lo, 0, v0
	v_cmp_ge_f32_e64 s2, 1.0, v0
	s_delay_alu instid0(VALU_DEP_1) | instskip(NEXT) | instid1(SALU_CYCLE_1)
	s_and_b32 s2, vcc_lo, s2
	s_and_saveexec_b32 s38, s2
	s_delay_alu instid0(SALU_CYCLE_1)
	s_xor_b32 s2, exec_lo, s38
	s_cbranch_execz .LBB79_54
; %bb.53:                               ;   in Loop: Header=BB79_3 Depth=1
	v_cndmask_b32_e64 v5, 0, v32, s1
	v_cvt_f32_u32_e32 v7, v10
	v_mov_b32_e32 v6, v4
	s_mov_b32 s37, exec_lo
	s_delay_alu instid0(VALU_DEP_2) | instskip(NEXT) | instid1(VALU_DEP_2)
	v_fmaak_f32 v7, 0x2f800000, v7, 0x2f800000
	v_lshlrev_b64 v[5:6], 2, v[5:6]
	s_delay_alu instid0(VALU_DEP_1) | instskip(NEXT) | instid1(VALU_DEP_2)
	v_add_co_u32 v5, vcc_lo, s10, v5
	v_add_co_ci_u32_e32 v6, vcc_lo, s11, v6, vcc_lo
	s_delay_alu instid0(VALU_DEP_4)
	v_cmp_le_f32_e32 vcc_lo, v7, v0
	v_cndmask_b32_e64 v0, 0, 1.0, vcc_lo
	global_store_b32 v[5:6], v0, off
.LBB79_54:                              ;   in Loop: Header=BB79_3 Depth=1
	s_or_b32 exec_lo, exec_lo, s2
	s_delay_alu instid0(SALU_CYCLE_1)
	s_and_not1_b32 s2, s36, exec_lo
	s_or_b32 s36, s36, exec_lo
	s_and_not1_b32 s35, s35, exec_lo
	s_and_not1_b32 s19, s19, exec_lo
	s_and_b32 s37, s37, exec_lo
	s_and_not1_b32 s18, s18, exec_lo
	s_or_b32 exec_lo, exec_lo, s39
	s_and_saveexec_b32 s1, s18
	s_cbranch_execz .LBB79_51
.LBB79_55:                              ;   in Loop: Header=BB79_3 Depth=1
	v_cmp_eq_u32_e32 vcc_lo, 1, v14
	s_and_not1_b32 s18, s37, exec_lo
	s_and_not1_b32 s2, s2, exec_lo
	;; [unrolled: 1-line block ×4, first 2 shown]
	s_and_b32 s37, vcc_lo, exec_lo
	s_and_not1_b32 s19, s19, exec_lo
	s_or_b32 s3, s3, exec_lo
	s_or_b32 s37, s18, s37
	s_or_b32 exec_lo, exec_lo, s1
	s_and_saveexec_b32 s18, s37
	s_cbranch_execz .LBB79_59
.LBB79_56:                              ;   in Loop: Header=BB79_3 Depth=1
	v_lshlrev_b64 v[5:6], 2, v[3:4]
	s_mov_b32 s37, 0
	s_delay_alu instid0(VALU_DEP_1) | instskip(NEXT) | instid1(VALU_DEP_2)
	v_add_co_u32 v5, vcc_lo, s12, v5
	v_add_co_ci_u32_e32 v6, vcc_lo, s13, v6, vcc_lo
	global_load_b32 v0, v[5:6], off
	s_waitcnt vmcnt(0)
	v_cmp_le_f32_e32 vcc_lo, 0, v0
	v_cmp_ge_f32_e64 s1, 1.0, v0
	s_delay_alu instid0(VALU_DEP_1) | instskip(NEXT) | instid1(SALU_CYCLE_1)
	s_and_b32 s38, vcc_lo, s1
	s_and_saveexec_b32 s1, s38
	s_cbranch_execz .LBB79_58
; %bb.57:                               ;   in Loop: Header=BB79_3 Depth=1
	v_cndmask_b32_e64 v3, 0, v30, s0
	v_cvt_f32_u32_e32 v7, v9
	s_mov_b32 s37, exec_lo
	s_delay_alu instid0(VALU_DEP_2) | instskip(NEXT) | instid1(VALU_DEP_2)
	v_lshlrev_b64 v[5:6], 2, v[3:4]
	v_fmaak_f32 v3, 0x2f800000, v7, 0x2f800000
	s_delay_alu instid0(VALU_DEP_2) | instskip(NEXT) | instid1(VALU_DEP_3)
	v_add_co_u32 v5, vcc_lo, s10, v5
	v_add_co_ci_u32_e32 v6, vcc_lo, s11, v6, vcc_lo
	s_delay_alu instid0(VALU_DEP_3)
	v_cmp_le_f32_e32 vcc_lo, v3, v0
	v_cndmask_b32_e64 v0, 0, 1.0, vcc_lo
	global_store_b32 v[5:6], v0, off
.LBB79_58:                              ;   in Loop: Header=BB79_3 Depth=1
	s_or_b32 exec_lo, exec_lo, s1
	s_delay_alu instid0(SALU_CYCLE_1)
	s_and_not1_b32 s0, s3, exec_lo
	s_and_b32 s1, s37, exec_lo
	s_or_b32 s2, s2, exec_lo
	s_and_not1_b32 s36, s36, exec_lo
	s_and_not1_b32 s35, s35, exec_lo
	;; [unrolled: 1-line block ×3, first 2 shown]
	s_or_b32 s3, s0, s1
.LBB79_59:                              ;   in Loop: Header=BB79_3 Depth=1
	s_or_b32 exec_lo, exec_lo, s18
	s_delay_alu instid0(SALU_CYCLE_1)
	s_and_not1_b32 s1, s34, exec_lo
	s_and_b32 s2, s2, exec_lo
	s_and_not1_b32 s18, s31, exec_lo
	s_and_b32 s31, s36, exec_lo
	s_or_b32 s34, s1, s2
	s_or_b32 s31, s18, s31
	s_and_not1_b32 s1, s33, exec_lo
	s_and_b32 s2, s35, exec_lo
	s_and_not1_b32 s18, s30, exec_lo
	s_and_b32 s19, s19, exec_lo
	s_mov_b32 s0, -1
	s_or_b32 s33, s1, s2
	s_or_b32 s30, s18, s19
	s_and_saveexec_b32 s1, s3
	s_cbranch_execz .LBB79_2
; %bb.60:                               ;   in Loop: Header=BB79_3 Depth=1
	v_add_nc_u32_e32 v28, s25, v28
	s_and_not1_b32 s34, s34, exec_lo
	s_and_not1_b32 s31, s31, exec_lo
	;; [unrolled: 1-line block ×4, first 2 shown]
	v_cmp_le_u32_e32 vcc_lo, s20, v28
	s_or_not1_b32 s0, vcc_lo, exec_lo
	s_branch .LBB79_2
.LBB79_61:
	s_or_b32 exec_lo, exec_lo, s15
	s_xor_b32 s3, s28, -1
	s_xor_b32 s4, s29, -1
	;; [unrolled: 1-line block ×3, first 2 shown]
	s_mov_b32 s1, 0
	s_and_saveexec_b32 s2, s0
	s_delay_alu instid0(SALU_CYCLE_1)
	s_xor_b32 s0, exec_lo, s2
	s_cbranch_execz .LBB79_70
; %bb.62:
	s_mov_b32 s2, 0
	s_and_saveexec_b32 s1, s4
	s_delay_alu instid0(SALU_CYCLE_1)
	s_xor_b32 s1, exec_lo, s1
	s_cbranch_execz .LBB79_68
; %bb.63:
	s_and_saveexec_b32 s4, s3
	s_delay_alu instid0(SALU_CYCLE_1)
	s_xor_b32 s3, exec_lo, s4
	s_cbranch_execz .LBB79_66
; %bb.64:
	s_and_saveexec_b32 s4, s14
	s_delay_alu instid0(SALU_CYCLE_1)
	s_xor_b32 s4, exec_lo, s4
	s_cbranch_execnz .LBB79_84
.LBB79_65:
	s_or_b32 exec_lo, exec_lo, s4
	s_delay_alu instid0(SALU_CYCLE_1)
	s_and_b32 s2, s2, exec_lo
.LBB79_66:
	s_and_not1_saveexec_b32 s3, s3
	s_cbranch_execnz .LBB79_80
.LBB79_67:
	s_or_b32 exec_lo, exec_lo, s3
	s_delay_alu instid0(SALU_CYCLE_1)
	s_and_b32 s2, s2, exec_lo
.LBB79_68:
	s_and_not1_saveexec_b32 s1, s1
	s_cbranch_execnz .LBB79_76
.LBB79_69:
	s_or_b32 exec_lo, exec_lo, s1
	s_delay_alu instid0(SALU_CYCLE_1)
	s_and_b32 s1, s2, exec_lo
.LBB79_70:
	s_and_not1_saveexec_b32 s0, s0
	s_cbranch_execnz .LBB79_74
; %bb.71:
	s_or_b32 exec_lo, exec_lo, s0
	s_delay_alu instid0(SALU_CYCLE_1)
	s_and_b32 exec_lo, exec_lo, s1
.LBB79_72:
	; divergent unreachable
.LBB79_73:
	s_nop 0
	s_sendmsg sendmsg(MSG_DEALLOC_VGPRS)
	s_endpgm
.LBB79_74:
	s_cbranch_execnz .LBB79_78
; %bb.75:
	s_or_b32 s1, s1, exec_lo
	s_or_b32 exec_lo, exec_lo, s0
	s_delay_alu instid0(SALU_CYCLE_1)
	s_and_b32 exec_lo, exec_lo, s1
	s_cbranch_execnz .LBB79_72
	s_branch .LBB79_73
.LBB79_76:
	s_cbranch_execnz .LBB79_82
; %bb.77:
	s_or_b32 s2, s2, exec_lo
	s_branch .LBB79_69
.LBB79_78:
	s_trap 2
	s_sendmsg_rtn_b32 s0, sendmsg(MSG_RTN_GET_DOORBELL)
	s_mov_b32 ttmp2, m0
	s_waitcnt lgkmcnt(0)
	s_and_b32 s0, s0, 0x3ff
	s_delay_alu instid0(SALU_CYCLE_1) | instskip(NEXT) | instid1(SALU_CYCLE_1)
	s_bitset1_b32 s0, 10
	s_mov_b32 m0, s0
	s_sendmsg sendmsg(MSG_INTERRUPT)
	s_mov_b32 m0, ttmp2
.LBB79_79:                              ; =>This Inner Loop Header: Depth=1
	s_sethalt 5
	s_branch .LBB79_79
.LBB79_80:
	s_cbranch_execnz .LBB79_86
; %bb.81:
	s_or_b32 s2, s2, exec_lo
	s_branch .LBB79_67
.LBB79_82:
	s_trap 2
	s_sendmsg_rtn_b32 s0, sendmsg(MSG_RTN_GET_DOORBELL)
	s_mov_b32 ttmp2, m0
	s_waitcnt lgkmcnt(0)
	s_and_b32 s0, s0, 0x3ff
	s_delay_alu instid0(SALU_CYCLE_1) | instskip(NEXT) | instid1(SALU_CYCLE_1)
	s_bitset1_b32 s0, 10
	s_mov_b32 m0, s0
	s_sendmsg sendmsg(MSG_INTERRUPT)
	s_mov_b32 m0, ttmp2
.LBB79_83:                              ; =>This Inner Loop Header: Depth=1
	s_sethalt 5
	s_branch .LBB79_83
.LBB79_84:
	s_cbranch_execnz .LBB79_88
; %bb.85:
	s_mov_b32 s2, exec_lo
	s_branch .LBB79_65
.LBB79_86:
	s_trap 2
	s_sendmsg_rtn_b32 s0, sendmsg(MSG_RTN_GET_DOORBELL)
	s_mov_b32 ttmp2, m0
	s_waitcnt lgkmcnt(0)
	s_and_b32 s0, s0, 0x3ff
	s_delay_alu instid0(SALU_CYCLE_1) | instskip(NEXT) | instid1(SALU_CYCLE_1)
	s_bitset1_b32 s0, 10
	s_mov_b32 m0, s0
	s_sendmsg sendmsg(MSG_INTERRUPT)
	s_mov_b32 m0, ttmp2
.LBB79_87:                              ; =>This Inner Loop Header: Depth=1
	s_sethalt 5
	s_branch .LBB79_87
.LBB79_88:
	s_trap 2
	s_sendmsg_rtn_b32 s0, sendmsg(MSG_RTN_GET_DOORBELL)
	s_mov_b32 ttmp2, m0
	s_waitcnt lgkmcnt(0)
	s_and_b32 s0, s0, 0x3ff
	s_delay_alu instid0(SALU_CYCLE_1) | instskip(NEXT) | instid1(SALU_CYCLE_1)
	s_bitset1_b32 s0, 10
	s_mov_b32 m0, s0
	s_sendmsg sendmsg(MSG_INTERRUPT)
	s_mov_b32 m0, ttmp2
.LBB79_89:                              ; =>This Inner Loop Header: Depth=1
	s_sethalt 5
	s_branch .LBB79_89
	.section	.rodata,"a",@progbits
	.p2align	6, 0x0
	.amdhsa_kernel _ZN2at4cuda12_GLOBAL__N_121kernelPointwiseApply2IZNS_6native9templates4cuda28bernoulli_tensor_cuda_kernelIffEEvRKNS_10TensorBaseES9_NS_15PhiloxCudaStateEEUliRfSB_SB_SB_RKfSD_SD_SD_E_fSC_jLi1ELin1ELi4ELi512ELi2EEEvNS0_6detail10TensorInfoIT0_T2_EENSG_IT1_SI_EESI_T_
		.amdhsa_group_segment_fixed_size 0
		.amdhsa_private_segment_fixed_size 0
		.amdhsa_kernarg_size 728
		.amdhsa_user_sgpr_count 15
		.amdhsa_user_sgpr_dispatch_ptr 0
		.amdhsa_user_sgpr_queue_ptr 0
		.amdhsa_user_sgpr_kernarg_segment_ptr 1
		.amdhsa_user_sgpr_dispatch_id 0
		.amdhsa_user_sgpr_private_segment_size 0
		.amdhsa_wavefront_size32 1
		.amdhsa_uses_dynamic_stack 0
		.amdhsa_enable_private_segment 0
		.amdhsa_system_sgpr_workgroup_id_x 1
		.amdhsa_system_sgpr_workgroup_id_y 0
		.amdhsa_system_sgpr_workgroup_id_z 0
		.amdhsa_system_sgpr_workgroup_info 0
		.amdhsa_system_vgpr_workitem_id 0
		.amdhsa_next_free_vgpr 41
		.amdhsa_next_free_sgpr 41
		.amdhsa_reserve_vcc 1
		.amdhsa_float_round_mode_32 0
		.amdhsa_float_round_mode_16_64 0
		.amdhsa_float_denorm_mode_32 3
		.amdhsa_float_denorm_mode_16_64 3
		.amdhsa_dx10_clamp 1
		.amdhsa_ieee_mode 1
		.amdhsa_fp16_overflow 0
		.amdhsa_workgroup_processor_mode 1
		.amdhsa_memory_ordered 1
		.amdhsa_forward_progress 0
		.amdhsa_shared_vgpr_count 0
		.amdhsa_exception_fp_ieee_invalid_op 0
		.amdhsa_exception_fp_denorm_src 0
		.amdhsa_exception_fp_ieee_div_zero 0
		.amdhsa_exception_fp_ieee_overflow 0
		.amdhsa_exception_fp_ieee_underflow 0
		.amdhsa_exception_fp_ieee_inexact 0
		.amdhsa_exception_int_div_zero 0
	.end_amdhsa_kernel
	.section	.text._ZN2at4cuda12_GLOBAL__N_121kernelPointwiseApply2IZNS_6native9templates4cuda28bernoulli_tensor_cuda_kernelIffEEvRKNS_10TensorBaseES9_NS_15PhiloxCudaStateEEUliRfSB_SB_SB_RKfSD_SD_SD_E_fSC_jLi1ELin1ELi4ELi512ELi2EEEvNS0_6detail10TensorInfoIT0_T2_EENSG_IT1_SI_EESI_T_,"axG",@progbits,_ZN2at4cuda12_GLOBAL__N_121kernelPointwiseApply2IZNS_6native9templates4cuda28bernoulli_tensor_cuda_kernelIffEEvRKNS_10TensorBaseES9_NS_15PhiloxCudaStateEEUliRfSB_SB_SB_RKfSD_SD_SD_E_fSC_jLi1ELin1ELi4ELi512ELi2EEEvNS0_6detail10TensorInfoIT0_T2_EENSG_IT1_SI_EESI_T_,comdat
.Lfunc_end79:
	.size	_ZN2at4cuda12_GLOBAL__N_121kernelPointwiseApply2IZNS_6native9templates4cuda28bernoulli_tensor_cuda_kernelIffEEvRKNS_10TensorBaseES9_NS_15PhiloxCudaStateEEUliRfSB_SB_SB_RKfSD_SD_SD_E_fSC_jLi1ELin1ELi4ELi512ELi2EEEvNS0_6detail10TensorInfoIT0_T2_EENSG_IT1_SI_EESI_T_, .Lfunc_end79-_ZN2at4cuda12_GLOBAL__N_121kernelPointwiseApply2IZNS_6native9templates4cuda28bernoulli_tensor_cuda_kernelIffEEvRKNS_10TensorBaseES9_NS_15PhiloxCudaStateEEUliRfSB_SB_SB_RKfSD_SD_SD_E_fSC_jLi1ELin1ELi4ELi512ELi2EEEvNS0_6detail10TensorInfoIT0_T2_EENSG_IT1_SI_EESI_T_
                                        ; -- End function
	.section	.AMDGPU.csdata,"",@progbits
; Kernel info:
; codeLenInByte = 4308
; NumSgprs: 43
; NumVgprs: 41
; ScratchSize: 0
; MemoryBound: 0
; FloatMode: 240
; IeeeMode: 1
; LDSByteSize: 0 bytes/workgroup (compile time only)
; SGPRBlocks: 5
; VGPRBlocks: 5
; NumSGPRsForWavesPerEU: 43
; NumVGPRsForWavesPerEU: 41
; Occupancy: 16
; WaveLimiterHint : 1
; COMPUTE_PGM_RSRC2:SCRATCH_EN: 0
; COMPUTE_PGM_RSRC2:USER_SGPR: 15
; COMPUTE_PGM_RSRC2:TRAP_HANDLER: 0
; COMPUTE_PGM_RSRC2:TGID_X_EN: 1
; COMPUTE_PGM_RSRC2:TGID_Y_EN: 0
; COMPUTE_PGM_RSRC2:TGID_Z_EN: 0
; COMPUTE_PGM_RSRC2:TIDIG_COMP_CNT: 0
	.section	.text._ZN2at4cuda12_GLOBAL__N_121kernelPointwiseApply2IZNS_6native9templates4cuda28bernoulli_tensor_cuda_kernelIffEEvRKNS_10TensorBaseES9_NS_15PhiloxCudaStateEEUliRfSB_SB_SB_RKfSD_SD_SD_E_fSC_jLi2ELi1ELi4ELi512ELi2EEEvNS0_6detail10TensorInfoIT0_T2_EENSG_IT1_SI_EESI_T_,"axG",@progbits,_ZN2at4cuda12_GLOBAL__N_121kernelPointwiseApply2IZNS_6native9templates4cuda28bernoulli_tensor_cuda_kernelIffEEvRKNS_10TensorBaseES9_NS_15PhiloxCudaStateEEUliRfSB_SB_SB_RKfSD_SD_SD_E_fSC_jLi2ELi1ELi4ELi512ELi2EEEvNS0_6detail10TensorInfoIT0_T2_EENSG_IT1_SI_EESI_T_,comdat
	.globl	_ZN2at4cuda12_GLOBAL__N_121kernelPointwiseApply2IZNS_6native9templates4cuda28bernoulli_tensor_cuda_kernelIffEEvRKNS_10TensorBaseES9_NS_15PhiloxCudaStateEEUliRfSB_SB_SB_RKfSD_SD_SD_E_fSC_jLi2ELi1ELi4ELi512ELi2EEEvNS0_6detail10TensorInfoIT0_T2_EENSG_IT1_SI_EESI_T_ ; -- Begin function _ZN2at4cuda12_GLOBAL__N_121kernelPointwiseApply2IZNS_6native9templates4cuda28bernoulli_tensor_cuda_kernelIffEEvRKNS_10TensorBaseES9_NS_15PhiloxCudaStateEEUliRfSB_SB_SB_RKfSD_SD_SD_E_fSC_jLi2ELi1ELi4ELi512ELi2EEEvNS0_6detail10TensorInfoIT0_T2_EENSG_IT1_SI_EESI_T_
	.p2align	8
	.type	_ZN2at4cuda12_GLOBAL__N_121kernelPointwiseApply2IZNS_6native9templates4cuda28bernoulli_tensor_cuda_kernelIffEEvRKNS_10TensorBaseES9_NS_15PhiloxCudaStateEEUliRfSB_SB_SB_RKfSD_SD_SD_E_fSC_jLi2ELi1ELi4ELi512ELi2EEEvNS0_6detail10TensorInfoIT0_T2_EENSG_IT1_SI_EESI_T_,@function
_ZN2at4cuda12_GLOBAL__N_121kernelPointwiseApply2IZNS_6native9templates4cuda28bernoulli_tensor_cuda_kernelIffEEvRKNS_10TensorBaseES9_NS_15PhiloxCudaStateEEUliRfSB_SB_SB_RKfSD_SD_SD_E_fSC_jLi2ELi1ELi4ELi512ELi2EEEvNS0_6detail10TensorInfoIT0_T2_EENSG_IT1_SI_EESI_T_: ; @_ZN2at4cuda12_GLOBAL__N_121kernelPointwiseApply2IZNS_6native9templates4cuda28bernoulli_tensor_cuda_kernelIffEEvRKNS_10TensorBaseES9_NS_15PhiloxCudaStateEEUliRfSB_SB_SB_RKfSD_SD_SD_E_fSC_jLi2ELi1ELi4ELi512ELi2EEEvNS0_6detail10TensorInfoIT0_T2_EENSG_IT1_SI_EESI_T_
; %bb.0:
	s_clause 0x1
	s_load_b32 s4, s[0:1], 0x1e4
	s_load_b32 s16, s[0:1], 0x1b0
	s_add_u32 s2, s0, 0x1d8
	s_addc_u32 s3, s1, 0
	s_waitcnt lgkmcnt(0)
	s_and_b32 s20, s4, 0xffff
	s_mov_b32 s4, exec_lo
	v_mad_u64_u32 v[1:2], null, s15, s20, v[0:1]
	s_delay_alu instid0(VALU_DEP_1) | instskip(NEXT) | instid1(VALU_DEP_1)
	v_lshlrev_b32_e32 v0, 2, v1
	v_cmpx_gt_u32_e64 s16, v0
	s_cbranch_execz .LBB80_59
; %bb.1:
	s_clause 0x4
	s_load_b32 s17, s[0:1], 0xc
	s_load_b64 s[8:9], s[0:1], 0x6c
	s_load_b64 s[10:11], s[0:1], 0xd8
	s_load_b32 s4, s[0:1], 0x1d0
	s_load_b32 s23, s[0:1], 0x144
	;; [unrolled: 1-line block ×3, first 2 shown]
	s_clause 0x1
	s_load_b64 s[12:13], s[0:1], 0x0
	s_load_b64 s[14:15], s[0:1], 0x1c8
	v_add_nc_u32_e32 v8, 3, v0
	v_sub_nc_u32_e32 v31, s16, v0
	s_mov_b32 s22, 0
	s_mov_b32 s25, 0
                                        ; implicit-def: $sgpr24
                                        ; implicit-def: $sgpr27
                                        ; implicit-def: $sgpr26
                                        ; implicit-def: $sgpr28
                                        ; implicit-def: $sgpr30
                                        ; implicit-def: $sgpr29
                                        ; implicit-def: $sgpr31
	v_add_nc_u32_e32 v7, 2, v0
	s_waitcnt lgkmcnt(0)
	v_cvt_f32_u32_e32 v2, s17
	s_bitcmp1_b32 s4, 0
	s_load_b128 s[4:7], s[0:1], 0x1b8
	s_delay_alu instid0(VALU_DEP_1)
	v_rcp_iflag_f32_e32 v2, v2
	s_cselect_b32 s18, -1, 0
	s_sub_i32 s19, 0, s17
	v_mul_lo_u32 v30, v0, s23
	v_mul_lo_u32 v34, s23, v8
	s_mul_i32 s2, s2, s20
	v_mov_b32_e32 v4, 0
	s_lshl_b32 s21, s2, 2
                                        ; implicit-def: $sgpr20
	v_mul_lo_u32 v33, s23, v7
	s_waitcnt_depctr 0xfff
	v_mul_f32_e32 v2, 0x4f7ffffe, v2
	v_add_nc_u32_e32 v35, s23, v30
	s_mul_i32 s23, s21, s23
	s_delay_alu instid0(VALU_DEP_2) | instskip(SKIP_1) | instid1(VALU_DEP_2)
	v_cvt_u32_f32_e32 v5, v2
	v_mad_u64_u32 v[2:3], null, 0xcd9e8d57, v1, 0
	v_mul_lo_u32 v6, s19, v5
	s_delay_alu instid0(VALU_DEP_2) | instskip(NEXT) | instid1(VALU_DEP_2)
	v_mov_b32_e32 v32, v3
	v_mul_hi_u32 v6, v5, v6
	s_delay_alu instid0(VALU_DEP_1)
	v_add_nc_u32_e32 v36, v5, v6
	s_branch .LBB80_3
.LBB80_2:                               ;   in Loop: Header=BB80_3 Depth=1
	s_or_b32 exec_lo, exec_lo, s1
	s_delay_alu instid0(SALU_CYCLE_1) | instskip(NEXT) | instid1(SALU_CYCLE_1)
	s_and_b32 s0, exec_lo, s0
	s_or_b32 s22, s0, s22
	s_and_not1_b32 s0, s20, exec_lo
	s_and_b32 s1, s31, exec_lo
	s_and_not1_b32 s2, s26, exec_lo
	s_and_b32 s3, s29, exec_lo
	s_or_b32 s20, s0, s1
	s_or_b32 s26, s2, s3
	s_and_not1_b32 s0, s27, exec_lo
	s_and_b32 s1, s30, exec_lo
	s_and_not1_b32 s2, s24, exec_lo
	s_and_b32 s3, s28, exec_lo
	s_or_b32 s27, s0, s1
	s_or_b32 s24, s2, s3
	s_and_not1_b32 exec_lo, exec_lo, s22
	s_cbranch_execz .LBB80_47
.LBB80_3:                               ; =>This Inner Loop Header: Depth=1
	v_mov_b32_e32 v7, 0
	v_mov_b32_e32 v8, 0
	v_cmp_lt_i32_e64 s0, 0, v31
	s_delay_alu instid0(VALU_DEP_2) | instskip(NEXT) | instid1(VALU_DEP_2)
	v_dual_mov_b32 v5, v7 :: v_dual_mov_b32 v6, v8
	s_and_saveexec_b32 s1, s0
	s_cbranch_execz .LBB80_5
; %bb.4:                                ;   in Loop: Header=BB80_3 Depth=1
	v_mul_hi_u32 v3, v36, v0
	s_delay_alu instid0(VALU_DEP_1) | instskip(SKIP_1) | instid1(VALU_DEP_2)
	v_not_b32_e32 v11, v3
	v_mad_u64_u32 v[5:6], null, s19, v3, v[0:1]
	v_mad_u64_u32 v[9:10], null, s17, v11, v[0:1]
	s_delay_alu instid0(VALU_DEP_2) | instskip(NEXT) | instid1(VALU_DEP_2)
	v_cmp_le_u32_e32 vcc_lo, s17, v5
	v_dual_cndmask_b32 v5, v5, v9 :: v_dual_add_nc_u32 v6, 1, v3
	s_delay_alu instid0(VALU_DEP_1) | instskip(NEXT) | instid1(VALU_DEP_2)
	v_cndmask_b32_e32 v3, v3, v6, vcc_lo
	v_cmp_le_u32_e32 vcc_lo, s17, v5
	s_delay_alu instid0(VALU_DEP_2) | instskip(NEXT) | instid1(VALU_DEP_1)
	v_add_nc_u32_e32 v6, 1, v3
	v_cndmask_b32_e32 v9, v3, v6, vcc_lo
	s_delay_alu instid0(VALU_DEP_1) | instskip(NEXT) | instid1(VALU_DEP_1)
	v_mad_u64_u32 v[5:6], null, s19, v9, v[0:1]
	v_mul_lo_u32 v3, v5, s9
	s_delay_alu instid0(VALU_DEP_1)
	v_mad_u64_u32 v[5:6], null, v9, s8, v[3:4]
	v_mov_b32_e32 v6, v4
.LBB80_5:                               ;   in Loop: Header=BB80_3 Depth=1
	s_or_b32 exec_lo, exec_lo, s1
	v_cmp_lt_i32_e64 s1, 1, v31
	s_delay_alu instid0(VALU_DEP_1)
	s_and_saveexec_b32 s2, s1
	s_cbranch_execz .LBB80_7
; %bb.6:                                ;   in Loop: Header=BB80_3 Depth=1
	v_add_nc_u32_e32 v3, 1, v0
	s_delay_alu instid0(VALU_DEP_1) | instskip(NEXT) | instid1(VALU_DEP_1)
	v_mul_hi_u32 v7, v3, v36
	v_mul_lo_u32 v8, v7, s17
	v_add_nc_u32_e32 v9, 1, v7
	s_delay_alu instid0(VALU_DEP_2) | instskip(NEXT) | instid1(VALU_DEP_1)
	v_sub_nc_u32_e32 v8, v3, v8
	v_subrev_nc_u32_e32 v10, s17, v8
	v_cmp_le_u32_e32 vcc_lo, s17, v8
	s_delay_alu instid0(VALU_DEP_2) | instskip(NEXT) | instid1(VALU_DEP_1)
	v_dual_cndmask_b32 v7, v7, v9 :: v_dual_cndmask_b32 v8, v8, v10
	v_add_nc_u32_e32 v9, 1, v7
	s_delay_alu instid0(VALU_DEP_2) | instskip(NEXT) | instid1(VALU_DEP_2)
	v_cmp_le_u32_e32 vcc_lo, s17, v8
	v_cndmask_b32_e32 v9, v7, v9, vcc_lo
	s_delay_alu instid0(VALU_DEP_1) | instskip(NEXT) | instid1(VALU_DEP_1)
	v_mul_lo_u32 v7, v9, s17
	v_sub_nc_u32_e32 v3, v3, v7
	s_delay_alu instid0(VALU_DEP_1) | instskip(NEXT) | instid1(VALU_DEP_1)
	v_mul_lo_u32 v3, v3, s9
	v_mad_u64_u32 v[7:8], null, v9, s8, v[3:4]
	v_mov_b32_e32 v8, v4
.LBB80_7:                               ;   in Loop: Header=BB80_3 Depth=1
	s_or_b32 exec_lo, exec_lo, s2
	v_mov_b32_e32 v13, 0
	v_mov_b32_e32 v14, 0
	v_cmp_lt_i32_e64 s2, 2, v31
	s_delay_alu instid0(VALU_DEP_2) | instskip(NEXT) | instid1(VALU_DEP_2)
	v_dual_mov_b32 v9, v13 :: v_dual_mov_b32 v10, v14
	s_and_saveexec_b32 s3, s2
	s_cbranch_execz .LBB80_9
; %bb.8:                                ;   in Loop: Header=BB80_3 Depth=1
	v_add_nc_u32_e32 v3, 2, v0
	s_delay_alu instid0(VALU_DEP_1) | instskip(NEXT) | instid1(VALU_DEP_1)
	v_mul_hi_u32 v9, v3, v36
	v_mul_lo_u32 v10, v9, s17
	s_delay_alu instid0(VALU_DEP_1) | instskip(NEXT) | instid1(VALU_DEP_1)
	v_sub_nc_u32_e32 v10, v3, v10
	v_subrev_nc_u32_e32 v12, s17, v10
	v_cmp_le_u32_e32 vcc_lo, s17, v10
	s_delay_alu instid0(VALU_DEP_2) | instskip(NEXT) | instid1(VALU_DEP_1)
	v_dual_cndmask_b32 v10, v10, v12 :: v_dual_add_nc_u32 v11, 1, v9
	v_cndmask_b32_e32 v9, v9, v11, vcc_lo
	s_delay_alu instid0(VALU_DEP_2) | instskip(NEXT) | instid1(VALU_DEP_2)
	v_cmp_le_u32_e32 vcc_lo, s17, v10
	v_add_nc_u32_e32 v11, 1, v9
	s_delay_alu instid0(VALU_DEP_1) | instskip(NEXT) | instid1(VALU_DEP_1)
	v_cndmask_b32_e32 v11, v9, v11, vcc_lo
	v_mul_lo_u32 v9, v11, s17
	s_delay_alu instid0(VALU_DEP_1) | instskip(NEXT) | instid1(VALU_DEP_1)
	v_sub_nc_u32_e32 v3, v3, v9
	v_mul_lo_u32 v3, v3, s9
	s_delay_alu instid0(VALU_DEP_1)
	v_mad_u64_u32 v[9:10], null, v11, s8, v[3:4]
	v_mov_b32_e32 v10, v4
.LBB80_9:                               ;   in Loop: Header=BB80_3 Depth=1
	s_or_b32 exec_lo, exec_lo, s3
	v_cmp_lt_i32_e32 vcc_lo, 3, v31
	s_and_saveexec_b32 s33, vcc_lo
	s_cbranch_execz .LBB80_11
; %bb.10:                               ;   in Loop: Header=BB80_3 Depth=1
	v_add_nc_u32_e32 v3, 3, v0
	s_delay_alu instid0(VALU_DEP_1) | instskip(NEXT) | instid1(VALU_DEP_1)
	v_mul_hi_u32 v11, v3, v36
	v_mul_lo_u32 v12, v11, s17
	v_add_nc_u32_e32 v13, 1, v11
	s_delay_alu instid0(VALU_DEP_2) | instskip(NEXT) | instid1(VALU_DEP_1)
	v_sub_nc_u32_e32 v12, v3, v12
	v_subrev_nc_u32_e32 v14, s17, v12
	v_cmp_le_u32_e64 s3, s17, v12
	s_delay_alu instid0(VALU_DEP_1) | instskip(NEXT) | instid1(VALU_DEP_3)
	v_cndmask_b32_e64 v11, v11, v13, s3
	v_cndmask_b32_e64 v12, v12, v14, s3
	s_delay_alu instid0(VALU_DEP_2) | instskip(NEXT) | instid1(VALU_DEP_2)
	v_add_nc_u32_e32 v13, 1, v11
	v_cmp_le_u32_e64 s3, s17, v12
	s_delay_alu instid0(VALU_DEP_1) | instskip(NEXT) | instid1(VALU_DEP_1)
	v_cndmask_b32_e64 v11, v11, v13, s3
	v_mul_lo_u32 v12, v11, s17
	s_delay_alu instid0(VALU_DEP_1) | instskip(NEXT) | instid1(VALU_DEP_1)
	v_sub_nc_u32_e32 v3, v3, v12
	v_mul_lo_u32 v3, v3, s9
	s_delay_alu instid0(VALU_DEP_1)
	v_mad_u64_u32 v[13:14], null, v11, s8, v[3:4]
	v_mov_b32_e32 v14, v4
.LBB80_11:                              ;   in Loop: Header=BB80_3 Depth=1
	s_or_b32 exec_lo, exec_lo, s33
	s_waitcnt lgkmcnt(0)
	v_dual_mov_b32 v18, s7 :: v_dual_add_nc_u32 v3, s25, v34
	v_dual_mov_b32 v17, s6 :: v_dual_mov_b32 v20, s5
	v_mov_b32_e32 v19, s4
	s_delay_alu instid0(VALU_DEP_3) | instskip(NEXT) | instid1(VALU_DEP_1)
	v_cndmask_b32_e32 v3, 0, v3, vcc_lo
	v_lshlrev_b64 v[11:12], 2, v[3:4]
	s_delay_alu instid0(VALU_DEP_1) | instskip(NEXT) | instid1(VALU_DEP_2)
	v_add_co_u32 v11, vcc_lo, s10, v11
	v_add_co_ci_u32_e32 v12, vcc_lo, s11, v12, vcc_lo
	s_and_not1_b32 vcc_lo, exec_lo, s18
	global_load_b32 v3, v[11:12], off
	s_cbranch_vccnz .LBB80_13
; %bb.12:                               ;   in Loop: Header=BB80_3 Depth=1
	v_dual_mov_b32 v12, s7 :: v_dual_mov_b32 v11, s6
	v_dual_mov_b32 v16, s5 :: v_dual_mov_b32 v15, s4
	flat_load_b64 v[11:12], v[11:12]
	flat_load_b64 v[19:20], v[15:16]
	s_waitcnt vmcnt(1) lgkmcnt(1)
	v_add_co_u32 v17, vcc_lo, v11, s14
	v_add_co_ci_u32_e32 v18, vcc_lo, s15, v12, vcc_lo
.LBB80_13:                              ;   in Loop: Header=BB80_3 Depth=1
	s_delay_alu instid0(VALU_DEP_1)
	v_alignbit_b32 v21, v18, v17, 2
	v_lshrrev_b32_e32 v15, 2, v18
	s_waitcnt vmcnt(0) lgkmcnt(0)
	v_add_nc_u32_e32 v37, 0x9e3779b9, v19
	v_add_nc_u32_e32 v38, 0xbb67ae85, v20
	;; [unrolled: 1-line block ×3, first 2 shown]
	v_add_co_u32 v16, vcc_lo, v21, 1
	s_delay_alu instid0(VALU_DEP_1) | instskip(SKIP_4) | instid1(VALU_DEP_4)
	v_cndmask_b32_e64 v11, 0, 1, vcc_lo
	v_add_co_ci_u32_e32 v18, vcc_lo, 0, v15, vcc_lo
	v_xor3_b32 v23, v32, v19, v15
	v_add_nc_u32_e32 v40, 0x76cf5d0a, v20
	v_add_nc_u32_e32 v42, 0xed9eba14, v20
	v_cmp_eq_u32_e32 vcc_lo, 0, v18
	v_add_nc_u32_e32 v43, 0x1fd5c5a3, v20
	s_mov_b32 s3, exec_lo
	v_dual_cndmask_b32 v22, 0, v11 :: v_dual_add_nc_u32 v41, 0x32370b8f, v20
	v_mad_u64_u32 v[11:12], null, 0xd2511f53, v16, 0
	v_mad_u64_u32 v[15:16], null, 0xd2511f53, v21, 0
	s_delay_alu instid0(VALU_DEP_3) | instskip(NEXT) | instid1(VALU_DEP_3)
	v_add_nc_u32_e32 v25, v22, v1
	v_xor_b32_e32 v12, v12, v20
	s_delay_alu instid0(VALU_DEP_2) | instskip(SKIP_1) | instid1(VALU_DEP_1)
	v_cmp_eq_u32_e32 vcc_lo, 0, v25
	v_cndmask_b32_e32 v22, 0, v22, vcc_lo
	v_xor_b32_e32 v12, v22, v12
	v_mad_u64_u32 v[21:22], null, 0xd2511f53, v23, 0
	v_mad_u64_u32 v[23:24], null, 0xcd9e8d57, v25, 0
	s_delay_alu instid0(VALU_DEP_3) | instskip(SKIP_1) | instid1(VALU_DEP_4)
	v_mad_u64_u32 v[25:26], null, 0xcd9e8d57, v12, 0
	v_xor_b32_e32 v12, v16, v20
	v_xor3_b32 v27, v38, v22, v15
	s_delay_alu instid0(VALU_DEP_2) | instskip(SKIP_2) | instid1(VALU_DEP_4)
	v_mad_u64_u32 v[15:16], null, 0xcd9e8d57, v12, 0
	v_xor3_b32 v12, v24, v19, v18
	v_xor3_b32 v18, v37, v26, v23
	v_mad_u64_u32 v[22:23], null, 0xcd9e8d57, v27, 0
	s_delay_alu instid0(VALU_DEP_3) | instskip(NEXT) | instid1(VALU_DEP_3)
	v_mad_u64_u32 v[26:27], null, 0xd2511f53, v12, 0
	v_mad_u64_u32 v[28:29], null, 0xd2511f53, v18, 0
	v_xor3_b32 v12, v2, v16, v37
	s_delay_alu instid0(VALU_DEP_4) | instskip(SKIP_2) | instid1(VALU_DEP_4)
	v_xor3_b32 v23, v39, v23, v15
	v_add_nc_u32_e32 v18, 0xdaa66d2b, v19
	v_xor3_b32 v27, v38, v27, v11
	v_mad_u64_u32 v[15:16], null, 0xd2511f53, v12, 0
	v_xor3_b32 v29, v40, v29, v26
	v_mad_u64_u32 v[11:12], null, 0xd2511f53, v23, 0
	s_delay_alu instid0(VALU_DEP_4) | instskip(NEXT) | instid1(VALU_DEP_3)
	v_mad_u64_u32 v[23:24], null, 0xcd9e8d57, v27, 0
	v_mad_u64_u32 v[26:27], null, 0xcd9e8d57, v29, 0
	v_xor3_b32 v21, v40, v16, v21
	v_add_nc_u32_e32 v29, 0x78dde6e4, v19
	v_xor3_b32 v12, v41, v12, v15
	s_delay_alu instid0(VALU_DEP_3) | instskip(SKIP_2) | instid1(VALU_DEP_4)
	v_mad_u64_u32 v[15:16], null, 0xcd9e8d57, v21, 0
	v_xor3_b32 v21, v39, v24, v25
	v_xor3_b32 v25, v18, v27, v23
	v_mad_u64_u32 v[23:24], null, 0xcd9e8d57, v12, 0
	s_delay_alu instid0(VALU_DEP_3) | instskip(NEXT) | instid1(VALU_DEP_3)
	v_mad_u64_u32 v[37:38], null, 0xd2511f53, v21, 0
	v_mad_u64_u32 v[39:40], null, 0xd2511f53, v25, 0
	v_xor3_b32 v12, v18, v16, v22
	s_delay_alu instid0(VALU_DEP_4) | instskip(SKIP_2) | instid1(VALU_DEP_4)
	v_xor3_b32 v21, v29, v24, v15
	v_add_nc_u32_e32 v18, 0x1715609d, v19
	v_add_nc_u32_e32 v25, 0xa9066899, v20
	v_mad_u64_u32 v[15:16], null, 0xd2511f53, v12, 0
	v_xor3_b32 v12, v41, v38, v28
	v_xor3_b32 v24, v42, v40, v37
	v_mad_u64_u32 v[27:28], null, 0xd2511f53, v21, 0
	v_add_nc_u32_e32 v38, 0xb54cda56, v19
	s_delay_alu instid0(VALU_DEP_4) | instskip(NEXT) | instid1(VALU_DEP_4)
	v_mad_u64_u32 v[21:22], null, 0xcd9e8d57, v12, 0
	v_mad_u64_u32 v[40:41], null, 0xcd9e8d57, v24, 0
	v_xor3_b32 v16, v42, v16, v11
	v_xor3_b32 v24, v25, v28, v15
	v_add_nc_u32_e32 v37, 0x646e171e, v20
	v_xor3_b32 v26, v29, v22, v26
	s_delay_alu instid0(VALU_DEP_4) | instskip(SKIP_2) | instid1(VALU_DEP_4)
	v_mad_u64_u32 v[11:12], null, 0xcd9e8d57, v16, 0
	v_xor3_b32 v28, v18, v41, v21
	v_mad_u64_u32 v[15:16], null, 0xcd9e8d57, v24, 0
	v_mad_u64_u32 v[21:22], null, 0xd2511f53, v26, 0
	s_delay_alu instid0(VALU_DEP_3) | instskip(SKIP_3) | instid1(VALU_DEP_3)
	v_mad_u64_u32 v[41:42], null, 0xd2511f53, v28, 0
	v_xor3_b32 v18, v18, v12, v23
	v_add_nc_u32_e32 v26, 0x5384540f, v19
	v_xor3_b32 v16, v38, v16, v11
	v_mad_u64_u32 v[11:12], null, 0xd2511f53, v18, 0
	v_xor3_b32 v18, v25, v22, v39
	v_xor3_b32 v23, v37, v42, v21
	s_delay_alu instid0(VALU_DEP_4) | instskip(NEXT) | instid1(VALU_DEP_3)
	v_mad_u64_u32 v[21:22], null, 0xd2511f53, v16, 0
	v_mad_u64_u32 v[28:29], null, 0xcd9e8d57, v18, 0
	s_delay_alu instid0(VALU_DEP_3) | instskip(SKIP_1) | instid1(VALU_DEP_4)
	v_mad_u64_u32 v[24:25], null, 0xcd9e8d57, v23, 0
	v_xor3_b32 v16, v37, v12, v27
	v_xor3_b32 v18, v43, v22, v11
	v_add_co_u32 v37, null, 0xf1bbcdc8, v19
	s_delay_alu instid0(VALU_DEP_3) | instskip(SKIP_4) | instid1(VALU_DEP_4)
	v_mad_u64_u32 v[11:12], null, 0xcd9e8d57, v16, 0
	v_xor3_b32 v16, v38, v29, v40
	v_xor3_b32 v25, v26, v25, v28
	v_mad_u64_u32 v[22:23], null, 0xcd9e8d57, v18, 0
	v_add_nc_u32_e32 v38, 0xdb3d7428, v20
	v_mad_u64_u32 v[39:40], null, 0xd2511f53, v16, 0
	s_delay_alu instid0(VALU_DEP_4) | instskip(SKIP_4) | instid1(VALU_DEP_4)
	v_mad_u64_u32 v[27:28], null, 0xd2511f53, v25, 0
	v_xor3_b32 v12, v26, v12, v15
	v_xor3_b32 v15, v37, v23, v11
	v_add_nc_u32_e32 v23, 0x8ff34781, v19
	v_xor3_b32 v16, v43, v40, v41
	v_mad_u64_u32 v[25:26], null, 0xd2511f53, v12, 0
	v_xor3_b32 v18, v38, v28, v39
	v_mad_u64_u32 v[11:12], null, 0xd2511f53, v15, 0
	s_delay_alu instid0(VALU_DEP_4) | instskip(NEXT) | instid1(VALU_DEP_3)
	v_mad_u64_u32 v[28:29], null, 0xcd9e8d57, v16, 0
	v_mad_u64_u32 v[15:16], null, 0xcd9e8d57, v18, 0
	v_add_nc_u32_e32 v39, 0x96a522ad, v20
	v_and_b32_e32 v20, 3, v17
                                        ; implicit-def: $vgpr18
	s_delay_alu instid0(VALU_DEP_2) | instskip(NEXT) | instid1(VALU_DEP_4)
	v_xor3_b32 v19, v12, v25, v39
	v_xor3_b32 v12, v16, v28, v23
	s_delay_alu instid0(VALU_DEP_3)
	v_cmpx_lt_i32_e32 1, v20
	s_xor_b32 s3, exec_lo, s3
	s_cbranch_execz .LBB80_19
; %bb.14:                               ;   in Loop: Header=BB80_3 Depth=1
	s_mov_b32 s33, exec_lo
                                        ; implicit-def: $vgpr18
	v_cmpx_lt_i32_e32 2, v20
	s_xor_b32 s33, exec_lo, s33
; %bb.15:                               ;   in Loop: Header=BB80_3 Depth=1
	v_xor3_b32 v16, v37, v29, v24
                                        ; implicit-def: $vgpr19
	s_delay_alu instid0(VALU_DEP_1) | instskip(NEXT) | instid1(VALU_DEP_1)
	v_mul_hi_u32 v16, 0xd2511f53, v16
	v_xor3_b32 v18, v16, v27, v39
; %bb.16:                               ;   in Loop: Header=BB80_3 Depth=1
	s_and_not1_saveexec_b32 s33, s33
; %bb.17:                               ;   in Loop: Header=BB80_3 Depth=1
	v_dual_mov_b32 v18, v15 :: v_dual_mov_b32 v15, v12
	v_mov_b32_e32 v12, v11
	v_mov_b32_e32 v11, v19
; %bb.18:                               ;   in Loop: Header=BB80_3 Depth=1
	s_or_b32 exec_lo, exec_lo, s33
                                        ; implicit-def: $vgpr21_vgpr22
                                        ; implicit-def: $vgpr20
                                        ; implicit-def: $vgpr19
                                        ; implicit-def: $vgpr38
                                        ; implicit-def: $vgpr25_vgpr26
                                        ; implicit-def: $vgpr22_vgpr23
                                        ; implicit-def: $vgpr23
.LBB80_19:                              ;   in Loop: Header=BB80_3 Depth=1
	s_and_not1_saveexec_b32 s3, s3
	s_cbranch_execz .LBB80_23
; %bb.20:                               ;   in Loop: Header=BB80_3 Depth=1
	v_xor3_b32 v15, v38, v26, v21
	v_cmp_eq_u32_e32 vcc_lo, 1, v20
	s_delay_alu instid0(VALU_DEP_2) | instskip(SKIP_2) | instid1(VALU_DEP_3)
	v_mad_u64_u32 v[16:17], null, 0xcd9e8d57, v15, 0
	v_mov_b32_e32 v18, v11
	v_mov_b32_e32 v15, v19
	v_xor3_b32 v20, v17, v22, v23
	s_delay_alu instid0(VALU_DEP_4)
	v_mov_b32_e32 v17, v16
	s_and_saveexec_b32 s33, vcc_lo
; %bb.21:                               ;   in Loop: Header=BB80_3 Depth=1
	v_dual_mov_b32 v18, v12 :: v_dual_mov_b32 v15, v11
	v_dual_mov_b32 v17, v19 :: v_dual_mov_b32 v20, v16
; %bb.22:                               ;   in Loop: Header=BB80_3 Depth=1
	s_or_b32 exec_lo, exec_lo, s33
	s_delay_alu instid0(VALU_DEP_1)
	v_dual_mov_b32 v11, v20 :: v_dual_mov_b32 v12, v17
.LBB80_23:                              ;   in Loop: Header=BB80_3 Depth=1
	s_or_b32 exec_lo, exec_lo, s3
	v_min_i32_e32 v16, 4, v31
	s_mov_b32 s33, 0
	s_mov_b32 s39, 0
	s_mov_b32 s36, exec_lo
                                        ; implicit-def: $sgpr3
                                        ; implicit-def: $sgpr34
                                        ; implicit-def: $sgpr35
	s_delay_alu instid0(VALU_DEP_1)
	v_cmpx_lt_i32_e32 2, v16
	s_xor_b32 s36, exec_lo, s36
	s_cbranch_execz .LBB80_33
; %bb.24:                               ;   in Loop: Header=BB80_3 Depth=1
	s_mov_b32 s38, -1
	s_mov_b32 s35, exec_lo
                                        ; implicit-def: $sgpr34
                                        ; implicit-def: $sgpr3
	v_cmpx_lt_i32_e32 3, v16
	s_cbranch_execz .LBB80_28
; %bb.25:                               ;   in Loop: Header=BB80_3 Depth=1
	v_cmp_le_f32_e32 vcc_lo, 0, v3
	v_cmp_ge_f32_e64 s3, 1.0, v3
	s_mov_b32 s34, 0
	s_mov_b32 s37, 0
	s_delay_alu instid0(VALU_DEP_1) | instskip(NEXT) | instid1(SALU_CYCLE_1)
	s_and_b32 s38, vcc_lo, s3
	s_and_saveexec_b32 s3, s38
	s_cbranch_execz .LBB80_27
; %bb.26:                               ;   in Loop: Header=BB80_3 Depth=1
	v_cvt_f32_u32_e32 v17, v18
	v_lshlrev_b64 v[13:14], 2, v[13:14]
	s_mov_b32 s37, exec_lo
	s_delay_alu instid0(VALU_DEP_2) | instskip(NEXT) | instid1(VALU_DEP_2)
	v_fmaak_f32 v17, 0x2f800000, v17, 0x2f800000
	v_add_co_u32 v13, vcc_lo, s12, v13
	s_delay_alu instid0(VALU_DEP_3) | instskip(NEXT) | instid1(VALU_DEP_3)
	v_add_co_ci_u32_e32 v14, vcc_lo, s13, v14, vcc_lo
	v_cmp_le_f32_e32 vcc_lo, v17, v3
	v_cndmask_b32_e64 v3, 0, 1.0, vcc_lo
	global_store_b32 v[13:14], v3, off
.LBB80_27:                              ;   in Loop: Header=BB80_3 Depth=1
	s_or_b32 exec_lo, exec_lo, s3
	s_mov_b32 s3, -1
	s_or_not1_b32 s38, s37, exec_lo
.LBB80_28:                              ;   in Loop: Header=BB80_3 Depth=1
	s_or_b32 exec_lo, exec_lo, s35
	s_mov_b32 s37, 0
	s_mov_b32 s39, s34
	s_and_saveexec_b32 s35, s38
	s_cbranch_execz .LBB80_32
; %bb.29:                               ;   in Loop: Header=BB80_3 Depth=1
	v_add_nc_u32_e32 v3, s25, v33
	s_delay_alu instid0(VALU_DEP_1) | instskip(NEXT) | instid1(VALU_DEP_1)
	v_cndmask_b32_e64 v3, 0, v3, s2
	v_lshlrev_b64 v[13:14], 2, v[3:4]
	s_delay_alu instid0(VALU_DEP_1) | instskip(NEXT) | instid1(VALU_DEP_2)
	v_add_co_u32 v13, vcc_lo, s10, v13
	v_add_co_ci_u32_e32 v14, vcc_lo, s11, v14, vcc_lo
	global_load_b32 v3, v[13:14], off
	s_waitcnt vmcnt(0)
	v_cmp_le_f32_e32 vcc_lo, 0, v3
	v_cmp_ge_f32_e64 s2, 1.0, v3
	s_delay_alu instid0(VALU_DEP_1) | instskip(NEXT) | instid1(SALU_CYCLE_1)
	s_and_b32 s2, vcc_lo, s2
	s_and_saveexec_b32 s38, s2
	s_delay_alu instid0(SALU_CYCLE_1)
	s_xor_b32 s2, exec_lo, s38
	s_cbranch_execz .LBB80_31
; %bb.30:                               ;   in Loop: Header=BB80_3 Depth=1
	v_cvt_f32_u32_e32 v13, v15
	v_lshlrev_b64 v[9:10], 2, v[9:10]
	s_mov_b32 s37, exec_lo
	s_delay_alu instid0(VALU_DEP_2) | instskip(NEXT) | instid1(VALU_DEP_2)
	v_fmaak_f32 v13, 0x2f800000, v13, 0x2f800000
	v_add_co_u32 v9, vcc_lo, s12, v9
	s_delay_alu instid0(VALU_DEP_3) | instskip(NEXT) | instid1(VALU_DEP_3)
	v_add_co_ci_u32_e32 v10, vcc_lo, s13, v10, vcc_lo
	v_cmp_le_f32_e32 vcc_lo, v13, v3
	v_cndmask_b32_e64 v3, 0, 1.0, vcc_lo
	global_store_b32 v[9:10], v3, off
.LBB80_31:                              ;   in Loop: Header=BB80_3 Depth=1
	s_or_b32 exec_lo, exec_lo, s2
	s_delay_alu instid0(SALU_CYCLE_1)
	s_and_not1_b32 s39, s34, exec_lo
	s_or_b32 s34, s34, exec_lo
	s_and_not1_b32 s3, s3, exec_lo
	s_and_b32 s37, s37, exec_lo
.LBB80_32:                              ;   in Loop: Header=BB80_3 Depth=1
	s_or_b32 exec_lo, exec_lo, s35
	s_delay_alu instid0(SALU_CYCLE_1)
	s_and_b32 s35, s39, exec_lo
	s_and_b32 s34, s34, exec_lo
	;; [unrolled: 1-line block ×4, first 2 shown]
.LBB80_33:                              ;   in Loop: Header=BB80_3 Depth=1
	s_and_not1_saveexec_b32 s2, s36
; %bb.34:                               ;   in Loop: Header=BB80_3 Depth=1
	v_cmp_lt_i32_e32 vcc_lo, 1, v16
	s_and_not1_b32 s36, s39, exec_lo
	s_mov_b32 s33, exec_lo
	s_and_not1_b32 s35, s35, exec_lo
	s_and_not1_b32 s34, s34, exec_lo
	s_and_b32 s37, vcc_lo, exec_lo
	s_and_not1_b32 s3, s3, exec_lo
	s_or_b32 s39, s36, s37
; %bb.35:                               ;   in Loop: Header=BB80_3 Depth=1
	s_or_b32 exec_lo, exec_lo, s2
	s_mov_b32 s2, 0
	s_mov_b32 s37, 0
	s_mov_b32 s36, s35
	s_and_saveexec_b32 s38, s39
	s_cbranch_execnz .LBB80_38
; %bb.36:                               ;   in Loop: Header=BB80_3 Depth=1
	s_or_b32 exec_lo, exec_lo, s38
	s_and_saveexec_b32 s1, s33
	s_cbranch_execnz .LBB80_41
.LBB80_37:                              ;   in Loop: Header=BB80_3 Depth=1
	s_or_b32 exec_lo, exec_lo, s1
	s_and_saveexec_b32 s1, s37
	s_cbranch_execnz .LBB80_42
	s_branch .LBB80_45
.LBB80_38:                              ;   in Loop: Header=BB80_3 Depth=1
	v_add_nc_u32_e32 v3, s25, v35
	s_delay_alu instid0(VALU_DEP_1) | instskip(NEXT) | instid1(VALU_DEP_1)
	v_cndmask_b32_e64 v3, 0, v3, s1
	v_lshlrev_b64 v[9:10], 2, v[3:4]
	s_delay_alu instid0(VALU_DEP_1) | instskip(NEXT) | instid1(VALU_DEP_2)
	v_add_co_u32 v9, vcc_lo, s10, v9
	v_add_co_ci_u32_e32 v10, vcc_lo, s11, v10, vcc_lo
	global_load_b32 v3, v[9:10], off
	s_waitcnt vmcnt(0)
	v_cmp_le_f32_e32 vcc_lo, 0, v3
	v_cmp_ge_f32_e64 s1, 1.0, v3
	s_delay_alu instid0(VALU_DEP_1) | instskip(NEXT) | instid1(SALU_CYCLE_1)
	s_and_b32 s1, vcc_lo, s1
	s_and_saveexec_b32 s36, s1
	s_delay_alu instid0(SALU_CYCLE_1)
	s_xor_b32 s1, exec_lo, s36
	s_cbranch_execz .LBB80_40
; %bb.39:                               ;   in Loop: Header=BB80_3 Depth=1
	v_cvt_f32_u32_e32 v9, v12
	v_lshlrev_b64 v[7:8], 2, v[7:8]
	s_mov_b32 s37, exec_lo
	s_delay_alu instid0(VALU_DEP_2) | instskip(NEXT) | instid1(VALU_DEP_2)
	v_fmaak_f32 v9, 0x2f800000, v9, 0x2f800000
	v_add_co_u32 v7, vcc_lo, s12, v7
	s_delay_alu instid0(VALU_DEP_3) | instskip(NEXT) | instid1(VALU_DEP_3)
	v_add_co_ci_u32_e32 v8, vcc_lo, s13, v8, vcc_lo
	v_cmp_le_f32_e32 vcc_lo, v9, v3
	v_cndmask_b32_e64 v3, 0, 1.0, vcc_lo
	global_store_b32 v[7:8], v3, off
.LBB80_40:                              ;   in Loop: Header=BB80_3 Depth=1
	s_or_b32 exec_lo, exec_lo, s1
	s_delay_alu instid0(SALU_CYCLE_1)
	s_and_not1_b32 s36, s35, exec_lo
	s_or_b32 s35, s35, exec_lo
	s_and_not1_b32 s34, s34, exec_lo
	s_and_not1_b32 s3, s3, exec_lo
	s_and_b32 s37, s37, exec_lo
	s_and_not1_b32 s33, s33, exec_lo
	s_or_b32 exec_lo, exec_lo, s38
	s_and_saveexec_b32 s1, s33
	s_cbranch_execz .LBB80_37
.LBB80_41:                              ;   in Loop: Header=BB80_3 Depth=1
	v_cmp_eq_u32_e32 vcc_lo, 1, v16
	s_and_not1_b32 s33, s37, exec_lo
	s_mov_b32 s2, exec_lo
	s_and_not1_b32 s36, s36, exec_lo
	s_and_not1_b32 s35, s35, exec_lo
	s_and_b32 s37, vcc_lo, exec_lo
	s_and_not1_b32 s34, s34, exec_lo
	s_and_not1_b32 s3, s3, exec_lo
	s_or_b32 s37, s33, s37
	s_or_b32 exec_lo, exec_lo, s1
	s_and_saveexec_b32 s1, s37
	s_cbranch_execz .LBB80_45
.LBB80_42:                              ;   in Loop: Header=BB80_3 Depth=1
	v_add_nc_u32_e32 v3, s25, v30
	s_mov_b32 s33, 0
	s_delay_alu instid0(VALU_DEP_1) | instskip(NEXT) | instid1(VALU_DEP_1)
	v_cndmask_b32_e64 v3, 0, v3, s0
	v_lshlrev_b64 v[7:8], 2, v[3:4]
	s_delay_alu instid0(VALU_DEP_1) | instskip(NEXT) | instid1(VALU_DEP_2)
	v_add_co_u32 v7, vcc_lo, s10, v7
	v_add_co_ci_u32_e32 v8, vcc_lo, s11, v8, vcc_lo
	global_load_b32 v3, v[7:8], off
	s_waitcnt vmcnt(0)
	v_cmp_le_f32_e32 vcc_lo, 0, v3
	v_cmp_ge_f32_e64 s0, 1.0, v3
	s_delay_alu instid0(VALU_DEP_1) | instskip(NEXT) | instid1(SALU_CYCLE_1)
	s_and_b32 s37, vcc_lo, s0
	s_and_saveexec_b32 s0, s37
	s_cbranch_execz .LBB80_44
; %bb.43:                               ;   in Loop: Header=BB80_3 Depth=1
	v_cvt_f32_u32_e32 v7, v11
	v_lshlrev_b64 v[5:6], 2, v[5:6]
	s_mov_b32 s33, exec_lo
	s_delay_alu instid0(VALU_DEP_2) | instskip(NEXT) | instid1(VALU_DEP_2)
	v_fmaak_f32 v7, 0x2f800000, v7, 0x2f800000
	v_add_co_u32 v5, vcc_lo, s12, v5
	s_delay_alu instid0(VALU_DEP_3) | instskip(NEXT) | instid1(VALU_DEP_3)
	v_add_co_ci_u32_e32 v6, vcc_lo, s13, v6, vcc_lo
	v_cmp_le_f32_e32 vcc_lo, v7, v3
	v_cndmask_b32_e64 v3, 0, 1.0, vcc_lo
	global_store_b32 v[5:6], v3, off
.LBB80_44:                              ;   in Loop: Header=BB80_3 Depth=1
	s_or_b32 exec_lo, exec_lo, s0
	s_delay_alu instid0(SALU_CYCLE_1)
	s_and_not1_b32 s0, s2, exec_lo
	s_and_b32 s2, s33, exec_lo
	s_or_b32 s36, s36, exec_lo
	s_and_not1_b32 s35, s35, exec_lo
	s_and_not1_b32 s34, s34, exec_lo
	;; [unrolled: 1-line block ×3, first 2 shown]
	s_or_b32 s2, s0, s2
.LBB80_45:                              ;   in Loop: Header=BB80_3 Depth=1
	s_or_b32 exec_lo, exec_lo, s1
	s_delay_alu instid0(SALU_CYCLE_1)
	s_and_not1_b32 s1, s31, exec_lo
	s_and_b32 s31, s36, exec_lo
	s_and_not1_b32 s29, s29, exec_lo
	s_and_b32 s33, s35, exec_lo
	s_or_b32 s31, s1, s31
	s_and_not1_b32 s1, s30, exec_lo
	s_and_b32 s30, s34, exec_lo
	s_and_not1_b32 s28, s28, exec_lo
	s_and_b32 s3, s3, exec_lo
	s_mov_b32 s0, -1
	s_or_b32 s29, s29, s33
	s_or_b32 s30, s1, s30
	;; [unrolled: 1-line block ×3, first 2 shown]
	s_and_saveexec_b32 s1, s2
	s_cbranch_execz .LBB80_2
; %bb.46:                               ;   in Loop: Header=BB80_3 Depth=1
	v_add_nc_u32_e32 v0, s21, v0
	v_subrev_nc_u32_e32 v31, s21, v31
	s_add_i32 s25, s25, s23
	s_and_not1_b32 s31, s31, exec_lo
	s_and_not1_b32 s29, s29, exec_lo
	v_cmp_le_u32_e32 vcc_lo, s16, v0
	s_and_not1_b32 s30, s30, exec_lo
	s_and_not1_b32 s28, s28, exec_lo
	s_or_not1_b32 s0, vcc_lo, exec_lo
	s_branch .LBB80_2
.LBB80_47:
	s_or_b32 exec_lo, exec_lo, s22
	s_xor_b32 s3, s26, -1
	s_xor_b32 s4, s27, -1
	;; [unrolled: 1-line block ×3, first 2 shown]
	s_mov_b32 s1, 0
	s_and_saveexec_b32 s2, s0
	s_delay_alu instid0(SALU_CYCLE_1)
	s_xor_b32 s0, exec_lo, s2
	s_cbranch_execz .LBB80_56
; %bb.48:
	s_mov_b32 s2, 0
	s_and_saveexec_b32 s1, s4
	s_delay_alu instid0(SALU_CYCLE_1)
	s_xor_b32 s1, exec_lo, s1
	s_cbranch_execz .LBB80_54
; %bb.49:
	s_and_saveexec_b32 s4, s3
	s_delay_alu instid0(SALU_CYCLE_1)
	s_xor_b32 s3, exec_lo, s4
	s_cbranch_execz .LBB80_52
; %bb.50:
	s_and_saveexec_b32 s4, s20
	s_delay_alu instid0(SALU_CYCLE_1)
	s_xor_b32 s4, exec_lo, s4
	s_cbranch_execnz .LBB80_70
.LBB80_51:
	s_or_b32 exec_lo, exec_lo, s4
	s_delay_alu instid0(SALU_CYCLE_1)
	s_and_b32 s2, s2, exec_lo
.LBB80_52:
	s_and_not1_saveexec_b32 s3, s3
	s_cbranch_execnz .LBB80_66
.LBB80_53:
	s_or_b32 exec_lo, exec_lo, s3
	s_delay_alu instid0(SALU_CYCLE_1)
	s_and_b32 s2, s2, exec_lo
.LBB80_54:
	s_and_not1_saveexec_b32 s1, s1
	s_cbranch_execnz .LBB80_62
.LBB80_55:
	s_or_b32 exec_lo, exec_lo, s1
	s_delay_alu instid0(SALU_CYCLE_1)
	s_and_b32 s1, s2, exec_lo
.LBB80_56:
	s_and_not1_saveexec_b32 s0, s0
	s_cbranch_execnz .LBB80_60
; %bb.57:
	s_or_b32 exec_lo, exec_lo, s0
	s_delay_alu instid0(SALU_CYCLE_1)
	s_and_b32 exec_lo, exec_lo, s1
.LBB80_58:
	; divergent unreachable
.LBB80_59:
	s_nop 0
	s_sendmsg sendmsg(MSG_DEALLOC_VGPRS)
	s_endpgm
.LBB80_60:
	s_cbranch_execnz .LBB80_64
; %bb.61:
	s_or_b32 s1, s1, exec_lo
	s_or_b32 exec_lo, exec_lo, s0
	s_delay_alu instid0(SALU_CYCLE_1)
	s_and_b32 exec_lo, exec_lo, s1
	s_cbranch_execnz .LBB80_58
	s_branch .LBB80_59
.LBB80_62:
	s_cbranch_execnz .LBB80_68
; %bb.63:
	s_or_b32 s2, s2, exec_lo
	s_branch .LBB80_55
.LBB80_64:
	s_trap 2
	s_sendmsg_rtn_b32 s0, sendmsg(MSG_RTN_GET_DOORBELL)
	s_mov_b32 ttmp2, m0
	s_waitcnt lgkmcnt(0)
	s_and_b32 s0, s0, 0x3ff
	s_delay_alu instid0(SALU_CYCLE_1) | instskip(NEXT) | instid1(SALU_CYCLE_1)
	s_bitset1_b32 s0, 10
	s_mov_b32 m0, s0
	s_sendmsg sendmsg(MSG_INTERRUPT)
	s_mov_b32 m0, ttmp2
.LBB80_65:                              ; =>This Inner Loop Header: Depth=1
	s_sethalt 5
	s_branch .LBB80_65
.LBB80_66:
	s_cbranch_execnz .LBB80_72
; %bb.67:
	s_or_b32 s2, s2, exec_lo
	s_branch .LBB80_53
.LBB80_68:
	s_trap 2
	s_sendmsg_rtn_b32 s0, sendmsg(MSG_RTN_GET_DOORBELL)
	s_mov_b32 ttmp2, m0
	s_waitcnt lgkmcnt(0)
	s_and_b32 s0, s0, 0x3ff
	s_delay_alu instid0(SALU_CYCLE_1) | instskip(NEXT) | instid1(SALU_CYCLE_1)
	s_bitset1_b32 s0, 10
	s_mov_b32 m0, s0
	s_sendmsg sendmsg(MSG_INTERRUPT)
	s_mov_b32 m0, ttmp2
.LBB80_69:                              ; =>This Inner Loop Header: Depth=1
	s_sethalt 5
	s_branch .LBB80_69
.LBB80_70:
	s_cbranch_execnz .LBB80_74
; %bb.71:
	s_mov_b32 s2, exec_lo
	s_branch .LBB80_51
.LBB80_72:
	s_trap 2
	s_sendmsg_rtn_b32 s0, sendmsg(MSG_RTN_GET_DOORBELL)
	s_mov_b32 ttmp2, m0
	s_waitcnt lgkmcnt(0)
	s_and_b32 s0, s0, 0x3ff
	s_delay_alu instid0(SALU_CYCLE_1) | instskip(NEXT) | instid1(SALU_CYCLE_1)
	s_bitset1_b32 s0, 10
	s_mov_b32 m0, s0
	s_sendmsg sendmsg(MSG_INTERRUPT)
	s_mov_b32 m0, ttmp2
.LBB80_73:                              ; =>This Inner Loop Header: Depth=1
	s_sethalt 5
	s_branch .LBB80_73
.LBB80_74:
	s_trap 2
	s_sendmsg_rtn_b32 s0, sendmsg(MSG_RTN_GET_DOORBELL)
	s_mov_b32 ttmp2, m0
	s_waitcnt lgkmcnt(0)
	s_and_b32 s0, s0, 0x3ff
	s_delay_alu instid0(SALU_CYCLE_1) | instskip(NEXT) | instid1(SALU_CYCLE_1)
	s_bitset1_b32 s0, 10
	s_mov_b32 m0, s0
	s_sendmsg sendmsg(MSG_INTERRUPT)
	s_mov_b32 m0, ttmp2
.LBB80_75:                              ; =>This Inner Loop Header: Depth=1
	s_sethalt 5
	s_branch .LBB80_75
	.section	.rodata,"a",@progbits
	.p2align	6, 0x0
	.amdhsa_kernel _ZN2at4cuda12_GLOBAL__N_121kernelPointwiseApply2IZNS_6native9templates4cuda28bernoulli_tensor_cuda_kernelIffEEvRKNS_10TensorBaseES9_NS_15PhiloxCudaStateEEUliRfSB_SB_SB_RKfSD_SD_SD_E_fSC_jLi2ELi1ELi4ELi512ELi2EEEvNS0_6detail10TensorInfoIT0_T2_EENSG_IT1_SI_EESI_T_
		.amdhsa_group_segment_fixed_size 0
		.amdhsa_private_segment_fixed_size 0
		.amdhsa_kernarg_size 728
		.amdhsa_user_sgpr_count 15
		.amdhsa_user_sgpr_dispatch_ptr 0
		.amdhsa_user_sgpr_queue_ptr 0
		.amdhsa_user_sgpr_kernarg_segment_ptr 1
		.amdhsa_user_sgpr_dispatch_id 0
		.amdhsa_user_sgpr_private_segment_size 0
		.amdhsa_wavefront_size32 1
		.amdhsa_uses_dynamic_stack 0
		.amdhsa_enable_private_segment 0
		.amdhsa_system_sgpr_workgroup_id_x 1
		.amdhsa_system_sgpr_workgroup_id_y 0
		.amdhsa_system_sgpr_workgroup_id_z 0
		.amdhsa_system_sgpr_workgroup_info 0
		.amdhsa_system_vgpr_workitem_id 0
		.amdhsa_next_free_vgpr 44
		.amdhsa_next_free_sgpr 40
		.amdhsa_reserve_vcc 1
		.amdhsa_float_round_mode_32 0
		.amdhsa_float_round_mode_16_64 0
		.amdhsa_float_denorm_mode_32 3
		.amdhsa_float_denorm_mode_16_64 3
		.amdhsa_dx10_clamp 1
		.amdhsa_ieee_mode 1
		.amdhsa_fp16_overflow 0
		.amdhsa_workgroup_processor_mode 1
		.amdhsa_memory_ordered 1
		.amdhsa_forward_progress 0
		.amdhsa_shared_vgpr_count 0
		.amdhsa_exception_fp_ieee_invalid_op 0
		.amdhsa_exception_fp_denorm_src 0
		.amdhsa_exception_fp_ieee_div_zero 0
		.amdhsa_exception_fp_ieee_overflow 0
		.amdhsa_exception_fp_ieee_underflow 0
		.amdhsa_exception_fp_ieee_inexact 0
		.amdhsa_exception_int_div_zero 0
	.end_amdhsa_kernel
	.section	.text._ZN2at4cuda12_GLOBAL__N_121kernelPointwiseApply2IZNS_6native9templates4cuda28bernoulli_tensor_cuda_kernelIffEEvRKNS_10TensorBaseES9_NS_15PhiloxCudaStateEEUliRfSB_SB_SB_RKfSD_SD_SD_E_fSC_jLi2ELi1ELi4ELi512ELi2EEEvNS0_6detail10TensorInfoIT0_T2_EENSG_IT1_SI_EESI_T_,"axG",@progbits,_ZN2at4cuda12_GLOBAL__N_121kernelPointwiseApply2IZNS_6native9templates4cuda28bernoulli_tensor_cuda_kernelIffEEvRKNS_10TensorBaseES9_NS_15PhiloxCudaStateEEUliRfSB_SB_SB_RKfSD_SD_SD_E_fSC_jLi2ELi1ELi4ELi512ELi2EEEvNS0_6detail10TensorInfoIT0_T2_EENSG_IT1_SI_EESI_T_,comdat
.Lfunc_end80:
	.size	_ZN2at4cuda12_GLOBAL__N_121kernelPointwiseApply2IZNS_6native9templates4cuda28bernoulli_tensor_cuda_kernelIffEEvRKNS_10TensorBaseES9_NS_15PhiloxCudaStateEEUliRfSB_SB_SB_RKfSD_SD_SD_E_fSC_jLi2ELi1ELi4ELi512ELi2EEEvNS0_6detail10TensorInfoIT0_T2_EENSG_IT1_SI_EESI_T_, .Lfunc_end80-_ZN2at4cuda12_GLOBAL__N_121kernelPointwiseApply2IZNS_6native9templates4cuda28bernoulli_tensor_cuda_kernelIffEEvRKNS_10TensorBaseES9_NS_15PhiloxCudaStateEEUliRfSB_SB_SB_RKfSD_SD_SD_E_fSC_jLi2ELi1ELi4ELi512ELi2EEEvNS0_6detail10TensorInfoIT0_T2_EENSG_IT1_SI_EESI_T_
                                        ; -- End function
	.section	.AMDGPU.csdata,"",@progbits
; Kernel info:
; codeLenInByte = 3756
; NumSgprs: 42
; NumVgprs: 44
; ScratchSize: 0
; MemoryBound: 0
; FloatMode: 240
; IeeeMode: 1
; LDSByteSize: 0 bytes/workgroup (compile time only)
; SGPRBlocks: 5
; VGPRBlocks: 5
; NumSGPRsForWavesPerEU: 42
; NumVGPRsForWavesPerEU: 44
; Occupancy: 16
; WaveLimiterHint : 1
; COMPUTE_PGM_RSRC2:SCRATCH_EN: 0
; COMPUTE_PGM_RSRC2:USER_SGPR: 15
; COMPUTE_PGM_RSRC2:TRAP_HANDLER: 0
; COMPUTE_PGM_RSRC2:TGID_X_EN: 1
; COMPUTE_PGM_RSRC2:TGID_Y_EN: 0
; COMPUTE_PGM_RSRC2:TGID_Z_EN: 0
; COMPUTE_PGM_RSRC2:TIDIG_COMP_CNT: 0
	.section	.text._ZN2at4cuda12_GLOBAL__N_121kernelPointwiseApply2IZNS_6native9templates4cuda28bernoulli_tensor_cuda_kernelIffEEvRKNS_10TensorBaseES9_NS_15PhiloxCudaStateEEUliRfSB_SB_SB_RKfSD_SD_SD_E_fSC_jLi2ELi2ELi4ELi512ELi2EEEvNS0_6detail10TensorInfoIT0_T2_EENSG_IT1_SI_EESI_T_,"axG",@progbits,_ZN2at4cuda12_GLOBAL__N_121kernelPointwiseApply2IZNS_6native9templates4cuda28bernoulli_tensor_cuda_kernelIffEEvRKNS_10TensorBaseES9_NS_15PhiloxCudaStateEEUliRfSB_SB_SB_RKfSD_SD_SD_E_fSC_jLi2ELi2ELi4ELi512ELi2EEEvNS0_6detail10TensorInfoIT0_T2_EENSG_IT1_SI_EESI_T_,comdat
	.globl	_ZN2at4cuda12_GLOBAL__N_121kernelPointwiseApply2IZNS_6native9templates4cuda28bernoulli_tensor_cuda_kernelIffEEvRKNS_10TensorBaseES9_NS_15PhiloxCudaStateEEUliRfSB_SB_SB_RKfSD_SD_SD_E_fSC_jLi2ELi2ELi4ELi512ELi2EEEvNS0_6detail10TensorInfoIT0_T2_EENSG_IT1_SI_EESI_T_ ; -- Begin function _ZN2at4cuda12_GLOBAL__N_121kernelPointwiseApply2IZNS_6native9templates4cuda28bernoulli_tensor_cuda_kernelIffEEvRKNS_10TensorBaseES9_NS_15PhiloxCudaStateEEUliRfSB_SB_SB_RKfSD_SD_SD_E_fSC_jLi2ELi2ELi4ELi512ELi2EEEvNS0_6detail10TensorInfoIT0_T2_EENSG_IT1_SI_EESI_T_
	.p2align	8
	.type	_ZN2at4cuda12_GLOBAL__N_121kernelPointwiseApply2IZNS_6native9templates4cuda28bernoulli_tensor_cuda_kernelIffEEvRKNS_10TensorBaseES9_NS_15PhiloxCudaStateEEUliRfSB_SB_SB_RKfSD_SD_SD_E_fSC_jLi2ELi2ELi4ELi512ELi2EEEvNS0_6detail10TensorInfoIT0_T2_EENSG_IT1_SI_EESI_T_,@function
_ZN2at4cuda12_GLOBAL__N_121kernelPointwiseApply2IZNS_6native9templates4cuda28bernoulli_tensor_cuda_kernelIffEEvRKNS_10TensorBaseES9_NS_15PhiloxCudaStateEEUliRfSB_SB_SB_RKfSD_SD_SD_E_fSC_jLi2ELi2ELi4ELi512ELi2EEEvNS0_6detail10TensorInfoIT0_T2_EENSG_IT1_SI_EESI_T_: ; @_ZN2at4cuda12_GLOBAL__N_121kernelPointwiseApply2IZNS_6native9templates4cuda28bernoulli_tensor_cuda_kernelIffEEvRKNS_10TensorBaseES9_NS_15PhiloxCudaStateEEUliRfSB_SB_SB_RKfSD_SD_SD_E_fSC_jLi2ELi2ELi4ELi512ELi2EEEvNS0_6detail10TensorInfoIT0_T2_EENSG_IT1_SI_EESI_T_
; %bb.0:
	s_clause 0x1
	s_load_b32 s2, s[0:1], 0x1e4
	s_load_b32 s16, s[0:1], 0x1b0
	s_add_u32 s4, s0, 0x1d8
	s_addc_u32 s5, s1, 0
	s_waitcnt lgkmcnt(0)
	s_and_b32 s22, s2, 0xffff
	s_mov_b32 s2, exec_lo
	v_mad_u64_u32 v[1:2], null, s15, s22, v[0:1]
	s_delay_alu instid0(VALU_DEP_1) | instskip(NEXT) | instid1(VALU_DEP_1)
	v_lshlrev_b32_e32 v0, 2, v1
	v_cmpx_gt_u32_e64 s16, v0
	s_cbranch_execz .LBB81_67
; %bb.1:
	s_clause 0x6
	s_load_b32 s17, s[0:1], 0xc
	s_load_b32 s18, s[0:1], 0xe4
	s_load_b64 s[2:3], s[0:1], 0x6c
	s_load_b64 s[8:9], s[0:1], 0xd8
	s_load_b64 s[10:11], s[0:1], 0x144
	s_load_b32 s6, s[0:1], 0x1d0
	s_load_b64 s[12:13], s[0:1], 0x0
	s_load_b32 s23, s[4:5], 0x0
	v_sub_nc_u32_e32 v36, s16, v0
                                        ; implicit-def: $sgpr26
                                        ; implicit-def: $sgpr25
                                        ; implicit-def: $sgpr27
                                        ; implicit-def: $sgpr29
                                        ; implicit-def: $sgpr28
                                        ; implicit-def: $sgpr30
	s_waitcnt lgkmcnt(0)
	v_cvt_f32_u32_e32 v2, s17
	v_cvt_f32_u32_e32 v3, s18
	s_delay_alu instid0(VALU_DEP_2) | instskip(NEXT) | instid1(VALU_DEP_1)
	v_rcp_iflag_f32_e32 v2, v2
	v_rcp_iflag_f32_e32 v3, v3
	s_bitcmp1_b32 s6, 0
	s_clause 0x1
	s_load_b64 s[14:15], s[0:1], 0x1c8
	s_load_b128 s[4:7], s[0:1], 0x1b8
	s_cselect_b32 s19, -1, 0
	s_sub_i32 s20, 0, s17
	s_sub_i32 s21, 0, s18
	s_mul_i32 s23, s23, s22
	s_mov_b32 s22, 0
	s_lshl_b32 s24, s23, 2
	s_waitcnt_depctr 0xfff
	v_dual_mul_f32 v2, 0x4f7ffffe, v2 :: v_dual_mul_f32 v3, 0x4f7ffffe, v3
                                        ; implicit-def: $sgpr23
                                        ; implicit-def: $sgpr1
	s_delay_alu instid0(VALU_DEP_1) | instskip(NEXT) | instid1(VALU_DEP_2)
	v_cvt_u32_f32_e32 v5, v2
	v_cvt_u32_f32_e32 v6, v3
	v_mad_u64_u32 v[2:3], null, 0xcd9e8d57, v1, 0
	s_delay_alu instid0(VALU_DEP_3) | instskip(NEXT) | instid1(VALU_DEP_3)
	v_mul_lo_u32 v4, s20, v5
	v_mul_lo_u32 v7, s21, v6
	s_delay_alu instid0(VALU_DEP_3) | instskip(NEXT) | instid1(VALU_DEP_3)
	v_mov_b32_e32 v33, v3
	v_mul_hi_u32 v8, v5, v4
	s_delay_alu instid0(VALU_DEP_3) | instskip(SKIP_1) | instid1(VALU_DEP_3)
	v_mul_hi_u32 v7, v6, v7
	v_mov_b32_e32 v4, 0
	v_add_nc_u32_e32 v34, v5, v8
	s_delay_alu instid0(VALU_DEP_3)
	v_add_nc_u32_e32 v35, v6, v7
	s_branch .LBB81_3
.LBB81_2:                               ;   in Loop: Header=BB81_3 Depth=1
	s_or_b32 exec_lo, exec_lo, s31
	s_delay_alu instid0(SALU_CYCLE_1) | instskip(NEXT) | instid1(SALU_CYCLE_1)
	s_and_b32 s0, exec_lo, s0
	s_or_b32 s22, s0, s22
	s_and_not1_b32 s0, s1, exec_lo
	s_and_b32 s1, s30, exec_lo
	s_and_not1_b32 s25, s25, exec_lo
	s_and_b32 s31, s28, exec_lo
	s_or_b32 s1, s0, s1
	s_or_b32 s25, s25, s31
	s_and_not1_b32 s0, s26, exec_lo
	s_and_b32 s26, s29, exec_lo
	s_and_not1_b32 s23, s23, exec_lo
	s_and_b32 s31, s27, exec_lo
	s_or_b32 s26, s0, s26
	s_or_b32 s23, s23, s31
	s_and_not1_b32 exec_lo, exec_lo, s22
	s_cbranch_execz .LBB81_55
.LBB81_3:                               ; =>This Inner Loop Header: Depth=1
	v_cmp_lt_i32_e32 vcc_lo, 0, v36
	v_mov_b32_e32 v5, 0
	s_and_saveexec_b32 s31, vcc_lo
	s_cbranch_execz .LBB81_5
; %bb.4:                                ;   in Loop: Header=BB81_3 Depth=1
	v_mul_hi_u32 v3, v34, v0
	s_delay_alu instid0(VALU_DEP_1) | instskip(SKIP_2) | instid1(VALU_DEP_3)
	v_not_b32_e32 v8, v3
	v_mad_u64_u32 v[5:6], null, s20, v3, v[0:1]
	v_add_nc_u32_e32 v9, 1, v3
	v_mad_u64_u32 v[6:7], null, s17, v8, v[0:1]
	s_delay_alu instid0(VALU_DEP_3) | instskip(NEXT) | instid1(VALU_DEP_1)
	v_cmp_le_u32_e64 s0, s17, v5
	v_cndmask_b32_e64 v3, v3, v9, s0
	s_delay_alu instid0(VALU_DEP_3) | instskip(NEXT) | instid1(VALU_DEP_2)
	v_cndmask_b32_e64 v5, v5, v6, s0
	v_add_nc_u32_e32 v6, 1, v3
	s_delay_alu instid0(VALU_DEP_2) | instskip(NEXT) | instid1(VALU_DEP_1)
	v_cmp_le_u32_e64 s0, s17, v5
	v_cndmask_b32_e64 v7, v3, v6, s0
	s_delay_alu instid0(VALU_DEP_1) | instskip(NEXT) | instid1(VALU_DEP_1)
	v_mad_u64_u32 v[5:6], null, s20, v7, v[0:1]
	v_mul_lo_u32 v3, v5, s3
	s_delay_alu instid0(VALU_DEP_1)
	v_mad_u64_u32 v[5:6], null, v7, s2, v[3:4]
.LBB81_5:                               ;   in Loop: Header=BB81_3 Depth=1
	s_or_b32 exec_lo, exec_lo, s31
	v_mov_b32_e32 v3, 0
	s_and_saveexec_b32 s0, vcc_lo
	s_cbranch_execz .LBB81_7
; %bb.6:                                ;   in Loop: Header=BB81_3 Depth=1
	v_mul_hi_u32 v3, v35, v0
	s_delay_alu instid0(VALU_DEP_1) | instskip(SKIP_2) | instid1(VALU_DEP_3)
	v_not_b32_e32 v9, v3
	v_mad_u64_u32 v[6:7], null, s21, v3, v[0:1]
	v_add_nc_u32_e32 v10, 1, v3
	v_mad_u64_u32 v[7:8], null, s18, v9, v[0:1]
	s_delay_alu instid0(VALU_DEP_3) | instskip(NEXT) | instid1(VALU_DEP_2)
	v_cmp_le_u32_e32 vcc_lo, s18, v6
	v_dual_cndmask_b32 v3, v3, v10 :: v_dual_cndmask_b32 v6, v6, v7
	s_delay_alu instid0(VALU_DEP_1) | instskip(NEXT) | instid1(VALU_DEP_2)
	v_add_nc_u32_e32 v7, 1, v3
	v_cmp_le_u32_e32 vcc_lo, s18, v6
	s_delay_alu instid0(VALU_DEP_2) | instskip(NEXT) | instid1(VALU_DEP_1)
	v_cndmask_b32_e32 v8, v3, v7, vcc_lo
	v_mad_u64_u32 v[6:7], null, s21, v8, v[0:1]
	s_delay_alu instid0(VALU_DEP_1) | instskip(NEXT) | instid1(VALU_DEP_1)
	v_mul_lo_u32 v3, v6, s11
	v_mad_u64_u32 v[6:7], null, v8, s10, v[3:4]
	s_delay_alu instid0(VALU_DEP_1)
	v_mov_b32_e32 v3, v6
.LBB81_7:                               ;   in Loop: Header=BB81_3 Depth=1
	s_or_b32 exec_lo, exec_lo, s0
	v_mov_b32_e32 v8, 0
	v_dual_mov_b32 v9, 0 :: v_dual_add_nc_u32 v10, 1, v0
	v_cmp_lt_i32_e32 vcc_lo, 1, v36
	s_delay_alu instid0(VALU_DEP_2)
	v_dual_mov_b32 v6, v8 :: v_dual_mov_b32 v7, v9
	s_and_saveexec_b32 s31, vcc_lo
	s_cbranch_execz .LBB81_9
; %bb.8:                                ;   in Loop: Header=BB81_3 Depth=1
	v_mul_hi_u32 v6, v10, v34
	s_delay_alu instid0(VALU_DEP_1) | instskip(SKIP_1) | instid1(VALU_DEP_2)
	v_mul_lo_u32 v7, v6, s17
	v_add_nc_u32_e32 v11, 1, v6
	v_sub_nc_u32_e32 v7, v10, v7
	s_delay_alu instid0(VALU_DEP_1) | instskip(SKIP_1) | instid1(VALU_DEP_1)
	v_subrev_nc_u32_e32 v12, s17, v7
	v_cmp_le_u32_e64 s0, s17, v7
	v_cndmask_b32_e64 v6, v6, v11, s0
	s_delay_alu instid0(VALU_DEP_3) | instskip(NEXT) | instid1(VALU_DEP_2)
	v_cndmask_b32_e64 v7, v7, v12, s0
	v_add_nc_u32_e32 v11, 1, v6
	s_delay_alu instid0(VALU_DEP_2) | instskip(NEXT) | instid1(VALU_DEP_1)
	v_cmp_le_u32_e64 s0, s17, v7
	v_cndmask_b32_e64 v12, v6, v11, s0
	s_delay_alu instid0(VALU_DEP_1) | instskip(NEXT) | instid1(VALU_DEP_1)
	v_mul_lo_u32 v6, v12, s17
	v_sub_nc_u32_e32 v6, v10, v6
	s_delay_alu instid0(VALU_DEP_1) | instskip(NEXT) | instid1(VALU_DEP_1)
	v_mul_lo_u32 v11, v6, s3
	v_mad_u64_u32 v[6:7], null, v12, s2, v[11:12]
	v_mov_b32_e32 v7, v4
.LBB81_9:                               ;   in Loop: Header=BB81_3 Depth=1
	s_or_b32 exec_lo, exec_lo, s31
	s_and_saveexec_b32 s0, vcc_lo
	s_cbranch_execz .LBB81_11
; %bb.10:                               ;   in Loop: Header=BB81_3 Depth=1
	v_mul_hi_u32 v8, v10, v35
	s_delay_alu instid0(VALU_DEP_1) | instskip(SKIP_1) | instid1(VALU_DEP_2)
	v_mul_lo_u32 v9, v8, s18
	v_add_nc_u32_e32 v11, 1, v8
	v_sub_nc_u32_e32 v9, v10, v9
	s_delay_alu instid0(VALU_DEP_1) | instskip(SKIP_1) | instid1(VALU_DEP_2)
	v_subrev_nc_u32_e32 v12, s18, v9
	v_cmp_le_u32_e32 vcc_lo, s18, v9
	v_dual_cndmask_b32 v8, v8, v11 :: v_dual_cndmask_b32 v9, v9, v12
	s_delay_alu instid0(VALU_DEP_1) | instskip(NEXT) | instid1(VALU_DEP_2)
	v_add_nc_u32_e32 v11, 1, v8
	v_cmp_le_u32_e32 vcc_lo, s18, v9
	s_delay_alu instid0(VALU_DEP_2) | instskip(NEXT) | instid1(VALU_DEP_1)
	v_cndmask_b32_e32 v11, v8, v11, vcc_lo
	v_mul_lo_u32 v8, v11, s18
	s_delay_alu instid0(VALU_DEP_1) | instskip(NEXT) | instid1(VALU_DEP_1)
	v_sub_nc_u32_e32 v8, v10, v8
	v_mul_lo_u32 v10, v8, s11
	s_delay_alu instid0(VALU_DEP_1)
	v_mad_u64_u32 v[8:9], null, v11, s10, v[10:11]
	v_mov_b32_e32 v9, v4
.LBB81_11:                              ;   in Loop: Header=BB81_3 Depth=1
	s_or_b32 exec_lo, exec_lo, s0
	v_mov_b32_e32 v12, 0
	v_dual_mov_b32 v13, 0 :: v_dual_add_nc_u32 v14, 2, v0
	v_cmp_lt_i32_e32 vcc_lo, 2, v36
	s_delay_alu instid0(VALU_DEP_2)
	v_dual_mov_b32 v10, v12 :: v_dual_mov_b32 v11, v13
	s_and_saveexec_b32 s31, vcc_lo
	s_cbranch_execz .LBB81_13
; %bb.12:                               ;   in Loop: Header=BB81_3 Depth=1
	v_mul_hi_u32 v10, v14, v34
	s_delay_alu instid0(VALU_DEP_1) | instskip(SKIP_1) | instid1(VALU_DEP_2)
	v_mul_lo_u32 v11, v10, s17
	v_add_nc_u32_e32 v15, 1, v10
	v_sub_nc_u32_e32 v11, v14, v11
	s_delay_alu instid0(VALU_DEP_1) | instskip(SKIP_1) | instid1(VALU_DEP_1)
	v_subrev_nc_u32_e32 v16, s17, v11
	v_cmp_le_u32_e64 s0, s17, v11
	v_cndmask_b32_e64 v10, v10, v15, s0
	s_delay_alu instid0(VALU_DEP_3) | instskip(NEXT) | instid1(VALU_DEP_2)
	v_cndmask_b32_e64 v11, v11, v16, s0
	v_add_nc_u32_e32 v15, 1, v10
	s_delay_alu instid0(VALU_DEP_2) | instskip(NEXT) | instid1(VALU_DEP_1)
	v_cmp_le_u32_e64 s0, s17, v11
	v_cndmask_b32_e64 v16, v10, v15, s0
	s_delay_alu instid0(VALU_DEP_1) | instskip(NEXT) | instid1(VALU_DEP_1)
	v_mul_lo_u32 v10, v16, s17
	v_sub_nc_u32_e32 v10, v14, v10
	s_delay_alu instid0(VALU_DEP_1) | instskip(NEXT) | instid1(VALU_DEP_1)
	v_mul_lo_u32 v15, v10, s3
	v_mad_u64_u32 v[10:11], null, v16, s2, v[15:16]
	v_mov_b32_e32 v11, v4
.LBB81_13:                              ;   in Loop: Header=BB81_3 Depth=1
	s_or_b32 exec_lo, exec_lo, s31
	s_and_saveexec_b32 s0, vcc_lo
	s_cbranch_execz .LBB81_15
; %bb.14:                               ;   in Loop: Header=BB81_3 Depth=1
	v_mul_hi_u32 v12, v14, v35
	s_delay_alu instid0(VALU_DEP_1) | instskip(SKIP_1) | instid1(VALU_DEP_2)
	v_mul_lo_u32 v13, v12, s18
	v_add_nc_u32_e32 v15, 1, v12
	v_sub_nc_u32_e32 v13, v14, v13
	s_delay_alu instid0(VALU_DEP_1) | instskip(SKIP_1) | instid1(VALU_DEP_2)
	v_subrev_nc_u32_e32 v16, s18, v13
	v_cmp_le_u32_e32 vcc_lo, s18, v13
	v_dual_cndmask_b32 v12, v12, v15 :: v_dual_cndmask_b32 v13, v13, v16
	s_delay_alu instid0(VALU_DEP_1) | instskip(NEXT) | instid1(VALU_DEP_2)
	v_add_nc_u32_e32 v15, 1, v12
	v_cmp_le_u32_e32 vcc_lo, s18, v13
	s_delay_alu instid0(VALU_DEP_2) | instskip(NEXT) | instid1(VALU_DEP_1)
	v_cndmask_b32_e32 v15, v12, v15, vcc_lo
	v_mul_lo_u32 v12, v15, s18
	s_delay_alu instid0(VALU_DEP_1) | instskip(NEXT) | instid1(VALU_DEP_1)
	v_sub_nc_u32_e32 v12, v14, v12
	v_mul_lo_u32 v14, v12, s11
	s_delay_alu instid0(VALU_DEP_1)
	v_mad_u64_u32 v[12:13], null, v15, s10, v[14:15]
	v_mov_b32_e32 v13, v4
.LBB81_15:                              ;   in Loop: Header=BB81_3 Depth=1
	s_or_b32 exec_lo, exec_lo, s0
	v_mov_b32_e32 v14, 0
	v_dual_mov_b32 v15, 0 :: v_dual_add_nc_u32 v18, 3, v0
	v_cmp_lt_i32_e32 vcc_lo, 3, v36
	s_delay_alu instid0(VALU_DEP_2)
	v_dual_mov_b32 v17, v15 :: v_dual_mov_b32 v16, v14
	s_and_saveexec_b32 s31, vcc_lo
	s_cbranch_execz .LBB81_17
; %bb.16:                               ;   in Loop: Header=BB81_3 Depth=1
	v_mul_hi_u32 v16, v18, v34
	s_delay_alu instid0(VALU_DEP_1) | instskip(SKIP_1) | instid1(VALU_DEP_2)
	v_mul_lo_u32 v17, v16, s17
	v_add_nc_u32_e32 v19, 1, v16
	v_sub_nc_u32_e32 v17, v18, v17
	s_delay_alu instid0(VALU_DEP_1) | instskip(SKIP_1) | instid1(VALU_DEP_1)
	v_subrev_nc_u32_e32 v20, s17, v17
	v_cmp_le_u32_e64 s0, s17, v17
	v_cndmask_b32_e64 v16, v16, v19, s0
	s_delay_alu instid0(VALU_DEP_3) | instskip(NEXT) | instid1(VALU_DEP_2)
	v_cndmask_b32_e64 v17, v17, v20, s0
	v_add_nc_u32_e32 v19, 1, v16
	s_delay_alu instid0(VALU_DEP_2) | instskip(NEXT) | instid1(VALU_DEP_1)
	v_cmp_le_u32_e64 s0, s17, v17
	v_cndmask_b32_e64 v20, v16, v19, s0
	s_delay_alu instid0(VALU_DEP_1) | instskip(NEXT) | instid1(VALU_DEP_1)
	v_mul_lo_u32 v16, v20, s17
	v_sub_nc_u32_e32 v16, v18, v16
	s_delay_alu instid0(VALU_DEP_1) | instskip(NEXT) | instid1(VALU_DEP_1)
	v_mul_lo_u32 v19, v16, s3
	v_mad_u64_u32 v[16:17], null, v20, s2, v[19:20]
	v_mov_b32_e32 v17, v4
.LBB81_17:                              ;   in Loop: Header=BB81_3 Depth=1
	s_or_b32 exec_lo, exec_lo, s31
	s_and_saveexec_b32 s0, vcc_lo
	s_cbranch_execz .LBB81_19
; %bb.18:                               ;   in Loop: Header=BB81_3 Depth=1
	v_mul_hi_u32 v14, v18, v35
	s_delay_alu instid0(VALU_DEP_1) | instskip(SKIP_1) | instid1(VALU_DEP_2)
	v_mul_lo_u32 v15, v14, s18
	v_add_nc_u32_e32 v19, 1, v14
	v_sub_nc_u32_e32 v15, v18, v15
	s_delay_alu instid0(VALU_DEP_1) | instskip(SKIP_1) | instid1(VALU_DEP_2)
	v_subrev_nc_u32_e32 v20, s18, v15
	v_cmp_le_u32_e32 vcc_lo, s18, v15
	v_dual_cndmask_b32 v14, v14, v19 :: v_dual_cndmask_b32 v15, v15, v20
	s_delay_alu instid0(VALU_DEP_1) | instskip(NEXT) | instid1(VALU_DEP_2)
	v_add_nc_u32_e32 v19, 1, v14
	v_cmp_le_u32_e32 vcc_lo, s18, v15
	s_delay_alu instid0(VALU_DEP_2) | instskip(NEXT) | instid1(VALU_DEP_1)
	v_cndmask_b32_e32 v19, v14, v19, vcc_lo
	v_mul_lo_u32 v14, v19, s18
	s_delay_alu instid0(VALU_DEP_1) | instskip(NEXT) | instid1(VALU_DEP_1)
	v_sub_nc_u32_e32 v14, v18, v14
	v_mul_lo_u32 v18, v14, s11
	s_delay_alu instid0(VALU_DEP_1)
	v_mad_u64_u32 v[14:15], null, v19, s10, v[18:19]
	v_mov_b32_e32 v15, v4
.LBB81_19:                              ;   in Loop: Header=BB81_3 Depth=1
	s_or_b32 exec_lo, exec_lo, s0
	s_delay_alu instid0(VALU_DEP_1) | instskip(SKIP_3) | instid1(VALU_DEP_3)
	v_lshlrev_b64 v[14:15], 2, v[14:15]
	s_waitcnt lgkmcnt(0)
	v_dual_mov_b32 v21, s7 :: v_dual_mov_b32 v20, s6
	v_dual_mov_b32 v23, s5 :: v_dual_mov_b32 v22, s4
	v_add_co_u32 v14, vcc_lo, s8, v14
	s_delay_alu instid0(VALU_DEP_4)
	v_add_co_ci_u32_e32 v15, vcc_lo, s9, v15, vcc_lo
	s_and_not1_b32 vcc_lo, exec_lo, s19
	global_load_b32 v37, v[14:15], off
	s_cbranch_vccnz .LBB81_21
; %bb.20:                               ;   in Loop: Header=BB81_3 Depth=1
	v_dual_mov_b32 v15, s7 :: v_dual_mov_b32 v14, s6
	v_dual_mov_b32 v19, s5 :: v_dual_mov_b32 v18, s4
	flat_load_b64 v[14:15], v[14:15]
	flat_load_b64 v[22:23], v[18:19]
	s_waitcnt vmcnt(1) lgkmcnt(1)
	v_add_co_u32 v20, vcc_lo, v14, s14
	v_add_co_ci_u32_e32 v21, vcc_lo, s15, v15, vcc_lo
.LBB81_21:                              ;   in Loop: Header=BB81_3 Depth=1
	s_delay_alu instid0(VALU_DEP_1)
	v_alignbit_b32 v24, v21, v20, 2
	v_lshrrev_b32_e32 v18, 2, v21
	s_waitcnt vmcnt(0) lgkmcnt(0)
	v_add_nc_u32_e32 v39, 0xbb67ae85, v23
	v_add_nc_u32_e32 v40, 0x3c6ef372, v22
	;; [unrolled: 1-line block ×3, first 2 shown]
	v_add_co_u32 v19, vcc_lo, v24, 1
	s_delay_alu instid0(VALU_DEP_1) | instskip(SKIP_4) | instid1(VALU_DEP_4)
	v_cndmask_b32_e64 v14, 0, 1, vcc_lo
	v_add_co_ci_u32_e32 v21, vcc_lo, 0, v18, vcc_lo
	v_xor3_b32 v26, v33, v22, v18
	v_add_nc_u32_e32 v43, 0xed9eba14, v23
	v_add_nc_u32_e32 v44, 0x1fd5c5a3, v23
	v_cmp_eq_u32_e32 vcc_lo, 0, v21
	s_mov_b32 s0, exec_lo
	v_dual_cndmask_b32 v25, 0, v14 :: v_dual_add_nc_u32 v42, 0x32370b8f, v23
	v_mad_u64_u32 v[14:15], null, 0xd2511f53, v19, 0
	v_mad_u64_u32 v[18:19], null, 0xd2511f53, v24, 0
	s_delay_alu instid0(VALU_DEP_3) | instskip(NEXT) | instid1(VALU_DEP_3)
	v_add_nc_u32_e32 v28, v25, v1
	v_xor_b32_e32 v15, v15, v23
	s_delay_alu instid0(VALU_DEP_2) | instskip(SKIP_1) | instid1(VALU_DEP_1)
	v_cmp_eq_u32_e32 vcc_lo, 0, v28
	v_dual_cndmask_b32 v25, 0, v25 :: v_dual_add_nc_u32 v38, 0x9e3779b9, v22
	v_xor_b32_e32 v15, v25, v15
	v_mad_u64_u32 v[24:25], null, 0xd2511f53, v26, 0
	v_mad_u64_u32 v[26:27], null, 0xcd9e8d57, v28, 0
	s_delay_alu instid0(VALU_DEP_3) | instskip(SKIP_1) | instid1(VALU_DEP_4)
	v_mad_u64_u32 v[28:29], null, 0xcd9e8d57, v15, 0
	v_xor_b32_e32 v15, v19, v23
	v_xor3_b32 v30, v39, v25, v18
	s_delay_alu instid0(VALU_DEP_2) | instskip(SKIP_2) | instid1(VALU_DEP_4)
	v_mad_u64_u32 v[18:19], null, 0xcd9e8d57, v15, 0
	v_xor3_b32 v15, v27, v22, v21
	v_xor3_b32 v21, v38, v29, v26
	v_mad_u64_u32 v[25:26], null, 0xcd9e8d57, v30, 0
	s_delay_alu instid0(VALU_DEP_3) | instskip(NEXT) | instid1(VALU_DEP_3)
	v_mad_u64_u32 v[29:30], null, 0xd2511f53, v15, 0
	v_mad_u64_u32 v[31:32], null, 0xd2511f53, v21, 0
	v_xor3_b32 v15, v2, v19, v38
	s_delay_alu instid0(VALU_DEP_4) | instskip(SKIP_2) | instid1(VALU_DEP_4)
	v_xor3_b32 v26, v40, v26, v18
	v_add_nc_u32_e32 v21, 0xdaa66d2b, v22
	v_xor3_b32 v30, v39, v30, v14
	v_mad_u64_u32 v[18:19], null, 0xd2511f53, v15, 0
	v_xor3_b32 v32, v41, v32, v29
	v_mad_u64_u32 v[14:15], null, 0xd2511f53, v26, 0
	s_delay_alu instid0(VALU_DEP_4) | instskip(NEXT) | instid1(VALU_DEP_3)
	v_mad_u64_u32 v[26:27], null, 0xcd9e8d57, v30, 0
	v_mad_u64_u32 v[29:30], null, 0xcd9e8d57, v32, 0
	v_xor3_b32 v24, v41, v19, v24
	v_add_nc_u32_e32 v32, 0x78dde6e4, v22
	v_xor3_b32 v15, v42, v15, v18
	s_delay_alu instid0(VALU_DEP_3) | instskip(SKIP_2) | instid1(VALU_DEP_4)
	v_mad_u64_u32 v[18:19], null, 0xcd9e8d57, v24, 0
	v_xor3_b32 v24, v40, v27, v28
	v_xor3_b32 v28, v21, v30, v26
	v_mad_u64_u32 v[26:27], null, 0xcd9e8d57, v15, 0
	s_delay_alu instid0(VALU_DEP_3) | instskip(NEXT) | instid1(VALU_DEP_3)
	v_mad_u64_u32 v[38:39], null, 0xd2511f53, v24, 0
	v_mad_u64_u32 v[40:41], null, 0xd2511f53, v28, 0
	v_xor3_b32 v15, v21, v19, v25
	s_delay_alu instid0(VALU_DEP_4) | instskip(SKIP_2) | instid1(VALU_DEP_4)
	v_xor3_b32 v24, v32, v27, v18
	v_add_nc_u32_e32 v21, 0x1715609d, v22
	v_add_nc_u32_e32 v28, 0xa9066899, v23
	v_mad_u64_u32 v[18:19], null, 0xd2511f53, v15, 0
	v_xor3_b32 v15, v42, v39, v31
	v_xor3_b32 v27, v43, v41, v38
	v_mad_u64_u32 v[30:31], null, 0xd2511f53, v24, 0
	v_add_nc_u32_e32 v39, 0xb54cda56, v22
	s_delay_alu instid0(VALU_DEP_4) | instskip(NEXT) | instid1(VALU_DEP_4)
	v_mad_u64_u32 v[24:25], null, 0xcd9e8d57, v15, 0
	v_mad_u64_u32 v[41:42], null, 0xcd9e8d57, v27, 0
	v_xor3_b32 v19, v43, v19, v14
	v_xor3_b32 v27, v28, v31, v18
	v_add_nc_u32_e32 v38, 0x646e171e, v23
	v_xor3_b32 v29, v32, v25, v29
	s_delay_alu instid0(VALU_DEP_4) | instskip(SKIP_2) | instid1(VALU_DEP_4)
	v_mad_u64_u32 v[14:15], null, 0xcd9e8d57, v19, 0
	v_xor3_b32 v31, v21, v42, v24
	v_mad_u64_u32 v[18:19], null, 0xcd9e8d57, v27, 0
	v_mad_u64_u32 v[24:25], null, 0xd2511f53, v29, 0
	s_delay_alu instid0(VALU_DEP_3) | instskip(SKIP_3) | instid1(VALU_DEP_3)
	v_mad_u64_u32 v[42:43], null, 0xd2511f53, v31, 0
	v_xor3_b32 v21, v21, v15, v26
	v_add_nc_u32_e32 v29, 0x5384540f, v22
	v_xor3_b32 v19, v39, v19, v14
	v_mad_u64_u32 v[14:15], null, 0xd2511f53, v21, 0
	v_xor3_b32 v21, v28, v25, v40
	v_xor3_b32 v26, v38, v43, v24
	s_delay_alu instid0(VALU_DEP_4) | instskip(NEXT) | instid1(VALU_DEP_3)
	v_mad_u64_u32 v[24:25], null, 0xd2511f53, v19, 0
	v_mad_u64_u32 v[31:32], null, 0xcd9e8d57, v21, 0
	s_delay_alu instid0(VALU_DEP_3) | instskip(SKIP_1) | instid1(VALU_DEP_4)
	v_mad_u64_u32 v[27:28], null, 0xcd9e8d57, v26, 0
	v_xor3_b32 v19, v38, v15, v30
	v_xor3_b32 v21, v44, v25, v14
	v_add_co_u32 v38, null, 0xf1bbcdc8, v22
	s_delay_alu instid0(VALU_DEP_3) | instskip(SKIP_4) | instid1(VALU_DEP_4)
	v_mad_u64_u32 v[14:15], null, 0xcd9e8d57, v19, 0
	v_xor3_b32 v19, v39, v32, v41
	v_xor3_b32 v28, v29, v28, v31
	v_mad_u64_u32 v[25:26], null, 0xcd9e8d57, v21, 0
	v_add_nc_u32_e32 v39, 0xdb3d7428, v23
	v_mad_u64_u32 v[40:41], null, 0xd2511f53, v19, 0
	s_delay_alu instid0(VALU_DEP_4) | instskip(SKIP_4) | instid1(VALU_DEP_4)
	v_mad_u64_u32 v[30:31], null, 0xd2511f53, v28, 0
	v_xor3_b32 v15, v29, v15, v18
	v_xor3_b32 v18, v38, v26, v14
	v_add_nc_u32_e32 v26, 0x8ff34781, v22
	v_xor3_b32 v19, v44, v41, v42
	v_mad_u64_u32 v[28:29], null, 0xd2511f53, v15, 0
	v_xor3_b32 v21, v39, v31, v40
	v_mad_u64_u32 v[14:15], null, 0xd2511f53, v18, 0
	s_delay_alu instid0(VALU_DEP_4) | instskip(NEXT) | instid1(VALU_DEP_3)
	v_mad_u64_u32 v[31:32], null, 0xcd9e8d57, v19, 0
	v_mad_u64_u32 v[18:19], null, 0xcd9e8d57, v21, 0
	v_add_nc_u32_e32 v40, 0x96a522ad, v23
	v_and_b32_e32 v23, 3, v20
                                        ; implicit-def: $vgpr21
	s_delay_alu instid0(VALU_DEP_2) | instskip(NEXT) | instid1(VALU_DEP_4)
	v_xor3_b32 v22, v15, v28, v40
	v_xor3_b32 v15, v19, v31, v26
	s_delay_alu instid0(VALU_DEP_3)
	v_cmpx_lt_i32_e32 1, v23
	s_xor_b32 s0, exec_lo, s0
	s_cbranch_execz .LBB81_27
; %bb.22:                               ;   in Loop: Header=BB81_3 Depth=1
	s_mov_b32 s31, exec_lo
                                        ; implicit-def: $vgpr21
	v_cmpx_lt_i32_e32 2, v23
	s_xor_b32 s31, exec_lo, s31
; %bb.23:                               ;   in Loop: Header=BB81_3 Depth=1
	v_xor3_b32 v19, v38, v32, v27
                                        ; implicit-def: $vgpr22
	s_delay_alu instid0(VALU_DEP_1) | instskip(NEXT) | instid1(VALU_DEP_1)
	v_mul_hi_u32 v19, 0xd2511f53, v19
	v_xor3_b32 v21, v19, v30, v40
; %bb.24:                               ;   in Loop: Header=BB81_3 Depth=1
	s_and_not1_saveexec_b32 s31, s31
; %bb.25:                               ;   in Loop: Header=BB81_3 Depth=1
	v_dual_mov_b32 v21, v18 :: v_dual_mov_b32 v18, v15
	v_mov_b32_e32 v15, v14
	v_mov_b32_e32 v14, v22
; %bb.26:                               ;   in Loop: Header=BB81_3 Depth=1
	s_or_b32 exec_lo, exec_lo, s31
                                        ; implicit-def: $vgpr24_vgpr25
                                        ; implicit-def: $vgpr23
                                        ; implicit-def: $vgpr22
                                        ; implicit-def: $vgpr39
                                        ; implicit-def: $vgpr28_vgpr29
                                        ; implicit-def: $vgpr25_vgpr26
                                        ; implicit-def: $vgpr26
.LBB81_27:                              ;   in Loop: Header=BB81_3 Depth=1
	s_and_not1_saveexec_b32 s0, s0
	s_cbranch_execz .LBB81_31
; %bb.28:                               ;   in Loop: Header=BB81_3 Depth=1
	v_xor3_b32 v18, v39, v29, v24
	v_cmp_eq_u32_e32 vcc_lo, 1, v23
	s_delay_alu instid0(VALU_DEP_2) | instskip(SKIP_2) | instid1(VALU_DEP_3)
	v_mad_u64_u32 v[19:20], null, 0xcd9e8d57, v18, 0
	v_mov_b32_e32 v21, v14
	v_mov_b32_e32 v18, v22
	v_xor3_b32 v23, v20, v25, v26
	s_delay_alu instid0(VALU_DEP_4)
	v_mov_b32_e32 v20, v19
	s_and_saveexec_b32 s31, vcc_lo
; %bb.29:                               ;   in Loop: Header=BB81_3 Depth=1
	v_dual_mov_b32 v21, v15 :: v_dual_mov_b32 v18, v14
	v_dual_mov_b32 v20, v22 :: v_dual_mov_b32 v23, v19
; %bb.30:                               ;   in Loop: Header=BB81_3 Depth=1
	s_or_b32 exec_lo, exec_lo, s31
	s_delay_alu instid0(VALU_DEP_1)
	v_dual_mov_b32 v14, v23 :: v_dual_mov_b32 v15, v20
.LBB81_31:                              ;   in Loop: Header=BB81_3 Depth=1
	s_or_b32 exec_lo, exec_lo, s0
	v_min_i32_e32 v19, 4, v36
	s_mov_b32 s31, 0
	s_mov_b32 s38, 0
                                        ; implicit-def: $sgpr33
                                        ; implicit-def: $sgpr34
                                        ; implicit-def: $sgpr35
	s_mov_b32 s0, exec_lo
	s_delay_alu instid0(VALU_DEP_1)
	v_cmpx_lt_i32_e32 2, v19
	s_xor_b32 s36, exec_lo, s0
	s_cbranch_execz .LBB81_41
; %bb.32:                               ;   in Loop: Header=BB81_3 Depth=1
	s_mov_b32 s35, -1
	s_mov_b32 s34, exec_lo
                                        ; implicit-def: $sgpr33
                                        ; implicit-def: $sgpr37
	v_cmpx_lt_i32_e32 3, v19
	s_cbranch_execz .LBB81_36
; %bb.33:                               ;   in Loop: Header=BB81_3 Depth=1
	v_cmp_le_f32_e32 vcc_lo, 0, v37
	v_cmp_ge_f32_e64 s0, 1.0, v37
	s_mov_b32 s33, 0
	s_delay_alu instid0(VALU_DEP_1)
	s_and_b32 s37, vcc_lo, s0
	s_mov_b32 s0, 0
	s_and_saveexec_b32 s35, s37
	s_cbranch_execz .LBB81_35
; %bb.34:                               ;   in Loop: Header=BB81_3 Depth=1
	v_cvt_f32_u32_e32 v20, v21
	v_lshlrev_b64 v[16:17], 2, v[16:17]
	s_mov_b32 s0, exec_lo
	s_delay_alu instid0(VALU_DEP_2) | instskip(NEXT) | instid1(VALU_DEP_2)
	v_fmaak_f32 v20, 0x2f800000, v20, 0x2f800000
	v_add_co_u32 v16, vcc_lo, s12, v16
	s_delay_alu instid0(VALU_DEP_3) | instskip(NEXT) | instid1(VALU_DEP_3)
	v_add_co_ci_u32_e32 v17, vcc_lo, s13, v17, vcc_lo
	v_cmp_le_f32_e32 vcc_lo, v20, v37
	v_cndmask_b32_e64 v20, 0, 1.0, vcc_lo
	global_store_b32 v[16:17], v20, off
.LBB81_35:                              ;   in Loop: Header=BB81_3 Depth=1
	s_or_b32 exec_lo, exec_lo, s35
	s_mov_b32 s37, -1
	s_or_not1_b32 s35, s0, exec_lo
.LBB81_36:                              ;   in Loop: Header=BB81_3 Depth=1
	s_or_b32 exec_lo, exec_lo, s34
	s_mov_b32 s0, 0
	s_mov_b32 s38, s33
	s_and_saveexec_b32 s34, s35
	s_cbranch_execz .LBB81_40
; %bb.37:                               ;   in Loop: Header=BB81_3 Depth=1
	v_lshlrev_b64 v[12:13], 2, v[12:13]
	s_delay_alu instid0(VALU_DEP_1) | instskip(NEXT) | instid1(VALU_DEP_2)
	v_add_co_u32 v12, vcc_lo, s8, v12
	v_add_co_ci_u32_e32 v13, vcc_lo, s9, v13, vcc_lo
	global_load_b32 v12, v[12:13], off
	s_waitcnt vmcnt(0)
	v_cmp_le_f32_e32 vcc_lo, 0, v12
	v_cmp_ge_f32_e64 s0, 1.0, v12
	s_delay_alu instid0(VALU_DEP_1) | instskip(SKIP_2) | instid1(SALU_CYCLE_1)
	s_and_b32 s35, vcc_lo, s0
	s_mov_b32 s0, 0
	s_and_saveexec_b32 s38, s35
	s_xor_b32 s35, exec_lo, s38
	s_cbranch_execz .LBB81_39
; %bb.38:                               ;   in Loop: Header=BB81_3 Depth=1
	v_cvt_f32_u32_e32 v13, v18
	v_lshlrev_b64 v[10:11], 2, v[10:11]
	s_mov_b32 s0, exec_lo
	s_delay_alu instid0(VALU_DEP_2) | instskip(NEXT) | instid1(VALU_DEP_2)
	v_fmaak_f32 v13, 0x2f800000, v13, 0x2f800000
	v_add_co_u32 v10, vcc_lo, s12, v10
	s_delay_alu instid0(VALU_DEP_3) | instskip(NEXT) | instid1(VALU_DEP_3)
	v_add_co_ci_u32_e32 v11, vcc_lo, s13, v11, vcc_lo
	v_cmp_le_f32_e32 vcc_lo, v13, v12
	v_cndmask_b32_e64 v12, 0, 1.0, vcc_lo
	global_store_b32 v[10:11], v12, off
.LBB81_39:                              ;   in Loop: Header=BB81_3 Depth=1
	s_or_b32 exec_lo, exec_lo, s35
	s_delay_alu instid0(SALU_CYCLE_1)
	s_and_not1_b32 s38, s33, exec_lo
	s_or_b32 s33, s33, exec_lo
	s_and_not1_b32 s37, s37, exec_lo
	s_and_b32 s0, s0, exec_lo
.LBB81_40:                              ;   in Loop: Header=BB81_3 Depth=1
	s_or_b32 exec_lo, exec_lo, s34
	s_delay_alu instid0(SALU_CYCLE_1)
	s_and_b32 s35, s38, exec_lo
	s_and_b32 s34, s33, exec_lo
	;; [unrolled: 1-line block ×4, first 2 shown]
.LBB81_41:                              ;   in Loop: Header=BB81_3 Depth=1
	s_and_not1_saveexec_b32 s0, s36
; %bb.42:                               ;   in Loop: Header=BB81_3 Depth=1
	v_cmp_lt_i32_e32 vcc_lo, 1, v19
	s_and_not1_b32 s36, s38, exec_lo
	s_mov_b32 s31, exec_lo
	s_and_not1_b32 s35, s35, exec_lo
	s_and_not1_b32 s34, s34, exec_lo
	s_and_b32 s37, vcc_lo, exec_lo
	s_and_not1_b32 s33, s33, exec_lo
	s_or_b32 s38, s36, s37
; %bb.43:                               ;   in Loop: Header=BB81_3 Depth=1
	s_or_b32 exec_lo, exec_lo, s0
	s_mov_b32 s36, 0
	s_mov_b32 s0, 0
	;; [unrolled: 1-line block ×3, first 2 shown]
	s_and_saveexec_b32 s39, s38
	s_cbranch_execnz .LBB81_46
; %bb.44:                               ;   in Loop: Header=BB81_3 Depth=1
	s_or_b32 exec_lo, exec_lo, s39
	s_and_saveexec_b32 s38, s31
	s_cbranch_execnz .LBB81_49
.LBB81_45:                              ;   in Loop: Header=BB81_3 Depth=1
	s_or_b32 exec_lo, exec_lo, s38
	s_and_saveexec_b32 s31, s0
	s_cbranch_execnz .LBB81_50
	s_branch .LBB81_53
.LBB81_46:                              ;   in Loop: Header=BB81_3 Depth=1
	v_lshlrev_b64 v[8:9], 2, v[8:9]
	s_delay_alu instid0(VALU_DEP_1) | instskip(NEXT) | instid1(VALU_DEP_2)
	v_add_co_u32 v8, vcc_lo, s8, v8
	v_add_co_ci_u32_e32 v9, vcc_lo, s9, v9, vcc_lo
	global_load_b32 v8, v[8:9], off
	s_waitcnt vmcnt(0)
	v_cmp_le_f32_e32 vcc_lo, 0, v8
	v_cmp_ge_f32_e64 s0, 1.0, v8
	s_delay_alu instid0(VALU_DEP_1) | instskip(SKIP_2) | instid1(SALU_CYCLE_1)
	s_and_b32 s37, vcc_lo, s0
	s_mov_b32 s0, 0
	s_and_saveexec_b32 s38, s37
	s_xor_b32 s37, exec_lo, s38
	s_cbranch_execz .LBB81_48
; %bb.47:                               ;   in Loop: Header=BB81_3 Depth=1
	v_cvt_f32_u32_e32 v9, v15
	v_lshlrev_b64 v[6:7], 2, v[6:7]
	s_mov_b32 s0, exec_lo
	s_delay_alu instid0(VALU_DEP_2) | instskip(NEXT) | instid1(VALU_DEP_2)
	v_fmaak_f32 v9, 0x2f800000, v9, 0x2f800000
	v_add_co_u32 v6, vcc_lo, s12, v6
	s_delay_alu instid0(VALU_DEP_3) | instskip(NEXT) | instid1(VALU_DEP_3)
	v_add_co_ci_u32_e32 v7, vcc_lo, s13, v7, vcc_lo
	v_cmp_le_f32_e32 vcc_lo, v9, v8
	v_cndmask_b32_e64 v8, 0, 1.0, vcc_lo
	global_store_b32 v[6:7], v8, off
.LBB81_48:                              ;   in Loop: Header=BB81_3 Depth=1
	s_or_b32 exec_lo, exec_lo, s37
	s_delay_alu instid0(SALU_CYCLE_1)
	s_and_not1_b32 s37, s35, exec_lo
	s_or_b32 s35, s35, exec_lo
	s_and_not1_b32 s34, s34, exec_lo
	s_and_not1_b32 s33, s33, exec_lo
	s_and_b32 s0, s0, exec_lo
	s_and_not1_b32 s31, s31, exec_lo
	s_or_b32 exec_lo, exec_lo, s39
	s_and_saveexec_b32 s38, s31
	s_cbranch_execz .LBB81_45
.LBB81_49:                              ;   in Loop: Header=BB81_3 Depth=1
	v_cmp_eq_u32_e32 vcc_lo, 1, v19
	s_and_not1_b32 s0, s0, exec_lo
	s_mov_b32 s36, exec_lo
	s_and_not1_b32 s37, s37, exec_lo
	s_and_not1_b32 s35, s35, exec_lo
	s_and_b32 s31, vcc_lo, exec_lo
	s_and_not1_b32 s34, s34, exec_lo
	s_and_not1_b32 s33, s33, exec_lo
	s_or_b32 s0, s0, s31
	s_or_b32 exec_lo, exec_lo, s38
	s_and_saveexec_b32 s31, s0
	s_cbranch_execz .LBB81_53
.LBB81_50:                              ;   in Loop: Header=BB81_3 Depth=1
	v_lshlrev_b64 v[6:7], 2, v[3:4]
	s_mov_b32 s38, 0
	s_delay_alu instid0(VALU_DEP_1) | instskip(NEXT) | instid1(VALU_DEP_2)
	v_add_co_u32 v6, vcc_lo, s8, v6
	v_add_co_ci_u32_e32 v7, vcc_lo, s9, v7, vcc_lo
	global_load_b32 v3, v[6:7], off
	s_waitcnt vmcnt(0)
	v_cmp_le_f32_e32 vcc_lo, 0, v3
	v_cmp_ge_f32_e64 s0, 1.0, v3
	s_delay_alu instid0(VALU_DEP_1) | instskip(NEXT) | instid1(SALU_CYCLE_1)
	s_and_b32 s39, vcc_lo, s0
	s_and_saveexec_b32 s0, s39
	s_cbranch_execz .LBB81_52
; %bb.51:                               ;   in Loop: Header=BB81_3 Depth=1
	v_cvt_f32_u32_e32 v7, v14
	v_mov_b32_e32 v6, v4
	s_mov_b32 s38, exec_lo
	s_delay_alu instid0(VALU_DEP_2) | instskip(NEXT) | instid1(VALU_DEP_2)
	v_fmaak_f32 v7, 0x2f800000, v7, 0x2f800000
	v_lshlrev_b64 v[5:6], 2, v[5:6]
	s_delay_alu instid0(VALU_DEP_1) | instskip(NEXT) | instid1(VALU_DEP_2)
	v_add_co_u32 v5, vcc_lo, s12, v5
	v_add_co_ci_u32_e32 v6, vcc_lo, s13, v6, vcc_lo
	s_delay_alu instid0(VALU_DEP_4)
	v_cmp_le_f32_e32 vcc_lo, v7, v3
	v_cndmask_b32_e64 v3, 0, 1.0, vcc_lo
	global_store_b32 v[5:6], v3, off
.LBB81_52:                              ;   in Loop: Header=BB81_3 Depth=1
	s_or_b32 exec_lo, exec_lo, s0
	s_delay_alu instid0(SALU_CYCLE_1)
	s_and_not1_b32 s0, s36, exec_lo
	s_and_b32 s36, s38, exec_lo
	s_or_b32 s37, s37, exec_lo
	s_and_not1_b32 s35, s35, exec_lo
	s_and_not1_b32 s34, s34, exec_lo
	;; [unrolled: 1-line block ×3, first 2 shown]
	s_or_b32 s36, s0, s36
.LBB81_53:                              ;   in Loop: Header=BB81_3 Depth=1
	s_or_b32 exec_lo, exec_lo, s31
	s_delay_alu instid0(SALU_CYCLE_1)
	s_and_not1_b32 s30, s30, exec_lo
	s_and_b32 s31, s37, exec_lo
	s_and_not1_b32 s28, s28, exec_lo
	s_and_b32 s35, s35, exec_lo
	s_or_b32 s30, s30, s31
	s_and_not1_b32 s29, s29, exec_lo
	s_and_b32 s31, s34, exec_lo
	s_and_not1_b32 s27, s27, exec_lo
	s_and_b32 s33, s33, exec_lo
	s_mov_b32 s0, -1
	s_or_b32 s28, s28, s35
	s_or_b32 s29, s29, s31
	;; [unrolled: 1-line block ×3, first 2 shown]
	s_and_saveexec_b32 s31, s36
	s_cbranch_execz .LBB81_2
; %bb.54:                               ;   in Loop: Header=BB81_3 Depth=1
	v_add_nc_u32_e32 v0, s24, v0
	v_subrev_nc_u32_e32 v36, s24, v36
	s_and_not1_b32 s30, s30, exec_lo
	s_and_not1_b32 s28, s28, exec_lo
	;; [unrolled: 1-line block ×3, first 2 shown]
	v_cmp_le_u32_e32 vcc_lo, s16, v0
	s_and_not1_b32 s27, s27, exec_lo
	s_or_not1_b32 s0, vcc_lo, exec_lo
	s_branch .LBB81_2
.LBB81_55:
	s_or_b32 exec_lo, exec_lo, s22
	s_xor_b32 s4, s25, -1
	s_xor_b32 s5, s26, -1
	;; [unrolled: 1-line block ×3, first 2 shown]
	s_mov_b32 s2, 0
	s_and_saveexec_b32 s3, s0
	s_delay_alu instid0(SALU_CYCLE_1)
	s_xor_b32 s0, exec_lo, s3
	s_cbranch_execz .LBB81_64
; %bb.56:
	s_mov_b32 s3, 0
	s_and_saveexec_b32 s2, s5
	s_delay_alu instid0(SALU_CYCLE_1)
	s_xor_b32 s2, exec_lo, s2
	s_cbranch_execz .LBB81_62
; %bb.57:
	s_and_saveexec_b32 s5, s4
	s_delay_alu instid0(SALU_CYCLE_1)
	s_xor_b32 s4, exec_lo, s5
	s_cbranch_execz .LBB81_60
; %bb.58:
	s_and_saveexec_b32 s5, s1
	s_delay_alu instid0(SALU_CYCLE_1)
	s_xor_b32 s1, exec_lo, s5
	s_cbranch_execnz .LBB81_78
.LBB81_59:
	s_or_b32 exec_lo, exec_lo, s1
	s_delay_alu instid0(SALU_CYCLE_1)
	s_and_b32 s3, s3, exec_lo
.LBB81_60:
	s_and_not1_saveexec_b32 s1, s4
	s_cbranch_execnz .LBB81_74
.LBB81_61:
	s_or_b32 exec_lo, exec_lo, s1
	s_delay_alu instid0(SALU_CYCLE_1)
	s_and_b32 s3, s3, exec_lo
.LBB81_62:
	s_and_not1_saveexec_b32 s1, s2
	s_cbranch_execnz .LBB81_70
.LBB81_63:
	s_or_b32 exec_lo, exec_lo, s1
	s_delay_alu instid0(SALU_CYCLE_1)
	s_and_b32 s2, s3, exec_lo
.LBB81_64:
	s_and_not1_saveexec_b32 s0, s0
	s_cbranch_execnz .LBB81_68
; %bb.65:
	s_or_b32 exec_lo, exec_lo, s0
	s_delay_alu instid0(SALU_CYCLE_1)
	s_and_b32 exec_lo, exec_lo, s2
.LBB81_66:
	; divergent unreachable
.LBB81_67:
	s_nop 0
	s_sendmsg sendmsg(MSG_DEALLOC_VGPRS)
	s_endpgm
.LBB81_68:
	s_cbranch_execnz .LBB81_72
; %bb.69:
	s_or_b32 s2, s2, exec_lo
	s_or_b32 exec_lo, exec_lo, s0
	s_delay_alu instid0(SALU_CYCLE_1)
	s_and_b32 exec_lo, exec_lo, s2
	s_cbranch_execnz .LBB81_66
	s_branch .LBB81_67
.LBB81_70:
	s_cbranch_execnz .LBB81_76
; %bb.71:
	s_or_b32 s3, s3, exec_lo
	s_branch .LBB81_63
.LBB81_72:
	s_trap 2
	s_sendmsg_rtn_b32 s0, sendmsg(MSG_RTN_GET_DOORBELL)
	s_mov_b32 ttmp2, m0
	s_waitcnt lgkmcnt(0)
	s_and_b32 s0, s0, 0x3ff
	s_delay_alu instid0(SALU_CYCLE_1) | instskip(NEXT) | instid1(SALU_CYCLE_1)
	s_bitset1_b32 s0, 10
	s_mov_b32 m0, s0
	s_sendmsg sendmsg(MSG_INTERRUPT)
	s_mov_b32 m0, ttmp2
.LBB81_73:                              ; =>This Inner Loop Header: Depth=1
	s_sethalt 5
	s_branch .LBB81_73
.LBB81_74:
	s_cbranch_execnz .LBB81_80
; %bb.75:
	s_or_b32 s3, s3, exec_lo
	s_branch .LBB81_61
.LBB81_76:
	s_trap 2
	s_sendmsg_rtn_b32 s0, sendmsg(MSG_RTN_GET_DOORBELL)
	s_mov_b32 ttmp2, m0
	s_waitcnt lgkmcnt(0)
	s_and_b32 s0, s0, 0x3ff
	s_delay_alu instid0(SALU_CYCLE_1) | instskip(NEXT) | instid1(SALU_CYCLE_1)
	s_bitset1_b32 s0, 10
	s_mov_b32 m0, s0
	s_sendmsg sendmsg(MSG_INTERRUPT)
	s_mov_b32 m0, ttmp2
.LBB81_77:                              ; =>This Inner Loop Header: Depth=1
	s_sethalt 5
	s_branch .LBB81_77
.LBB81_78:
	s_cbranch_execnz .LBB81_82
; %bb.79:
	s_mov_b32 s3, exec_lo
	s_branch .LBB81_59
.LBB81_80:
	s_trap 2
	s_sendmsg_rtn_b32 s0, sendmsg(MSG_RTN_GET_DOORBELL)
	s_mov_b32 ttmp2, m0
	s_waitcnt lgkmcnt(0)
	s_and_b32 s0, s0, 0x3ff
	s_delay_alu instid0(SALU_CYCLE_1) | instskip(NEXT) | instid1(SALU_CYCLE_1)
	s_bitset1_b32 s0, 10
	s_mov_b32 m0, s0
	s_sendmsg sendmsg(MSG_INTERRUPT)
	s_mov_b32 m0, ttmp2
.LBB81_81:                              ; =>This Inner Loop Header: Depth=1
	s_sethalt 5
	s_branch .LBB81_81
.LBB81_82:
	s_trap 2
	s_sendmsg_rtn_b32 s0, sendmsg(MSG_RTN_GET_DOORBELL)
	s_mov_b32 ttmp2, m0
	s_waitcnt lgkmcnt(0)
	s_and_b32 s0, s0, 0x3ff
	s_delay_alu instid0(SALU_CYCLE_1) | instskip(NEXT) | instid1(SALU_CYCLE_1)
	s_bitset1_b32 s0, 10
	s_mov_b32 m0, s0
	s_sendmsg sendmsg(MSG_INTERRUPT)
	s_mov_b32 m0, ttmp2
.LBB81_83:                              ; =>This Inner Loop Header: Depth=1
	s_sethalt 5
	s_branch .LBB81_83
	.section	.rodata,"a",@progbits
	.p2align	6, 0x0
	.amdhsa_kernel _ZN2at4cuda12_GLOBAL__N_121kernelPointwiseApply2IZNS_6native9templates4cuda28bernoulli_tensor_cuda_kernelIffEEvRKNS_10TensorBaseES9_NS_15PhiloxCudaStateEEUliRfSB_SB_SB_RKfSD_SD_SD_E_fSC_jLi2ELi2ELi4ELi512ELi2EEEvNS0_6detail10TensorInfoIT0_T2_EENSG_IT1_SI_EESI_T_
		.amdhsa_group_segment_fixed_size 0
		.amdhsa_private_segment_fixed_size 0
		.amdhsa_kernarg_size 728
		.amdhsa_user_sgpr_count 15
		.amdhsa_user_sgpr_dispatch_ptr 0
		.amdhsa_user_sgpr_queue_ptr 0
		.amdhsa_user_sgpr_kernarg_segment_ptr 1
		.amdhsa_user_sgpr_dispatch_id 0
		.amdhsa_user_sgpr_private_segment_size 0
		.amdhsa_wavefront_size32 1
		.amdhsa_uses_dynamic_stack 0
		.amdhsa_enable_private_segment 0
		.amdhsa_system_sgpr_workgroup_id_x 1
		.amdhsa_system_sgpr_workgroup_id_y 0
		.amdhsa_system_sgpr_workgroup_id_z 0
		.amdhsa_system_sgpr_workgroup_info 0
		.amdhsa_system_vgpr_workitem_id 0
		.amdhsa_next_free_vgpr 45
		.amdhsa_next_free_sgpr 40
		.amdhsa_reserve_vcc 1
		.amdhsa_float_round_mode_32 0
		.amdhsa_float_round_mode_16_64 0
		.amdhsa_float_denorm_mode_32 3
		.amdhsa_float_denorm_mode_16_64 3
		.amdhsa_dx10_clamp 1
		.amdhsa_ieee_mode 1
		.amdhsa_fp16_overflow 0
		.amdhsa_workgroup_processor_mode 1
		.amdhsa_memory_ordered 1
		.amdhsa_forward_progress 0
		.amdhsa_shared_vgpr_count 0
		.amdhsa_exception_fp_ieee_invalid_op 0
		.amdhsa_exception_fp_denorm_src 0
		.amdhsa_exception_fp_ieee_div_zero 0
		.amdhsa_exception_fp_ieee_overflow 0
		.amdhsa_exception_fp_ieee_underflow 0
		.amdhsa_exception_fp_ieee_inexact 0
		.amdhsa_exception_int_div_zero 0
	.end_amdhsa_kernel
	.section	.text._ZN2at4cuda12_GLOBAL__N_121kernelPointwiseApply2IZNS_6native9templates4cuda28bernoulli_tensor_cuda_kernelIffEEvRKNS_10TensorBaseES9_NS_15PhiloxCudaStateEEUliRfSB_SB_SB_RKfSD_SD_SD_E_fSC_jLi2ELi2ELi4ELi512ELi2EEEvNS0_6detail10TensorInfoIT0_T2_EENSG_IT1_SI_EESI_T_,"axG",@progbits,_ZN2at4cuda12_GLOBAL__N_121kernelPointwiseApply2IZNS_6native9templates4cuda28bernoulli_tensor_cuda_kernelIffEEvRKNS_10TensorBaseES9_NS_15PhiloxCudaStateEEUliRfSB_SB_SB_RKfSD_SD_SD_E_fSC_jLi2ELi2ELi4ELi512ELi2EEEvNS0_6detail10TensorInfoIT0_T2_EENSG_IT1_SI_EESI_T_,comdat
.Lfunc_end81:
	.size	_ZN2at4cuda12_GLOBAL__N_121kernelPointwiseApply2IZNS_6native9templates4cuda28bernoulli_tensor_cuda_kernelIffEEvRKNS_10TensorBaseES9_NS_15PhiloxCudaStateEEUliRfSB_SB_SB_RKfSD_SD_SD_E_fSC_jLi2ELi2ELi4ELi512ELi2EEEvNS0_6detail10TensorInfoIT0_T2_EENSG_IT1_SI_EESI_T_, .Lfunc_end81-_ZN2at4cuda12_GLOBAL__N_121kernelPointwiseApply2IZNS_6native9templates4cuda28bernoulli_tensor_cuda_kernelIffEEvRKNS_10TensorBaseES9_NS_15PhiloxCudaStateEEUliRfSB_SB_SB_RKfSD_SD_SD_E_fSC_jLi2ELi2ELi4ELi512ELi2EEEvNS0_6detail10TensorInfoIT0_T2_EENSG_IT1_SI_EESI_T_
                                        ; -- End function
	.section	.AMDGPU.csdata,"",@progbits
; Kernel info:
; codeLenInByte = 4256
; NumSgprs: 42
; NumVgprs: 45
; ScratchSize: 0
; MemoryBound: 0
; FloatMode: 240
; IeeeMode: 1
; LDSByteSize: 0 bytes/workgroup (compile time only)
; SGPRBlocks: 5
; VGPRBlocks: 5
; NumSGPRsForWavesPerEU: 42
; NumVGPRsForWavesPerEU: 45
; Occupancy: 16
; WaveLimiterHint : 1
; COMPUTE_PGM_RSRC2:SCRATCH_EN: 0
; COMPUTE_PGM_RSRC2:USER_SGPR: 15
; COMPUTE_PGM_RSRC2:TRAP_HANDLER: 0
; COMPUTE_PGM_RSRC2:TGID_X_EN: 1
; COMPUTE_PGM_RSRC2:TGID_Y_EN: 0
; COMPUTE_PGM_RSRC2:TGID_Z_EN: 0
; COMPUTE_PGM_RSRC2:TIDIG_COMP_CNT: 0
	.section	.text._ZN2at4cuda12_GLOBAL__N_121kernelPointwiseApply2IZNS_6native9templates4cuda28bernoulli_tensor_cuda_kernelIffEEvRKNS_10TensorBaseES9_NS_15PhiloxCudaStateEEUliRfSB_SB_SB_RKfSD_SD_SD_E_fSC_jLi2ELin1ELi4ELi512ELi2EEEvNS0_6detail10TensorInfoIT0_T2_EENSG_IT1_SI_EESI_T_,"axG",@progbits,_ZN2at4cuda12_GLOBAL__N_121kernelPointwiseApply2IZNS_6native9templates4cuda28bernoulli_tensor_cuda_kernelIffEEvRKNS_10TensorBaseES9_NS_15PhiloxCudaStateEEUliRfSB_SB_SB_RKfSD_SD_SD_E_fSC_jLi2ELin1ELi4ELi512ELi2EEEvNS0_6detail10TensorInfoIT0_T2_EENSG_IT1_SI_EESI_T_,comdat
	.globl	_ZN2at4cuda12_GLOBAL__N_121kernelPointwiseApply2IZNS_6native9templates4cuda28bernoulli_tensor_cuda_kernelIffEEvRKNS_10TensorBaseES9_NS_15PhiloxCudaStateEEUliRfSB_SB_SB_RKfSD_SD_SD_E_fSC_jLi2ELin1ELi4ELi512ELi2EEEvNS0_6detail10TensorInfoIT0_T2_EENSG_IT1_SI_EESI_T_ ; -- Begin function _ZN2at4cuda12_GLOBAL__N_121kernelPointwiseApply2IZNS_6native9templates4cuda28bernoulli_tensor_cuda_kernelIffEEvRKNS_10TensorBaseES9_NS_15PhiloxCudaStateEEUliRfSB_SB_SB_RKfSD_SD_SD_E_fSC_jLi2ELin1ELi4ELi512ELi2EEEvNS0_6detail10TensorInfoIT0_T2_EENSG_IT1_SI_EESI_T_
	.p2align	8
	.type	_ZN2at4cuda12_GLOBAL__N_121kernelPointwiseApply2IZNS_6native9templates4cuda28bernoulli_tensor_cuda_kernelIffEEvRKNS_10TensorBaseES9_NS_15PhiloxCudaStateEEUliRfSB_SB_SB_RKfSD_SD_SD_E_fSC_jLi2ELin1ELi4ELi512ELi2EEEvNS0_6detail10TensorInfoIT0_T2_EENSG_IT1_SI_EESI_T_,@function
_ZN2at4cuda12_GLOBAL__N_121kernelPointwiseApply2IZNS_6native9templates4cuda28bernoulli_tensor_cuda_kernelIffEEvRKNS_10TensorBaseES9_NS_15PhiloxCudaStateEEUliRfSB_SB_SB_RKfSD_SD_SD_E_fSC_jLi2ELin1ELi4ELi512ELi2EEEvNS0_6detail10TensorInfoIT0_T2_EENSG_IT1_SI_EESI_T_: ; @_ZN2at4cuda12_GLOBAL__N_121kernelPointwiseApply2IZNS_6native9templates4cuda28bernoulli_tensor_cuda_kernelIffEEvRKNS_10TensorBaseES9_NS_15PhiloxCudaStateEEUliRfSB_SB_SB_RKfSD_SD_SD_E_fSC_jLi2ELin1ELi4ELi512ELi2EEEvNS0_6detail10TensorInfoIT0_T2_EENSG_IT1_SI_EESI_T_
; %bb.0:
	s_clause 0x1
	s_load_b32 s2, s[0:1], 0x1e4
	s_load_b32 s18, s[0:1], 0x1b0
	s_add_u32 s4, s0, 0x1d8
	s_addc_u32 s5, s1, 0
	s_waitcnt lgkmcnt(0)
	s_and_b32 s14, s2, 0xffff
	s_mov_b32 s2, exec_lo
	v_mad_u64_u32 v[1:2], null, s15, s14, v[0:1]
	s_delay_alu instid0(VALU_DEP_1) | instskip(NEXT) | instid1(VALU_DEP_1)
	v_lshlrev_b32_e32 v30, 2, v1
	v_cmpx_gt_u32_e64 s18, v30
	s_cbranch_execz .LBB82_81
; %bb.1:
	s_clause 0x4
	s_load_b32 s19, s[0:1], 0xc
	s_load_b32 s16, s[0:1], 0x1a8
	;; [unrolled: 1-line block ×3, first 2 shown]
	s_load_b64 s[2:3], s[0:1], 0x6c
	s_load_b64 s[8:9], s[0:1], 0xd8
	v_mad_u64_u32 v[2:3], null, 0xcd9e8d57, v1, 0
	s_add_u32 s17, s0, 0xd8
	s_load_b32 s15, s[4:5], 0x0
	s_load_b32 s20, s[0:1], 0x144
	s_addc_u32 s23, s1, 0
	s_load_b64 s[10:11], s[0:1], 0x0
	v_mov_b32_e32 v4, 0
                                        ; implicit-def: $sgpr26
                                        ; implicit-def: $sgpr28
                                        ; implicit-def: $sgpr27
                                        ; implicit-def: $sgpr29
                                        ; implicit-def: $sgpr31
                                        ; implicit-def: $sgpr30
                                        ; implicit-def: $sgpr33
	s_delay_alu instid0(VALU_DEP_2)
	v_mov_b32_e32 v31, v3
	s_waitcnt lgkmcnt(0)
	v_cvt_f32_u32_e32 v0, s19
	s_cmp_gt_i32 s16, 1
	s_cselect_b32 s21, -1, 0
	s_bitcmp1_b32 s6, 0
	s_delay_alu instid0(VALU_DEP_1)
	v_rcp_iflag_f32_e32 v0, v0
	s_cselect_b32 s22, -1, 0
	s_sub_i32 s4, 0, s19
	s_mul_i32 s15, s15, s14
	s_add_i32 s25, s16, 1
	s_lshl_b32 s24, s15, 2
	s_waitcnt_depctr 0xfff
	v_mul_f32_e32 v0, 0x4f7ffffe, v0
	s_delay_alu instid0(VALU_DEP_1) | instskip(NEXT) | instid1(VALU_DEP_1)
	v_cvt_u32_f32_e32 v0, v0
	v_mul_lo_u32 v5, s4, v0
	s_clause 0x1
	s_load_b64 s[12:13], s[0:1], 0x1c8
	s_load_b128 s[4:7], s[0:1], 0x1b8
	s_mov_b32 s1, 0
	s_add_i32 s0, s16, -1
	s_delay_alu instid0(SALU_CYCLE_1) | instskip(NEXT) | instid1(SALU_CYCLE_1)
	s_lshl_b64 s[14:15], s[0:1], 2
	s_add_u32 s0, s14, s17
	v_mul_hi_u32 v5, v0, v5
	s_addc_u32 s15, s15, s23
	s_add_u32 s14, s0, 8
	s_addc_u32 s15, s15, 0
                                        ; implicit-def: $sgpr23
	s_delay_alu instid0(VALU_DEP_1)
	v_add_nc_u32_e32 v32, v0, v5
	s_branch .LBB82_3
.LBB82_2:                               ;   in Loop: Header=BB82_3 Depth=1
	s_or_b32 exec_lo, exec_lo, s16
	s_delay_alu instid0(SALU_CYCLE_1) | instskip(NEXT) | instid1(SALU_CYCLE_1)
	s_and_b32 s0, exec_lo, s0
	s_or_b32 s1, s0, s1
	s_and_not1_b32 s0, s23, exec_lo
	s_and_b32 s16, s33, exec_lo
	s_and_not1_b32 s17, s27, exec_lo
	s_and_b32 s27, s30, exec_lo
	s_or_b32 s23, s0, s16
	s_or_b32 s27, s17, s27
	s_and_not1_b32 s0, s28, exec_lo
	s_and_b32 s16, s31, exec_lo
	s_and_not1_b32 s17, s26, exec_lo
	s_and_b32 s26, s29, exec_lo
	s_or_b32 s28, s0, s16
	s_or_b32 s26, s17, s26
	s_and_not1_b32 exec_lo, exec_lo, s1
	s_cbranch_execz .LBB82_69
.LBB82_3:                               ; =>This Loop Header: Depth=1
                                        ;     Child Loop BB82_8 Depth 2
                                        ;     Child Loop BB82_15 Depth 2
	;; [unrolled: 1-line block ×4, first 2 shown]
	v_sub_nc_u32_e32 v33, s18, v30
	v_mov_b32_e32 v5, 0
	s_delay_alu instid0(VALU_DEP_2)
	v_cmp_lt_i32_e32 vcc_lo, 0, v33
	s_and_saveexec_b32 s16, vcc_lo
	s_cbranch_execz .LBB82_5
; %bb.4:                                ;   in Loop: Header=BB82_3 Depth=1
	v_mul_hi_u32 v0, v30, v32
	s_delay_alu instid0(VALU_DEP_1) | instskip(SKIP_1) | instid1(VALU_DEP_2)
	v_mul_lo_u32 v3, v0, s19
	v_add_nc_u32_e32 v5, 1, v0
	v_sub_nc_u32_e32 v3, v30, v3
	s_delay_alu instid0(VALU_DEP_1) | instskip(SKIP_1) | instid1(VALU_DEP_1)
	v_subrev_nc_u32_e32 v6, s19, v3
	v_cmp_le_u32_e64 s0, s19, v3
	v_cndmask_b32_e64 v0, v0, v5, s0
	s_delay_alu instid0(VALU_DEP_3) | instskip(NEXT) | instid1(VALU_DEP_2)
	v_cndmask_b32_e64 v3, v3, v6, s0
	v_add_nc_u32_e32 v5, 1, v0
	s_delay_alu instid0(VALU_DEP_2) | instskip(NEXT) | instid1(VALU_DEP_1)
	v_cmp_le_u32_e64 s0, s19, v3
	v_cndmask_b32_e64 v3, v0, v5, s0
	s_delay_alu instid0(VALU_DEP_1) | instskip(NEXT) | instid1(VALU_DEP_1)
	v_mul_lo_u32 v0, v3, s19
	v_sub_nc_u32_e32 v0, v30, v0
	s_delay_alu instid0(VALU_DEP_1) | instskip(NEXT) | instid1(VALU_DEP_1)
	v_mul_lo_u32 v0, v0, s3
	v_mad_u64_u32 v[5:6], null, v3, s2, v[0:1]
.LBB82_5:                               ;   in Loop: Header=BB82_3 Depth=1
	s_or_b32 exec_lo, exec_lo, s16
	v_mov_b32_e32 v6, 0
	s_and_saveexec_b32 s0, vcc_lo
	s_cbranch_execz .LBB82_10
; %bb.6:                                ;   in Loop: Header=BB82_3 Depth=1
	v_dual_mov_b32 v0, 0 :: v_dual_mov_b32 v3, v30
	s_and_not1_b32 vcc_lo, exec_lo, s21
	s_cbranch_vccnz .LBB82_9
; %bb.7:                                ;   in Loop: Header=BB82_3 Depth=1
	v_dual_mov_b32 v0, 0 :: v_dual_mov_b32 v3, v30
	s_mov_b64 s[16:17], s[14:15]
	s_mov_b32 s34, s25
	s_set_inst_prefetch_distance 0x1
	.p2align	6
.LBB82_8:                               ;   Parent Loop BB82_3 Depth=1
                                        ; =>  This Inner Loop Header: Depth=2
	s_clause 0x1
	s_load_b32 s35, s[16:17], 0x0
	s_load_b32 s36, s[16:17], 0x64
	s_add_i32 s34, s34, -1
	s_waitcnt lgkmcnt(0)
	v_cvt_f32_u32_e32 v6, s35
	s_sub_i32 s37, 0, s35
	s_add_u32 s16, s16, -4
	s_addc_u32 s17, s17, -1
	s_cmp_gt_u32 s34, 2
	v_rcp_iflag_f32_e32 v6, v6
	s_waitcnt_depctr 0xfff
	v_mul_f32_e32 v6, 0x4f7ffffe, v6
	s_delay_alu instid0(VALU_DEP_1) | instskip(NEXT) | instid1(VALU_DEP_1)
	v_cvt_u32_f32_e32 v6, v6
	v_mul_lo_u32 v7, s37, v6
	s_delay_alu instid0(VALU_DEP_1) | instskip(NEXT) | instid1(VALU_DEP_1)
	v_mul_hi_u32 v7, v6, v7
	v_dual_mov_b32 v8, v3 :: v_dual_add_nc_u32 v3, v6, v7
	s_delay_alu instid0(VALU_DEP_1) | instskip(NEXT) | instid1(VALU_DEP_1)
	v_mul_hi_u32 v3, v8, v3
	v_mul_lo_u32 v6, v3, s35
	v_add_nc_u32_e32 v7, 1, v3
	s_delay_alu instid0(VALU_DEP_2) | instskip(NEXT) | instid1(VALU_DEP_1)
	v_sub_nc_u32_e32 v6, v8, v6
	v_subrev_nc_u32_e32 v9, s35, v6
	v_cmp_le_u32_e32 vcc_lo, s35, v6
	s_delay_alu instid0(VALU_DEP_2) | instskip(NEXT) | instid1(VALU_DEP_1)
	v_dual_cndmask_b32 v3, v3, v7 :: v_dual_cndmask_b32 v6, v6, v9
	v_add_nc_u32_e32 v7, 1, v3
	s_delay_alu instid0(VALU_DEP_2) | instskip(NEXT) | instid1(VALU_DEP_2)
	v_cmp_le_u32_e32 vcc_lo, s35, v6
	v_cndmask_b32_e32 v3, v3, v7, vcc_lo
	s_delay_alu instid0(VALU_DEP_1) | instskip(NEXT) | instid1(VALU_DEP_1)
	v_mul_lo_u32 v6, v3, s35
	v_sub_nc_u32_e32 v8, v8, v6
	s_delay_alu instid0(VALU_DEP_1) | instskip(NEXT) | instid1(VALU_DEP_1)
	v_mad_u64_u32 v[6:7], null, s36, v8, v[0:1]
	v_mov_b32_e32 v0, v6
	s_cbranch_scc1 .LBB82_8
.LBB82_9:                               ;   in Loop: Header=BB82_3 Depth=1
	s_set_inst_prefetch_distance 0x2
	s_delay_alu instid0(VALU_DEP_1)
	v_mad_u64_u32 v[6:7], null, s20, v3, v[0:1]
.LBB82_10:                              ;   in Loop: Header=BB82_3 Depth=1
	s_or_b32 exec_lo, exec_lo, s0
	v_or_b32_e32 v9, 1, v30
	v_cmp_lt_i32_e32 vcc_lo, 1, v33
	v_mov_b32_e32 v3, 0
	v_mov_b32_e32 v7, 0
	s_and_saveexec_b32 s16, vcc_lo
	s_cbranch_execz .LBB82_12
; %bb.11:                               ;   in Loop: Header=BB82_3 Depth=1
	v_mul_hi_u32 v0, v9, v32
	s_delay_alu instid0(VALU_DEP_1) | instskip(SKIP_1) | instid1(VALU_DEP_2)
	v_mul_lo_u32 v7, v0, s19
	v_add_nc_u32_e32 v8, 1, v0
	v_sub_nc_u32_e32 v7, v9, v7
	s_delay_alu instid0(VALU_DEP_1) | instskip(SKIP_1) | instid1(VALU_DEP_1)
	v_subrev_nc_u32_e32 v10, s19, v7
	v_cmp_le_u32_e64 s0, s19, v7
	v_cndmask_b32_e64 v0, v0, v8, s0
	s_delay_alu instid0(VALU_DEP_3) | instskip(NEXT) | instid1(VALU_DEP_2)
	v_cndmask_b32_e64 v7, v7, v10, s0
	v_add_nc_u32_e32 v8, 1, v0
	s_delay_alu instid0(VALU_DEP_2) | instskip(NEXT) | instid1(VALU_DEP_1)
	v_cmp_le_u32_e64 s0, s19, v7
	v_cndmask_b32_e64 v10, v0, v8, s0
	s_delay_alu instid0(VALU_DEP_1) | instskip(NEXT) | instid1(VALU_DEP_1)
	v_mul_lo_u32 v0, v10, s19
	v_sub_nc_u32_e32 v0, v9, v0
	s_delay_alu instid0(VALU_DEP_1) | instskip(NEXT) | instid1(VALU_DEP_1)
	v_mul_lo_u32 v0, v0, s3
	v_mad_u64_u32 v[7:8], null, v10, s2, v[0:1]
.LBB82_12:                              ;   in Loop: Header=BB82_3 Depth=1
	s_or_b32 exec_lo, exec_lo, s16
	s_and_saveexec_b32 s0, vcc_lo
	s_cbranch_execz .LBB82_17
; %bb.13:                               ;   in Loop: Header=BB82_3 Depth=1
	v_mov_b32_e32 v0, 0
	s_and_not1_b32 vcc_lo, exec_lo, s21
	s_cbranch_vccnz .LBB82_16
; %bb.14:                               ;   in Loop: Header=BB82_3 Depth=1
	v_mov_b32_e32 v0, 0
	s_mov_b64 s[16:17], s[14:15]
	s_mov_b32 s34, s25
	s_set_inst_prefetch_distance 0x1
	.p2align	6
.LBB82_15:                              ;   Parent Loop BB82_3 Depth=1
                                        ; =>  This Inner Loop Header: Depth=2
	s_clause 0x1
	s_load_b32 s35, s[16:17], 0x0
	s_load_b32 s36, s[16:17], 0x64
	s_add_i32 s34, s34, -1
	v_mov_b32_e32 v10, v9
	s_waitcnt lgkmcnt(0)
	v_cvt_f32_u32_e32 v3, s35
	s_sub_i32 s37, 0, s35
	s_add_u32 s16, s16, -4
	s_addc_u32 s17, s17, -1
	s_cmp_gt_u32 s34, 2
	v_rcp_iflag_f32_e32 v3, v3
	s_waitcnt_depctr 0xfff
	v_mul_f32_e32 v3, 0x4f7ffffe, v3
	s_delay_alu instid0(VALU_DEP_1) | instskip(NEXT) | instid1(VALU_DEP_1)
	v_cvt_u32_f32_e32 v3, v3
	v_mul_lo_u32 v8, s37, v3
	s_delay_alu instid0(VALU_DEP_1) | instskip(NEXT) | instid1(VALU_DEP_1)
	v_mul_hi_u32 v8, v3, v8
	v_add_nc_u32_e32 v3, v3, v8
	s_delay_alu instid0(VALU_DEP_1) | instskip(NEXT) | instid1(VALU_DEP_1)
	v_mul_hi_u32 v3, v10, v3
	v_mul_lo_u32 v8, v3, s35
	v_add_nc_u32_e32 v9, 1, v3
	s_delay_alu instid0(VALU_DEP_2) | instskip(NEXT) | instid1(VALU_DEP_1)
	v_sub_nc_u32_e32 v8, v10, v8
	v_subrev_nc_u32_e32 v11, s35, v8
	v_cmp_le_u32_e32 vcc_lo, s35, v8
	s_delay_alu instid0(VALU_DEP_2) | instskip(NEXT) | instid1(VALU_DEP_1)
	v_dual_cndmask_b32 v3, v3, v9 :: v_dual_cndmask_b32 v8, v8, v11
	v_add_nc_u32_e32 v9, 1, v3
	s_delay_alu instid0(VALU_DEP_2) | instskip(NEXT) | instid1(VALU_DEP_2)
	v_cmp_le_u32_e32 vcc_lo, s35, v8
	v_cndmask_b32_e32 v9, v3, v9, vcc_lo
	s_delay_alu instid0(VALU_DEP_1) | instskip(NEXT) | instid1(VALU_DEP_1)
	v_mul_lo_u32 v3, v9, s35
	v_sub_nc_u32_e32 v3, v10, v3
	s_delay_alu instid0(VALU_DEP_1) | instskip(NEXT) | instid1(VALU_DEP_1)
	v_mad_u64_u32 v[10:11], null, s36, v3, v[0:1]
	v_mov_b32_e32 v0, v10
	s_cbranch_scc1 .LBB82_15
.LBB82_16:                              ;   in Loop: Header=BB82_3 Depth=1
	s_set_inst_prefetch_distance 0x2
	s_delay_alu instid0(VALU_DEP_1) | instskip(NEXT) | instid1(VALU_DEP_1)
	v_mad_u64_u32 v[10:11], null, s20, v9, v[0:1]
	v_mov_b32_e32 v3, v10
.LBB82_17:                              ;   in Loop: Header=BB82_3 Depth=1
	s_or_b32 exec_lo, exec_lo, s0
	v_or_b32_e32 v11, 2, v30
	v_cmp_lt_i32_e32 vcc_lo, 2, v33
	v_mov_b32_e32 v8, 0
	s_and_saveexec_b32 s16, vcc_lo
	s_cbranch_execz .LBB82_19
; %bb.18:                               ;   in Loop: Header=BB82_3 Depth=1
	v_mul_hi_u32 v0, v11, v32
	s_delay_alu instid0(VALU_DEP_1) | instskip(SKIP_1) | instid1(VALU_DEP_2)
	v_mul_lo_u32 v8, v0, s19
	v_add_nc_u32_e32 v9, 1, v0
	v_sub_nc_u32_e32 v8, v11, v8
	s_delay_alu instid0(VALU_DEP_1) | instskip(SKIP_1) | instid1(VALU_DEP_1)
	v_subrev_nc_u32_e32 v10, s19, v8
	v_cmp_le_u32_e64 s0, s19, v8
	v_cndmask_b32_e64 v0, v0, v9, s0
	s_delay_alu instid0(VALU_DEP_3) | instskip(NEXT) | instid1(VALU_DEP_2)
	v_cndmask_b32_e64 v8, v8, v10, s0
	v_add_nc_u32_e32 v9, 1, v0
	s_delay_alu instid0(VALU_DEP_2) | instskip(NEXT) | instid1(VALU_DEP_1)
	v_cmp_le_u32_e64 s0, s19, v8
	v_cndmask_b32_e64 v10, v0, v9, s0
	s_delay_alu instid0(VALU_DEP_1) | instskip(NEXT) | instid1(VALU_DEP_1)
	v_mul_lo_u32 v0, v10, s19
	v_sub_nc_u32_e32 v0, v11, v0
	s_delay_alu instid0(VALU_DEP_1) | instskip(NEXT) | instid1(VALU_DEP_1)
	v_mul_lo_u32 v0, v0, s3
	v_mad_u64_u32 v[8:9], null, v10, s2, v[0:1]
.LBB82_19:                              ;   in Loop: Header=BB82_3 Depth=1
	s_or_b32 exec_lo, exec_lo, s16
	v_mov_b32_e32 v9, 0
	v_mov_b32_e32 v10, 0
	s_and_saveexec_b32 s0, vcc_lo
	s_cbranch_execz .LBB82_24
; %bb.20:                               ;   in Loop: Header=BB82_3 Depth=1
	v_mov_b32_e32 v0, 0
	s_and_not1_b32 vcc_lo, exec_lo, s21
	s_cbranch_vccnz .LBB82_23
; %bb.21:                               ;   in Loop: Header=BB82_3 Depth=1
	v_mov_b32_e32 v0, 0
	s_mov_b64 s[16:17], s[14:15]
	s_mov_b32 s34, s25
	s_set_inst_prefetch_distance 0x1
	.p2align	6
.LBB82_22:                              ;   Parent Loop BB82_3 Depth=1
                                        ; =>  This Inner Loop Header: Depth=2
	s_clause 0x1
	s_load_b32 s35, s[16:17], 0x0
	s_load_b32 s36, s[16:17], 0x64
	s_add_i32 s34, s34, -1
	v_mov_b32_e32 v12, v11
	s_waitcnt lgkmcnt(0)
	v_cvt_f32_u32_e32 v9, s35
	s_sub_i32 s37, 0, s35
	s_add_u32 s16, s16, -4
	s_addc_u32 s17, s17, -1
	s_cmp_gt_u32 s34, 2
	v_rcp_iflag_f32_e32 v9, v9
	s_waitcnt_depctr 0xfff
	v_mul_f32_e32 v9, 0x4f7ffffe, v9
	s_delay_alu instid0(VALU_DEP_1) | instskip(NEXT) | instid1(VALU_DEP_1)
	v_cvt_u32_f32_e32 v9, v9
	v_mul_lo_u32 v10, s37, v9
	s_delay_alu instid0(VALU_DEP_1) | instskip(NEXT) | instid1(VALU_DEP_1)
	v_mul_hi_u32 v10, v9, v10
	v_add_nc_u32_e32 v9, v9, v10
	s_delay_alu instid0(VALU_DEP_1) | instskip(NEXT) | instid1(VALU_DEP_1)
	v_mul_hi_u32 v9, v12, v9
	v_mul_lo_u32 v10, v9, s35
	v_add_nc_u32_e32 v11, 1, v9
	s_delay_alu instid0(VALU_DEP_2) | instskip(NEXT) | instid1(VALU_DEP_1)
	v_sub_nc_u32_e32 v10, v12, v10
	v_subrev_nc_u32_e32 v13, s35, v10
	v_cmp_le_u32_e32 vcc_lo, s35, v10
	s_delay_alu instid0(VALU_DEP_2) | instskip(NEXT) | instid1(VALU_DEP_1)
	v_dual_cndmask_b32 v9, v9, v11 :: v_dual_cndmask_b32 v10, v10, v13
	v_add_nc_u32_e32 v11, 1, v9
	s_delay_alu instid0(VALU_DEP_2) | instskip(NEXT) | instid1(VALU_DEP_2)
	v_cmp_le_u32_e32 vcc_lo, s35, v10
	v_cndmask_b32_e32 v11, v9, v11, vcc_lo
	s_delay_alu instid0(VALU_DEP_1) | instskip(NEXT) | instid1(VALU_DEP_1)
	v_mul_lo_u32 v9, v11, s35
	v_sub_nc_u32_e32 v12, v12, v9
	s_delay_alu instid0(VALU_DEP_1) | instskip(NEXT) | instid1(VALU_DEP_1)
	v_mad_u64_u32 v[9:10], null, s36, v12, v[0:1]
	v_mov_b32_e32 v0, v9
	s_cbranch_scc1 .LBB82_22
.LBB82_23:                              ;   in Loop: Header=BB82_3 Depth=1
	s_set_inst_prefetch_distance 0x2
	s_delay_alu instid0(VALU_DEP_1)
	v_mad_u64_u32 v[9:10], null, s20, v11, v[0:1]
	v_mov_b32_e32 v10, v4
.LBB82_24:                              ;   in Loop: Header=BB82_3 Depth=1
	s_or_b32 exec_lo, exec_lo, s0
	v_mov_b32_e32 v13, 0
	v_mov_b32_e32 v14, 0
	v_or_b32_e32 v15, 3, v30
	v_cmp_lt_i32_e32 vcc_lo, 3, v33
	s_delay_alu instid0(VALU_DEP_3)
	v_dual_mov_b32 v11, v13 :: v_dual_mov_b32 v12, v14
	s_and_saveexec_b32 s16, vcc_lo
	s_cbranch_execz .LBB82_26
; %bb.25:                               ;   in Loop: Header=BB82_3 Depth=1
	v_mul_hi_u32 v0, v15, v32
	s_delay_alu instid0(VALU_DEP_1) | instskip(SKIP_1) | instid1(VALU_DEP_2)
	v_mul_lo_u32 v11, v0, s19
	v_add_nc_u32_e32 v12, 1, v0
	v_sub_nc_u32_e32 v11, v15, v11
	s_delay_alu instid0(VALU_DEP_1) | instskip(SKIP_1) | instid1(VALU_DEP_1)
	v_subrev_nc_u32_e32 v16, s19, v11
	v_cmp_le_u32_e64 s0, s19, v11
	v_cndmask_b32_e64 v0, v0, v12, s0
	s_delay_alu instid0(VALU_DEP_3) | instskip(NEXT) | instid1(VALU_DEP_2)
	v_cndmask_b32_e64 v11, v11, v16, s0
	v_add_nc_u32_e32 v12, 1, v0
	s_delay_alu instid0(VALU_DEP_2) | instskip(NEXT) | instid1(VALU_DEP_1)
	v_cmp_le_u32_e64 s0, s19, v11
	v_cndmask_b32_e64 v16, v0, v12, s0
	s_delay_alu instid0(VALU_DEP_1) | instskip(NEXT) | instid1(VALU_DEP_1)
	v_mul_lo_u32 v0, v16, s19
	v_sub_nc_u32_e32 v0, v15, v0
	s_delay_alu instid0(VALU_DEP_1) | instskip(NEXT) | instid1(VALU_DEP_1)
	v_mul_lo_u32 v0, v0, s3
	v_mad_u64_u32 v[11:12], null, v16, s2, v[0:1]
	v_mov_b32_e32 v12, v4
.LBB82_26:                              ;   in Loop: Header=BB82_3 Depth=1
	s_or_b32 exec_lo, exec_lo, s16
	s_and_saveexec_b32 s0, vcc_lo
	s_cbranch_execz .LBB82_31
; %bb.27:                               ;   in Loop: Header=BB82_3 Depth=1
	v_mov_b32_e32 v0, 0
	s_and_not1_b32 vcc_lo, exec_lo, s21
	s_cbranch_vccnz .LBB82_30
; %bb.28:                               ;   in Loop: Header=BB82_3 Depth=1
	v_mov_b32_e32 v0, 0
	s_mov_b64 s[16:17], s[14:15]
	s_mov_b32 s34, s25
	s_set_inst_prefetch_distance 0x1
	.p2align	6
.LBB82_29:                              ;   Parent Loop BB82_3 Depth=1
                                        ; =>  This Inner Loop Header: Depth=2
	s_clause 0x1
	s_load_b32 s35, s[16:17], 0x0
	s_load_b32 s36, s[16:17], 0x64
	s_add_i32 s34, s34, -1
	v_mov_b32_e32 v16, v15
	s_waitcnt lgkmcnt(0)
	v_cvt_f32_u32_e32 v13, s35
	s_sub_i32 s37, 0, s35
	s_add_u32 s16, s16, -4
	s_addc_u32 s17, s17, -1
	s_cmp_gt_u32 s34, 2
	v_rcp_iflag_f32_e32 v13, v13
	s_waitcnt_depctr 0xfff
	v_mul_f32_e32 v13, 0x4f7ffffe, v13
	s_delay_alu instid0(VALU_DEP_1) | instskip(NEXT) | instid1(VALU_DEP_1)
	v_cvt_u32_f32_e32 v13, v13
	v_mul_lo_u32 v14, s37, v13
	s_delay_alu instid0(VALU_DEP_1) | instskip(NEXT) | instid1(VALU_DEP_1)
	v_mul_hi_u32 v14, v13, v14
	v_add_nc_u32_e32 v13, v13, v14
	s_delay_alu instid0(VALU_DEP_1) | instskip(NEXT) | instid1(VALU_DEP_1)
	v_mul_hi_u32 v13, v16, v13
	v_mul_lo_u32 v14, v13, s35
	v_add_nc_u32_e32 v15, 1, v13
	s_delay_alu instid0(VALU_DEP_2) | instskip(NEXT) | instid1(VALU_DEP_1)
	v_sub_nc_u32_e32 v14, v16, v14
	v_subrev_nc_u32_e32 v17, s35, v14
	v_cmp_le_u32_e32 vcc_lo, s35, v14
	s_delay_alu instid0(VALU_DEP_2) | instskip(NEXT) | instid1(VALU_DEP_1)
	v_dual_cndmask_b32 v13, v13, v15 :: v_dual_cndmask_b32 v14, v14, v17
	v_add_nc_u32_e32 v15, 1, v13
	s_delay_alu instid0(VALU_DEP_2) | instskip(NEXT) | instid1(VALU_DEP_2)
	v_cmp_le_u32_e32 vcc_lo, s35, v14
	v_cndmask_b32_e32 v15, v13, v15, vcc_lo
	s_delay_alu instid0(VALU_DEP_1) | instskip(NEXT) | instid1(VALU_DEP_1)
	v_mul_lo_u32 v13, v15, s35
	v_sub_nc_u32_e32 v16, v16, v13
	s_delay_alu instid0(VALU_DEP_1) | instskip(NEXT) | instid1(VALU_DEP_1)
	v_mad_u64_u32 v[13:14], null, s36, v16, v[0:1]
	v_mov_b32_e32 v0, v13
	s_cbranch_scc1 .LBB82_29
.LBB82_30:                              ;   in Loop: Header=BB82_3 Depth=1
	s_set_inst_prefetch_distance 0x2
	s_delay_alu instid0(VALU_DEP_1)
	v_mad_u64_u32 v[13:14], null, s20, v15, v[0:1]
	v_mov_b32_e32 v14, v4
.LBB82_31:                              ;   in Loop: Header=BB82_3 Depth=1
	s_or_b32 exec_lo, exec_lo, s0
	s_delay_alu instid0(VALU_DEP_1) | instskip(SKIP_3) | instid1(VALU_DEP_3)
	v_lshlrev_b64 v[13:14], 2, v[13:14]
	s_waitcnt lgkmcnt(0)
	v_dual_mov_b32 v18, s7 :: v_dual_mov_b32 v17, s6
	v_dual_mov_b32 v20, s5 :: v_dual_mov_b32 v19, s4
	v_add_co_u32 v13, vcc_lo, s8, v13
	s_delay_alu instid0(VALU_DEP_4)
	v_add_co_ci_u32_e32 v14, vcc_lo, s9, v14, vcc_lo
	s_and_not1_b32 vcc_lo, exec_lo, s22
	global_load_b32 v0, v[13:14], off
	s_cbranch_vccnz .LBB82_33
; %bb.32:                               ;   in Loop: Header=BB82_3 Depth=1
	v_dual_mov_b32 v14, s7 :: v_dual_mov_b32 v13, s6
	v_dual_mov_b32 v16, s5 :: v_dual_mov_b32 v15, s4
	flat_load_b64 v[13:14], v[13:14]
	flat_load_b64 v[19:20], v[15:16]
	s_waitcnt vmcnt(1) lgkmcnt(1)
	v_add_co_u32 v17, vcc_lo, v13, s12
	v_add_co_ci_u32_e32 v18, vcc_lo, s13, v14, vcc_lo
.LBB82_33:                              ;   in Loop: Header=BB82_3 Depth=1
	s_delay_alu instid0(VALU_DEP_1)
	v_alignbit_b32 v16, v18, v17, 2
	v_lshrrev_b32_e32 v15, 2, v18
	s_waitcnt vmcnt(0) lgkmcnt(0)
	v_add_nc_u32_e32 v35, 0xbb67ae85, v20
	v_add_nc_u32_e32 v36, 0x76cf5d0a, v20
	;; [unrolled: 1-line block ×3, first 2 shown]
	v_add_co_u32 v18, vcc_lo, v16, 1
	s_delay_alu instid0(VALU_DEP_1) | instskip(SKIP_4) | instid1(VALU_DEP_4)
	v_cndmask_b32_e64 v13, 0, 1, vcc_lo
	v_add_co_ci_u32_e32 v27, vcc_lo, 0, v15, vcc_lo
	v_xor3_b32 v23, v31, v19, v15
	v_add_nc_u32_e32 v38, 0x32370b8f, v20
	v_add_nc_u32_e32 v39, 0xed9eba14, v20
	v_cmp_eq_u32_e32 vcc_lo, 0, v27
	v_add_nc_u32_e32 v40, 0x1715609d, v19
	v_add_nc_u32_e32 v41, 0xa9066899, v20
	s_mov_b32 s0, exec_lo
	v_dual_cndmask_b32 v21, 0, v13 :: v_dual_add_nc_u32 v34, 0x9e3779b9, v19
	v_mad_u64_u32 v[13:14], null, 0xd2511f53, v18, 0
	s_delay_alu instid0(VALU_DEP_2) | instskip(NEXT) | instid1(VALU_DEP_2)
	v_add_nc_u32_e32 v18, v21, v1
	v_xor_b32_e32 v22, v14, v20
	s_delay_alu instid0(VALU_DEP_2) | instskip(SKIP_2) | instid1(VALU_DEP_1)
	v_cmp_eq_u32_e32 vcc_lo, 0, v18
	v_mad_u64_u32 v[14:15], null, 0xd2511f53, v16, 0
	v_cndmask_b32_e32 v21, 0, v21, vcc_lo
	v_xor_b32_e32 v16, v21, v22
	v_mad_u64_u32 v[21:22], null, 0xd2511f53, v23, 0
	v_mad_u64_u32 v[23:24], null, 0xcd9e8d57, v18, 0
	v_add_nc_u32_e32 v18, 0x3c6ef372, v19
	s_delay_alu instid0(VALU_DEP_4) | instskip(SKIP_2) | instid1(VALU_DEP_2)
	v_mad_u64_u32 v[25:26], null, 0xcd9e8d57, v16, 0
	v_xor_b32_e32 v16, v15, v20
	v_xor3_b32 v28, v35, v22, v14
	v_mad_u64_u32 v[14:15], null, 0xcd9e8d57, v16, 0
	v_xor3_b32 v16, v24, v19, v27
	v_xor3_b32 v24, v34, v26, v23
	s_delay_alu instid0(VALU_DEP_4) | instskip(NEXT) | instid1(VALU_DEP_3)
	v_mad_u64_u32 v[22:23], null, 0xcd9e8d57, v28, 0
	v_mad_u64_u32 v[26:27], null, 0xd2511f53, v16, 0
	s_delay_alu instid0(VALU_DEP_3) | instskip(SKIP_1) | instid1(VALU_DEP_4)
	v_mad_u64_u32 v[28:29], null, 0xd2511f53, v24, 0
	v_xor3_b32 v16, v2, v15, v34
	v_xor3_b32 v34, v18, v23, v14
	s_delay_alu instid0(VALU_DEP_4) | instskip(NEXT) | instid1(VALU_DEP_3)
	v_xor3_b32 v13, v35, v27, v13
	v_mad_u64_u32 v[14:15], null, 0xd2511f53, v16, 0
	v_xor3_b32 v16, v36, v29, v26
	s_delay_alu instid0(VALU_DEP_4) | instskip(NEXT) | instid1(VALU_DEP_4)
	v_mad_u64_u32 v[23:24], null, 0xd2511f53, v34, 0
	v_mad_u64_u32 v[26:27], null, 0xcd9e8d57, v13, 0
	s_delay_alu instid0(VALU_DEP_3) | instskip(SKIP_4) | instid1(VALU_DEP_4)
	v_mad_u64_u32 v[34:35], null, 0xcd9e8d57, v16, 0
	v_xor3_b32 v15, v36, v15, v21
	v_add_nc_u32_e32 v29, 0x78dde6e4, v19
	v_xor3_b32 v21, v38, v24, v14
	v_xor3_b32 v18, v18, v27, v25
	v_mad_u64_u32 v[13:14], null, 0xcd9e8d57, v15, 0
	v_xor3_b32 v35, v37, v35, v26
	s_delay_alu instid0(VALU_DEP_4) | instskip(NEXT) | instid1(VALU_DEP_4)
	v_mad_u64_u32 v[15:16], null, 0xcd9e8d57, v21, 0
	v_mad_u64_u32 v[24:25], null, 0xd2511f53, v18, 0
	s_delay_alu instid0(VALU_DEP_3) | instskip(SKIP_1) | instid1(VALU_DEP_4)
	v_mad_u64_u32 v[26:27], null, 0xd2511f53, v35, 0
	v_xor3_b32 v18, v37, v14, v22
	v_xor3_b32 v16, v29, v16, v13
	s_delay_alu instid0(VALU_DEP_2) | instskip(SKIP_2) | instid1(VALU_DEP_4)
	v_mad_u64_u32 v[13:14], null, 0xd2511f53, v18, 0
	v_xor3_b32 v18, v38, v25, v28
	v_xor3_b32 v24, v39, v27, v24
	v_mad_u64_u32 v[27:28], null, 0xd2511f53, v16, 0
	s_delay_alu instid0(VALU_DEP_3) | instskip(NEXT) | instid1(VALU_DEP_3)
	v_mad_u64_u32 v[21:22], null, 0xcd9e8d57, v18, 0
	v_mad_u64_u32 v[35:36], null, 0xcd9e8d57, v24, 0
	v_xor3_b32 v16, v39, v14, v23
	s_delay_alu instid0(VALU_DEP_4) | instskip(SKIP_2) | instid1(VALU_DEP_4)
	v_xor3_b32 v24, v41, v28, v13
	v_add_nc_u32_e32 v18, 0xb54cda56, v19
	v_add_nc_u32_e32 v23, 0x646e171e, v20
	v_mad_u64_u32 v[13:14], null, 0xcd9e8d57, v16, 0
	v_xor3_b32 v16, v29, v22, v34
	v_xor3_b32 v25, v40, v36, v21
	v_mad_u64_u32 v[36:37], null, 0xcd9e8d57, v24, 0
	v_add_nc_u32_e32 v29, 0x5384540f, v19
	s_delay_alu instid0(VALU_DEP_4) | instskip(NEXT) | instid1(VALU_DEP_4)
	v_mad_u64_u32 v[21:22], null, 0xd2511f53, v16, 0
	v_mad_u64_u32 v[38:39], null, 0xd2511f53, v25, 0
	v_xor3_b32 v15, v40, v14, v15
	v_xor3_b32 v16, v18, v37, v13
	v_add_nc_u32_e32 v40, 0x1fd5c5a3, v20
	v_add_co_u32 v34, null, 0xf1bbcdc8, v19
	v_xor3_b32 v24, v41, v22, v26
	v_xor3_b32 v26, v23, v39, v21
	v_mad_u64_u32 v[13:14], null, 0xd2511f53, v15, 0
	v_mad_u64_u32 v[21:22], null, 0xd2511f53, v16, 0
	s_delay_alu instid0(VALU_DEP_4) | instskip(NEXT) | instid1(VALU_DEP_4)
	v_mad_u64_u32 v[15:16], null, 0xcd9e8d57, v24, 0
	v_mad_u64_u32 v[24:25], null, 0xcd9e8d57, v26, 0
	s_delay_alu instid0(VALU_DEP_4) | instskip(NEXT) | instid1(VALU_DEP_4)
	v_xor3_b32 v23, v23, v14, v27
	v_xor3_b32 v26, v40, v22, v13
	s_delay_alu instid0(VALU_DEP_4) | instskip(NEXT) | instid1(VALU_DEP_3)
	v_xor3_b32 v18, v18, v16, v35
	v_mad_u64_u32 v[13:14], null, 0xcd9e8d57, v23, 0
	v_xor3_b32 v25, v29, v25, v15
	s_delay_alu instid0(VALU_DEP_4) | instskip(NEXT) | instid1(VALU_DEP_4)
	v_mad_u64_u32 v[22:23], null, 0xcd9e8d57, v26, 0
	v_mad_u64_u32 v[15:16], null, 0xd2511f53, v18, 0
	s_delay_alu instid0(VALU_DEP_3)
	v_mad_u64_u32 v[27:28], null, 0xd2511f53, v25, 0
	v_add_nc_u32_e32 v35, 0xdb3d7428, v20
	v_xor3_b32 v14, v29, v14, v36
	v_xor3_b32 v18, v34, v23, v13
	v_add_nc_u32_e32 v36, 0x96a522ad, v20
	v_xor3_b32 v16, v40, v16, v38
	v_and_b32_e32 v20, 3, v17
	v_xor3_b32 v23, v35, v28, v15
	v_mad_u64_u32 v[25:26], null, 0xd2511f53, v14, 0
	v_mad_u64_u32 v[13:14], null, 0xd2511f53, v18, 0
	;; [unrolled: 1-line block ×3, first 2 shown]
	s_delay_alu instid0(VALU_DEP_4) | instskip(SKIP_1) | instid1(VALU_DEP_4)
	v_mad_u64_u32 v[15:16], null, 0xcd9e8d57, v23, 0
	v_add_nc_u32_e32 v23, 0x8ff34781, v19
                                        ; implicit-def: $vgpr18
	v_xor3_b32 v19, v14, v25, v36
	s_delay_alu instid0(VALU_DEP_2)
	v_xor3_b32 v14, v16, v28, v23
	v_cmpx_lt_i32_e32 1, v20
	s_xor_b32 s0, exec_lo, s0
	s_cbranch_execz .LBB82_39
; %bb.34:                               ;   in Loop: Header=BB82_3 Depth=1
	s_mov_b32 s16, exec_lo
                                        ; implicit-def: $vgpr18
	v_cmpx_lt_i32_e32 2, v20
	s_xor_b32 s16, exec_lo, s16
; %bb.35:                               ;   in Loop: Header=BB82_3 Depth=1
	v_xor3_b32 v16, v34, v29, v24
                                        ; implicit-def: $vgpr19
	s_delay_alu instid0(VALU_DEP_1) | instskip(NEXT) | instid1(VALU_DEP_1)
	v_mul_hi_u32 v16, 0xd2511f53, v16
	v_xor3_b32 v18, v16, v27, v36
; %bb.36:                               ;   in Loop: Header=BB82_3 Depth=1
	s_and_not1_saveexec_b32 s16, s16
; %bb.37:                               ;   in Loop: Header=BB82_3 Depth=1
	v_dual_mov_b32 v18, v15 :: v_dual_mov_b32 v15, v14
	v_dual_mov_b32 v14, v13 :: v_dual_mov_b32 v13, v19
; %bb.38:                               ;   in Loop: Header=BB82_3 Depth=1
	s_or_b32 exec_lo, exec_lo, s16
                                        ; implicit-def: $vgpr21_vgpr22
                                        ; implicit-def: $vgpr20
                                        ; implicit-def: $vgpr19
                                        ; implicit-def: $vgpr35
                                        ; implicit-def: $vgpr25_vgpr26
                                        ; implicit-def: $vgpr22_vgpr23
                                        ; implicit-def: $vgpr23
.LBB82_39:                              ;   in Loop: Header=BB82_3 Depth=1
	s_and_not1_saveexec_b32 s0, s0
	s_cbranch_execz .LBB82_43
; %bb.40:                               ;   in Loop: Header=BB82_3 Depth=1
	v_xor3_b32 v15, v35, v26, v21
	v_cmp_eq_u32_e32 vcc_lo, 1, v20
	v_mov_b32_e32 v18, v13
	s_delay_alu instid0(VALU_DEP_3) | instskip(SKIP_1) | instid1(VALU_DEP_2)
	v_mad_u64_u32 v[16:17], null, 0xcd9e8d57, v15, 0
	v_mov_b32_e32 v15, v19
	v_xor3_b32 v20, v17, v22, v23
	s_delay_alu instid0(VALU_DEP_3)
	v_mov_b32_e32 v17, v16
	s_and_saveexec_b32 s16, vcc_lo
; %bb.41:                               ;   in Loop: Header=BB82_3 Depth=1
	v_dual_mov_b32 v18, v14 :: v_dual_mov_b32 v15, v13
	v_dual_mov_b32 v17, v19 :: v_dual_mov_b32 v20, v16
; %bb.42:                               ;   in Loop: Header=BB82_3 Depth=1
	s_or_b32 exec_lo, exec_lo, s16
	s_delay_alu instid0(VALU_DEP_1)
	v_dual_mov_b32 v13, v20 :: v_dual_mov_b32 v14, v17
.LBB82_43:                              ;   in Loop: Header=BB82_3 Depth=1
	s_or_b32 exec_lo, exec_lo, s0
	v_min_i32_e32 v16, 4, v33
	s_mov_b32 s16, 0
	s_mov_b32 s39, 0
	;; [unrolled: 1-line block ×3, first 2 shown]
                                        ; implicit-def: $sgpr34
                                        ; implicit-def: $sgpr35
                                        ; implicit-def: $sgpr36
	s_mov_b32 s0, exec_lo
	v_cmpx_lt_i32_e32 2, v16
	s_xor_b32 s37, exec_lo, s0
	s_cbranch_execz .LBB82_55
; %bb.44:                               ;   in Loop: Header=BB82_3 Depth=1
	s_mov_b32 s0, -1
	s_mov_b32 s38, 0
	s_mov_b32 s35, exec_lo
                                        ; implicit-def: $sgpr17
                                        ; implicit-def: $sgpr34
	v_cmpx_lt_i32_e32 3, v16
	s_cbranch_execz .LBB82_50
; %bb.45:                               ;   in Loop: Header=BB82_3 Depth=1
	s_mov_b32 s0, 0
	s_mov_b32 s39, -1
	s_mov_b32 s36, exec_lo
                                        ; implicit-def: $sgpr17
                                        ; implicit-def: $sgpr34
	v_cmpx_eq_u32_e32 4, v16
	s_cbranch_execz .LBB82_49
; %bb.46:                               ;   in Loop: Header=BB82_3 Depth=1
	v_cmp_le_f32_e32 vcc_lo, 0, v0
	v_cmp_ge_f32_e64 s0, 1.0, v0
	s_mov_b32 s17, 0
	s_delay_alu instid0(VALU_DEP_1)
	s_and_b32 s39, vcc_lo, s0
	s_mov_b32 s0, 0
	s_and_saveexec_b32 s34, s39
	s_cbranch_execz .LBB82_48
; %bb.47:                               ;   in Loop: Header=BB82_3 Depth=1
	v_cvt_f32_u32_e32 v17, v18
	v_lshlrev_b64 v[11:12], 2, v[11:12]
	s_mov_b32 s0, exec_lo
	s_delay_alu instid0(VALU_DEP_2) | instskip(NEXT) | instid1(VALU_DEP_2)
	v_fmaak_f32 v17, 0x2f800000, v17, 0x2f800000
	v_add_co_u32 v11, vcc_lo, s10, v11
	s_delay_alu instid0(VALU_DEP_3) | instskip(NEXT) | instid1(VALU_DEP_3)
	v_add_co_ci_u32_e32 v12, vcc_lo, s11, v12, vcc_lo
	v_cmp_le_f32_e32 vcc_lo, v17, v0
	v_cndmask_b32_e64 v0, 0, 1.0, vcc_lo
	global_store_b32 v[11:12], v0, off
.LBB82_48:                              ;   in Loop: Header=BB82_3 Depth=1
	s_or_b32 exec_lo, exec_lo, s34
	s_mov_b32 s34, -1
	s_xor_b32 s39, exec_lo, -1
	s_and_b32 s0, s0, exec_lo
.LBB82_49:                              ;   in Loop: Header=BB82_3 Depth=1
	s_or_b32 exec_lo, exec_lo, s36
	s_delay_alu instid0(SALU_CYCLE_1)
	s_and_b32 s39, s39, exec_lo
	s_or_not1_b32 s0, s0, exec_lo
.LBB82_50:                              ;   in Loop: Header=BB82_3 Depth=1
	s_or_b32 exec_lo, exec_lo, s35
	s_mov_b32 s36, s17
	s_and_saveexec_b32 s35, s0
	s_cbranch_execz .LBB82_54
; %bb.51:                               ;   in Loop: Header=BB82_3 Depth=1
	v_lshlrev_b64 v[9:10], 2, v[9:10]
	s_delay_alu instid0(VALU_DEP_1) | instskip(NEXT) | instid1(VALU_DEP_2)
	v_add_co_u32 v9, vcc_lo, s8, v9
	v_add_co_ci_u32_e32 v10, vcc_lo, s9, v10, vcc_lo
	global_load_b32 v0, v[9:10], off
	s_waitcnt vmcnt(0)
	v_cmp_le_f32_e32 vcc_lo, 0, v0
	v_cmp_ge_f32_e64 s0, 1.0, v0
	s_delay_alu instid0(VALU_DEP_1) | instskip(SKIP_2) | instid1(SALU_CYCLE_1)
	s_and_b32 s36, vcc_lo, s0
	s_mov_b32 s0, 0
	s_and_saveexec_b32 s38, s36
	s_xor_b32 s36, exec_lo, s38
	s_cbranch_execz .LBB82_53
; %bb.52:                               ;   in Loop: Header=BB82_3 Depth=1
	v_cvt_f32_u32_e32 v10, v15
	v_mov_b32_e32 v9, v4
	s_mov_b32 s0, exec_lo
	s_delay_alu instid0(VALU_DEP_2) | instskip(NEXT) | instid1(VALU_DEP_2)
	v_fmaak_f32 v10, 0x2f800000, v10, 0x2f800000
	v_lshlrev_b64 v[8:9], 2, v[8:9]
	s_delay_alu instid0(VALU_DEP_1) | instskip(NEXT) | instid1(VALU_DEP_2)
	v_add_co_u32 v8, vcc_lo, s10, v8
	v_add_co_ci_u32_e32 v9, vcc_lo, s11, v9, vcc_lo
	s_delay_alu instid0(VALU_DEP_4)
	v_cmp_le_f32_e32 vcc_lo, v10, v0
	v_cndmask_b32_e64 v0, 0, 1.0, vcc_lo
	global_store_b32 v[8:9], v0, off
.LBB82_53:                              ;   in Loop: Header=BB82_3 Depth=1
	s_or_b32 exec_lo, exec_lo, s36
	s_delay_alu instid0(SALU_CYCLE_1)
	s_and_not1_b32 s36, s17, exec_lo
	s_or_b32 s17, s17, exec_lo
	s_and_not1_b32 s34, s34, exec_lo
	s_and_b32 s38, s0, exec_lo
.LBB82_54:                              ;   in Loop: Header=BB82_3 Depth=1
	s_or_b32 exec_lo, exec_lo, s35
	s_delay_alu instid0(SALU_CYCLE_1)
	s_and_b32 s36, s36, exec_lo
	s_and_b32 s35, s17, exec_lo
	;; [unrolled: 1-line block ×5, first 2 shown]
.LBB82_55:                              ;   in Loop: Header=BB82_3 Depth=1
	s_and_not1_saveexec_b32 s0, s37
; %bb.56:                               ;   in Loop: Header=BB82_3 Depth=1
	v_cmp_lt_i32_e32 vcc_lo, 1, v16
	s_and_not1_b32 s37, s39, exec_lo
	s_mov_b32 s16, exec_lo
	s_and_not1_b32 s36, s36, exec_lo
	s_and_not1_b32 s35, s35, exec_lo
	s_and_b32 s38, vcc_lo, exec_lo
	s_and_not1_b32 s34, s34, exec_lo
	s_or_b32 s39, s37, s38
; %bb.57:                               ;   in Loop: Header=BB82_3 Depth=1
	s_or_b32 exec_lo, exec_lo, s0
	s_mov_b32 s0, 0
	s_mov_b32 s37, s36
	s_and_saveexec_b32 s38, s39
	s_cbranch_execnz .LBB82_60
; %bb.58:                               ;   in Loop: Header=BB82_3 Depth=1
	s_or_b32 exec_lo, exec_lo, s38
	s_and_saveexec_b32 s38, s16
	s_cbranch_execnz .LBB82_63
.LBB82_59:                              ;   in Loop: Header=BB82_3 Depth=1
	s_or_b32 exec_lo, exec_lo, s38
	s_and_saveexec_b32 s16, s0
	s_cbranch_execnz .LBB82_64
	s_branch .LBB82_67
.LBB82_60:                              ;   in Loop: Header=BB82_3 Depth=1
	v_lshlrev_b64 v[8:9], 2, v[3:4]
	s_mov_b32 s39, 0
	s_delay_alu instid0(VALU_DEP_1) | instskip(NEXT) | instid1(VALU_DEP_2)
	v_add_co_u32 v8, vcc_lo, s8, v8
	v_add_co_ci_u32_e32 v9, vcc_lo, s9, v9, vcc_lo
	global_load_b32 v0, v[8:9], off
	s_waitcnt vmcnt(0)
	v_cmp_le_f32_e32 vcc_lo, 0, v0
	v_cmp_ge_f32_e64 s0, 1.0, v0
	s_delay_alu instid0(VALU_DEP_1) | instskip(NEXT) | instid1(SALU_CYCLE_1)
	s_and_b32 s0, vcc_lo, s0
	s_and_saveexec_b32 s37, s0
	s_delay_alu instid0(SALU_CYCLE_1)
	s_xor_b32 s0, exec_lo, s37
	s_cbranch_execz .LBB82_62
; %bb.61:                               ;   in Loop: Header=BB82_3 Depth=1
	v_cvt_f32_u32_e32 v3, v14
	v_mov_b32_e32 v8, v4
	s_mov_b32 s39, exec_lo
	s_delay_alu instid0(VALU_DEP_2) | instskip(NEXT) | instid1(VALU_DEP_2)
	v_fmaak_f32 v3, 0x2f800000, v3, 0x2f800000
	v_lshlrev_b64 v[7:8], 2, v[7:8]
	s_delay_alu instid0(VALU_DEP_1) | instskip(NEXT) | instid1(VALU_DEP_2)
	v_add_co_u32 v7, vcc_lo, s10, v7
	v_add_co_ci_u32_e32 v8, vcc_lo, s11, v8, vcc_lo
	s_delay_alu instid0(VALU_DEP_4)
	v_cmp_le_f32_e32 vcc_lo, v3, v0
	v_cndmask_b32_e64 v0, 0, 1.0, vcc_lo
	global_store_b32 v[7:8], v0, off
.LBB82_62:                              ;   in Loop: Header=BB82_3 Depth=1
	s_or_b32 exec_lo, exec_lo, s0
	s_delay_alu instid0(SALU_CYCLE_1)
	s_and_not1_b32 s37, s36, exec_lo
	s_or_b32 s36, s36, exec_lo
	s_and_not1_b32 s35, s35, exec_lo
	s_and_not1_b32 s34, s34, exec_lo
	s_and_b32 s0, s39, exec_lo
	s_and_not1_b32 s16, s16, exec_lo
	s_or_b32 exec_lo, exec_lo, s38
	s_and_saveexec_b32 s38, s16
	s_cbranch_execz .LBB82_59
.LBB82_63:                              ;   in Loop: Header=BB82_3 Depth=1
	v_cmp_eq_u32_e32 vcc_lo, 1, v16
	s_and_not1_b32 s0, s0, exec_lo
	s_and_not1_b32 s37, s37, exec_lo
	;; [unrolled: 1-line block ×4, first 2 shown]
	s_and_b32 s16, vcc_lo, exec_lo
	s_and_not1_b32 s34, s34, exec_lo
	s_or_b32 s17, s17, exec_lo
	s_or_b32 s0, s0, s16
	s_or_b32 exec_lo, exec_lo, s38
	s_and_saveexec_b32 s16, s0
	s_cbranch_execz .LBB82_67
.LBB82_64:                              ;   in Loop: Header=BB82_3 Depth=1
	v_mov_b32_e32 v7, v4
	s_mov_b32 s38, 0
	s_delay_alu instid0(VALU_DEP_1) | instskip(NEXT) | instid1(VALU_DEP_1)
	v_lshlrev_b64 v[6:7], 2, v[6:7]
	v_add_co_u32 v6, vcc_lo, s8, v6
	s_delay_alu instid0(VALU_DEP_2) | instskip(SKIP_4) | instid1(VALU_DEP_1)
	v_add_co_ci_u32_e32 v7, vcc_lo, s9, v7, vcc_lo
	global_load_b32 v0, v[6:7], off
	s_waitcnt vmcnt(0)
	v_cmp_le_f32_e32 vcc_lo, 0, v0
	v_cmp_ge_f32_e64 s0, 1.0, v0
	s_and_b32 s39, vcc_lo, s0
	s_delay_alu instid0(SALU_CYCLE_1)
	s_and_saveexec_b32 s0, s39
	s_cbranch_execz .LBB82_66
; %bb.65:                               ;   in Loop: Header=BB82_3 Depth=1
	v_cvt_f32_u32_e32 v3, v13
	v_mov_b32_e32 v6, v4
	s_mov_b32 s38, exec_lo
	s_delay_alu instid0(VALU_DEP_2) | instskip(NEXT) | instid1(VALU_DEP_2)
	v_fmaak_f32 v3, 0x2f800000, v3, 0x2f800000
	v_lshlrev_b64 v[5:6], 2, v[5:6]
	s_delay_alu instid0(VALU_DEP_1) | instskip(NEXT) | instid1(VALU_DEP_2)
	v_add_co_u32 v5, vcc_lo, s10, v5
	v_add_co_ci_u32_e32 v6, vcc_lo, s11, v6, vcc_lo
	s_delay_alu instid0(VALU_DEP_4)
	v_cmp_le_f32_e32 vcc_lo, v3, v0
	v_cndmask_b32_e64 v0, 0, 1.0, vcc_lo
	global_store_b32 v[5:6], v0, off
.LBB82_66:                              ;   in Loop: Header=BB82_3 Depth=1
	s_or_b32 exec_lo, exec_lo, s0
	s_delay_alu instid0(SALU_CYCLE_1)
	s_and_not1_b32 s0, s17, exec_lo
	s_and_b32 s17, s38, exec_lo
	s_or_b32 s37, s37, exec_lo
	s_and_not1_b32 s36, s36, exec_lo
	s_and_not1_b32 s35, s35, exec_lo
	;; [unrolled: 1-line block ×3, first 2 shown]
	s_or_b32 s17, s0, s17
.LBB82_67:                              ;   in Loop: Header=BB82_3 Depth=1
	s_or_b32 exec_lo, exec_lo, s16
	s_delay_alu instid0(SALU_CYCLE_1)
	s_and_not1_b32 s16, s33, exec_lo
	s_and_b32 s33, s37, exec_lo
	s_and_not1_b32 s30, s30, exec_lo
	s_and_b32 s36, s36, exec_lo
	s_or_b32 s33, s16, s33
	s_and_not1_b32 s16, s31, exec_lo
	s_and_b32 s31, s35, exec_lo
	s_and_not1_b32 s29, s29, exec_lo
	s_and_b32 s34, s34, exec_lo
	s_mov_b32 s0, -1
	s_or_b32 s30, s30, s36
	s_or_b32 s31, s16, s31
	;; [unrolled: 1-line block ×3, first 2 shown]
	s_and_saveexec_b32 s16, s17
	s_cbranch_execz .LBB82_2
; %bb.68:                               ;   in Loop: Header=BB82_3 Depth=1
	v_add_nc_u32_e32 v30, s24, v30
	s_and_not1_b32 s33, s33, exec_lo
	s_and_not1_b32 s30, s30, exec_lo
	s_and_not1_b32 s31, s31, exec_lo
	s_and_not1_b32 s29, s29, exec_lo
	v_cmp_le_u32_e32 vcc_lo, s18, v30
	s_or_not1_b32 s0, vcc_lo, exec_lo
	s_branch .LBB82_2
.LBB82_69:
	s_or_b32 exec_lo, exec_lo, s1
	s_xor_b32 s3, s27, -1
	s_xor_b32 s4, s28, -1
	;; [unrolled: 1-line block ×3, first 2 shown]
	s_mov_b32 s1, 0
	s_and_saveexec_b32 s2, s0
	s_delay_alu instid0(SALU_CYCLE_1)
	s_xor_b32 s0, exec_lo, s2
	s_cbranch_execz .LBB82_78
; %bb.70:
	s_mov_b32 s2, 0
	s_and_saveexec_b32 s1, s4
	s_delay_alu instid0(SALU_CYCLE_1)
	s_xor_b32 s1, exec_lo, s1
	s_cbranch_execz .LBB82_76
; %bb.71:
	s_and_saveexec_b32 s4, s3
	s_delay_alu instid0(SALU_CYCLE_1)
	s_xor_b32 s3, exec_lo, s4
	s_cbranch_execz .LBB82_74
; %bb.72:
	s_and_saveexec_b32 s4, s23
	s_delay_alu instid0(SALU_CYCLE_1)
	s_xor_b32 s4, exec_lo, s4
	s_cbranch_execnz .LBB82_92
.LBB82_73:
	s_or_b32 exec_lo, exec_lo, s4
	s_delay_alu instid0(SALU_CYCLE_1)
	s_and_b32 s2, s2, exec_lo
.LBB82_74:
	s_and_not1_saveexec_b32 s3, s3
	s_cbranch_execnz .LBB82_88
.LBB82_75:
	s_or_b32 exec_lo, exec_lo, s3
	s_delay_alu instid0(SALU_CYCLE_1)
	s_and_b32 s2, s2, exec_lo
.LBB82_76:
	s_and_not1_saveexec_b32 s1, s1
	s_cbranch_execnz .LBB82_84
.LBB82_77:
	s_or_b32 exec_lo, exec_lo, s1
	s_delay_alu instid0(SALU_CYCLE_1)
	s_and_b32 s1, s2, exec_lo
.LBB82_78:
	s_and_not1_saveexec_b32 s0, s0
	s_cbranch_execnz .LBB82_82
; %bb.79:
	s_or_b32 exec_lo, exec_lo, s0
	s_delay_alu instid0(SALU_CYCLE_1)
	s_and_b32 exec_lo, exec_lo, s1
.LBB82_80:
	; divergent unreachable
.LBB82_81:
	s_nop 0
	s_sendmsg sendmsg(MSG_DEALLOC_VGPRS)
	s_endpgm
.LBB82_82:
	s_cbranch_execnz .LBB82_86
; %bb.83:
	s_or_b32 s1, s1, exec_lo
	s_or_b32 exec_lo, exec_lo, s0
	s_delay_alu instid0(SALU_CYCLE_1)
	s_and_b32 exec_lo, exec_lo, s1
	s_cbranch_execnz .LBB82_80
	s_branch .LBB82_81
.LBB82_84:
	s_cbranch_execnz .LBB82_90
; %bb.85:
	s_or_b32 s2, s2, exec_lo
	s_branch .LBB82_77
.LBB82_86:
	s_trap 2
	s_sendmsg_rtn_b32 s0, sendmsg(MSG_RTN_GET_DOORBELL)
	s_mov_b32 ttmp2, m0
	s_waitcnt lgkmcnt(0)
	s_and_b32 s0, s0, 0x3ff
	s_delay_alu instid0(SALU_CYCLE_1) | instskip(NEXT) | instid1(SALU_CYCLE_1)
	s_bitset1_b32 s0, 10
	s_mov_b32 m0, s0
	s_sendmsg sendmsg(MSG_INTERRUPT)
	s_mov_b32 m0, ttmp2
.LBB82_87:                              ; =>This Inner Loop Header: Depth=1
	s_sethalt 5
	s_branch .LBB82_87
.LBB82_88:
	s_cbranch_execnz .LBB82_94
; %bb.89:
	s_or_b32 s2, s2, exec_lo
	s_branch .LBB82_75
.LBB82_90:
	s_trap 2
	s_sendmsg_rtn_b32 s0, sendmsg(MSG_RTN_GET_DOORBELL)
	s_mov_b32 ttmp2, m0
	s_waitcnt lgkmcnt(0)
	s_and_b32 s0, s0, 0x3ff
	s_delay_alu instid0(SALU_CYCLE_1) | instskip(NEXT) | instid1(SALU_CYCLE_1)
	s_bitset1_b32 s0, 10
	s_mov_b32 m0, s0
	s_sendmsg sendmsg(MSG_INTERRUPT)
	s_mov_b32 m0, ttmp2
.LBB82_91:                              ; =>This Inner Loop Header: Depth=1
	s_sethalt 5
	s_branch .LBB82_91
.LBB82_92:
	s_cbranch_execnz .LBB82_96
; %bb.93:
	s_mov_b32 s2, exec_lo
	s_branch .LBB82_73
.LBB82_94:
	s_trap 2
	s_sendmsg_rtn_b32 s0, sendmsg(MSG_RTN_GET_DOORBELL)
	s_mov_b32 ttmp2, m0
	s_waitcnt lgkmcnt(0)
	s_and_b32 s0, s0, 0x3ff
	s_delay_alu instid0(SALU_CYCLE_1) | instskip(NEXT) | instid1(SALU_CYCLE_1)
	s_bitset1_b32 s0, 10
	s_mov_b32 m0, s0
	s_sendmsg sendmsg(MSG_INTERRUPT)
	s_mov_b32 m0, ttmp2
.LBB82_95:                              ; =>This Inner Loop Header: Depth=1
	s_sethalt 5
	s_branch .LBB82_95
.LBB82_96:
	s_trap 2
	s_sendmsg_rtn_b32 s0, sendmsg(MSG_RTN_GET_DOORBELL)
	s_mov_b32 ttmp2, m0
	s_waitcnt lgkmcnt(0)
	s_and_b32 s0, s0, 0x3ff
	s_delay_alu instid0(SALU_CYCLE_1) | instskip(NEXT) | instid1(SALU_CYCLE_1)
	s_bitset1_b32 s0, 10
	s_mov_b32 m0, s0
	s_sendmsg sendmsg(MSG_INTERRUPT)
	s_mov_b32 m0, ttmp2
.LBB82_97:                              ; =>This Inner Loop Header: Depth=1
	s_sethalt 5
	s_branch .LBB82_97
	.section	.rodata,"a",@progbits
	.p2align	6, 0x0
	.amdhsa_kernel _ZN2at4cuda12_GLOBAL__N_121kernelPointwiseApply2IZNS_6native9templates4cuda28bernoulli_tensor_cuda_kernelIffEEvRKNS_10TensorBaseES9_NS_15PhiloxCudaStateEEUliRfSB_SB_SB_RKfSD_SD_SD_E_fSC_jLi2ELin1ELi4ELi512ELi2EEEvNS0_6detail10TensorInfoIT0_T2_EENSG_IT1_SI_EESI_T_
		.amdhsa_group_segment_fixed_size 0
		.amdhsa_private_segment_fixed_size 0
		.amdhsa_kernarg_size 728
		.amdhsa_user_sgpr_count 15
		.amdhsa_user_sgpr_dispatch_ptr 0
		.amdhsa_user_sgpr_queue_ptr 0
		.amdhsa_user_sgpr_kernarg_segment_ptr 1
		.amdhsa_user_sgpr_dispatch_id 0
		.amdhsa_user_sgpr_private_segment_size 0
		.amdhsa_wavefront_size32 1
		.amdhsa_uses_dynamic_stack 0
		.amdhsa_enable_private_segment 0
		.amdhsa_system_sgpr_workgroup_id_x 1
		.amdhsa_system_sgpr_workgroup_id_y 0
		.amdhsa_system_sgpr_workgroup_id_z 0
		.amdhsa_system_sgpr_workgroup_info 0
		.amdhsa_system_vgpr_workitem_id 0
		.amdhsa_next_free_vgpr 42
		.amdhsa_next_free_sgpr 40
		.amdhsa_reserve_vcc 1
		.amdhsa_float_round_mode_32 0
		.amdhsa_float_round_mode_16_64 0
		.amdhsa_float_denorm_mode_32 3
		.amdhsa_float_denorm_mode_16_64 3
		.amdhsa_dx10_clamp 1
		.amdhsa_ieee_mode 1
		.amdhsa_fp16_overflow 0
		.amdhsa_workgroup_processor_mode 1
		.amdhsa_memory_ordered 1
		.amdhsa_forward_progress 0
		.amdhsa_shared_vgpr_count 0
		.amdhsa_exception_fp_ieee_invalid_op 0
		.amdhsa_exception_fp_denorm_src 0
		.amdhsa_exception_fp_ieee_div_zero 0
		.amdhsa_exception_fp_ieee_overflow 0
		.amdhsa_exception_fp_ieee_underflow 0
		.amdhsa_exception_fp_ieee_inexact 0
		.amdhsa_exception_int_div_zero 0
	.end_amdhsa_kernel
	.section	.text._ZN2at4cuda12_GLOBAL__N_121kernelPointwiseApply2IZNS_6native9templates4cuda28bernoulli_tensor_cuda_kernelIffEEvRKNS_10TensorBaseES9_NS_15PhiloxCudaStateEEUliRfSB_SB_SB_RKfSD_SD_SD_E_fSC_jLi2ELin1ELi4ELi512ELi2EEEvNS0_6detail10TensorInfoIT0_T2_EENSG_IT1_SI_EESI_T_,"axG",@progbits,_ZN2at4cuda12_GLOBAL__N_121kernelPointwiseApply2IZNS_6native9templates4cuda28bernoulli_tensor_cuda_kernelIffEEvRKNS_10TensorBaseES9_NS_15PhiloxCudaStateEEUliRfSB_SB_SB_RKfSD_SD_SD_E_fSC_jLi2ELin1ELi4ELi512ELi2EEEvNS0_6detail10TensorInfoIT0_T2_EENSG_IT1_SI_EESI_T_,comdat
.Lfunc_end82:
	.size	_ZN2at4cuda12_GLOBAL__N_121kernelPointwiseApply2IZNS_6native9templates4cuda28bernoulli_tensor_cuda_kernelIffEEvRKNS_10TensorBaseES9_NS_15PhiloxCudaStateEEUliRfSB_SB_SB_RKfSD_SD_SD_E_fSC_jLi2ELin1ELi4ELi512ELi2EEEvNS0_6detail10TensorInfoIT0_T2_EENSG_IT1_SI_EESI_T_, .Lfunc_end82-_ZN2at4cuda12_GLOBAL__N_121kernelPointwiseApply2IZNS_6native9templates4cuda28bernoulli_tensor_cuda_kernelIffEEvRKNS_10TensorBaseES9_NS_15PhiloxCudaStateEEUliRfSB_SB_SB_RKfSD_SD_SD_E_fSC_jLi2ELin1ELi4ELi512ELi2EEEvNS0_6detail10TensorInfoIT0_T2_EENSG_IT1_SI_EESI_T_
                                        ; -- End function
	.section	.AMDGPU.csdata,"",@progbits
; Kernel info:
; codeLenInByte = 4884
; NumSgprs: 42
; NumVgprs: 42
; ScratchSize: 0
; MemoryBound: 0
; FloatMode: 240
; IeeeMode: 1
; LDSByteSize: 0 bytes/workgroup (compile time only)
; SGPRBlocks: 5
; VGPRBlocks: 5
; NumSGPRsForWavesPerEU: 42
; NumVGPRsForWavesPerEU: 42
; Occupancy: 16
; WaveLimiterHint : 1
; COMPUTE_PGM_RSRC2:SCRATCH_EN: 0
; COMPUTE_PGM_RSRC2:USER_SGPR: 15
; COMPUTE_PGM_RSRC2:TRAP_HANDLER: 0
; COMPUTE_PGM_RSRC2:TGID_X_EN: 1
; COMPUTE_PGM_RSRC2:TGID_Y_EN: 0
; COMPUTE_PGM_RSRC2:TGID_Z_EN: 0
; COMPUTE_PGM_RSRC2:TIDIG_COMP_CNT: 0
	.section	.text._ZN2at4cuda12_GLOBAL__N_121kernelPointwiseApply2IZNS_6native9templates4cuda28bernoulli_tensor_cuda_kernelIffEEvRKNS_10TensorBaseES9_NS_15PhiloxCudaStateEEUliRfSB_SB_SB_RKfSD_SD_SD_E_fSC_jLin1ELi1ELi4ELi512ELi2EEEvNS0_6detail10TensorInfoIT0_T2_EENSG_IT1_SI_EESI_T_,"axG",@progbits,_ZN2at4cuda12_GLOBAL__N_121kernelPointwiseApply2IZNS_6native9templates4cuda28bernoulli_tensor_cuda_kernelIffEEvRKNS_10TensorBaseES9_NS_15PhiloxCudaStateEEUliRfSB_SB_SB_RKfSD_SD_SD_E_fSC_jLin1ELi1ELi4ELi512ELi2EEEvNS0_6detail10TensorInfoIT0_T2_EENSG_IT1_SI_EESI_T_,comdat
	.globl	_ZN2at4cuda12_GLOBAL__N_121kernelPointwiseApply2IZNS_6native9templates4cuda28bernoulli_tensor_cuda_kernelIffEEvRKNS_10TensorBaseES9_NS_15PhiloxCudaStateEEUliRfSB_SB_SB_RKfSD_SD_SD_E_fSC_jLin1ELi1ELi4ELi512ELi2EEEvNS0_6detail10TensorInfoIT0_T2_EENSG_IT1_SI_EESI_T_ ; -- Begin function _ZN2at4cuda12_GLOBAL__N_121kernelPointwiseApply2IZNS_6native9templates4cuda28bernoulli_tensor_cuda_kernelIffEEvRKNS_10TensorBaseES9_NS_15PhiloxCudaStateEEUliRfSB_SB_SB_RKfSD_SD_SD_E_fSC_jLin1ELi1ELi4ELi512ELi2EEEvNS0_6detail10TensorInfoIT0_T2_EENSG_IT1_SI_EESI_T_
	.p2align	8
	.type	_ZN2at4cuda12_GLOBAL__N_121kernelPointwiseApply2IZNS_6native9templates4cuda28bernoulli_tensor_cuda_kernelIffEEvRKNS_10TensorBaseES9_NS_15PhiloxCudaStateEEUliRfSB_SB_SB_RKfSD_SD_SD_E_fSC_jLin1ELi1ELi4ELi512ELi2EEEvNS0_6detail10TensorInfoIT0_T2_EENSG_IT1_SI_EESI_T_,@function
_ZN2at4cuda12_GLOBAL__N_121kernelPointwiseApply2IZNS_6native9templates4cuda28bernoulli_tensor_cuda_kernelIffEEvRKNS_10TensorBaseES9_NS_15PhiloxCudaStateEEUliRfSB_SB_SB_RKfSD_SD_SD_E_fSC_jLin1ELi1ELi4ELi512ELi2EEEvNS0_6detail10TensorInfoIT0_T2_EENSG_IT1_SI_EESI_T_: ; @_ZN2at4cuda12_GLOBAL__N_121kernelPointwiseApply2IZNS_6native9templates4cuda28bernoulli_tensor_cuda_kernelIffEEvRKNS_10TensorBaseES9_NS_15PhiloxCudaStateEEUliRfSB_SB_SB_RKfSD_SD_SD_E_fSC_jLin1ELi1ELi4ELi512ELi2EEEvNS0_6detail10TensorInfoIT0_T2_EENSG_IT1_SI_EESI_T_
; %bb.0:
	s_clause 0x1
	s_load_b32 s4, s[0:1], 0x1e4
	s_load_b32 s20, s[0:1], 0x1b0
	s_add_u32 s2, s0, 0x1d8
	s_addc_u32 s3, s1, 0
	s_waitcnt lgkmcnt(0)
	s_and_b32 s14, s4, 0xffff
	s_mov_b32 s4, exec_lo
	v_mad_u64_u32 v[1:2], null, s15, s14, v[0:1]
	s_delay_alu instid0(VALU_DEP_1) | instskip(NEXT) | instid1(VALU_DEP_1)
	v_lshlrev_b32_e32 v29, 2, v1
	v_cmpx_gt_u32_e64 s20, v29
	s_cbranch_execz .LBB83_73
; %bb.1:
	s_load_b32 s16, s[0:1], 0xd0
	s_load_b32 s2, s[2:3], 0x0
	s_clause 0x6
	s_load_b32 s3, s[0:1], 0x1d0
	s_load_b64 s[8:9], s[0:1], 0xd8
	s_load_b64 s[10:11], s[0:1], 0x1c8
	s_load_b32 s21, s[0:1], 0x144
	s_load_b128 s[4:7], s[0:1], 0x1b8
	s_load_b32 s22, s[0:1], 0x6c
	s_load_b64 s[12:13], s[0:1], 0x0
	v_mad_u64_u32 v[2:3], null, 0xcd9e8d57, v1, 0
	s_mov_b32 s15, 0
	v_mov_b32_e32 v4, 0
                                        ; implicit-def: $sgpr27
                                        ; implicit-def: $sgpr29
                                        ; implicit-def: $sgpr28
                                        ; implicit-def: $sgpr30
                                        ; implicit-def: $sgpr33
                                        ; implicit-def: $sgpr31
                                        ; implicit-def: $sgpr34
	s_delay_alu instid0(VALU_DEP_2)
	v_mov_b32_e32 v30, v3
	s_waitcnt lgkmcnt(0)
	s_cmp_gt_i32 s16, 1
	s_mul_i32 s2, s2, s14
	s_cselect_b32 s23, -1, 0
	s_bitcmp1_b32 s3, 0
	s_cselect_b32 s24, -1, 0
	s_add_i32 s14, s16, -1
	s_lshl_b32 s25, s2, 2
	s_lshl_b64 s[2:3], s[14:15], 2
	s_add_i32 s26, s16, 1
	s_add_u32 s0, s2, s0
	s_addc_u32 s1, s3, s1
	s_add_u32 s16, s0, 8
	s_addc_u32 s17, s1, 0
                                        ; implicit-def: $sgpr14
	s_branch .LBB83_3
.LBB83_2:                               ;   in Loop: Header=BB83_3 Depth=1
	s_or_b32 exec_lo, exec_lo, s1
	s_delay_alu instid0(SALU_CYCLE_1) | instskip(NEXT) | instid1(SALU_CYCLE_1)
	s_and_b32 s0, exec_lo, s0
	s_or_b32 s15, s0, s15
	s_and_not1_b32 s0, s14, exec_lo
	s_and_b32 s1, s34, exec_lo
	s_and_not1_b32 s2, s28, exec_lo
	s_and_b32 s3, s31, exec_lo
	s_or_b32 s14, s0, s1
	s_or_b32 s28, s2, s3
	s_and_not1_b32 s0, s29, exec_lo
	s_and_b32 s1, s33, exec_lo
	s_and_not1_b32 s2, s27, exec_lo
	s_and_b32 s3, s30, exec_lo
	s_or_b32 s29, s0, s1
	s_or_b32 s27, s2, s3
	s_and_not1_b32 exec_lo, exec_lo, s15
	s_cbranch_execz .LBB83_61
.LBB83_3:                               ; =>This Loop Header: Depth=1
                                        ;     Child Loop BB83_6 Depth 2
                                        ;     Child Loop BB83_11 Depth 2
                                        ;     Child Loop BB83_16 Depth 2
                                        ;     Child Loop BB83_21 Depth 2
	v_sub_nc_u32_e32 v31, s20, v29
	v_mov_b32_e32 v5, 0
	s_delay_alu instid0(VALU_DEP_2) | instskip(NEXT) | instid1(VALU_DEP_1)
	v_cmp_lt_i32_e64 s0, 0, v31
	s_and_saveexec_b32 s1, s0
	s_cbranch_execz .LBB83_8
; %bb.4:                                ;   in Loop: Header=BB83_3 Depth=1
	v_dual_mov_b32 v0, 0 :: v_dual_mov_b32 v3, v29
	s_and_not1_b32 vcc_lo, exec_lo, s23
	s_cbranch_vccnz .LBB83_7
; %bb.5:                                ;   in Loop: Header=BB83_3 Depth=1
	v_dual_mov_b32 v0, 0 :: v_dual_mov_b32 v3, v29
	s_mov_b64 s[2:3], s[16:17]
	s_mov_b32 s18, s26
	s_set_inst_prefetch_distance 0x1
	.p2align	6
.LBB83_6:                               ;   Parent Loop BB83_3 Depth=1
                                        ; =>  This Inner Loop Header: Depth=2
	s_clause 0x1
	s_load_b32 s19, s[2:3], 0x0
	s_load_b32 s35, s[2:3], 0x64
	v_mov_b32_e32 v7, v3
	s_add_i32 s18, s18, -1
	s_waitcnt lgkmcnt(0)
	v_cvt_f32_u32_e32 v5, s19
	s_sub_i32 s36, 0, s19
	s_add_u32 s2, s2, -4
	s_addc_u32 s3, s3, -1
	s_cmp_gt_u32 s18, 2
	v_rcp_iflag_f32_e32 v5, v5
	s_waitcnt_depctr 0xfff
	v_mul_f32_e32 v5, 0x4f7ffffe, v5
	s_delay_alu instid0(VALU_DEP_1) | instskip(NEXT) | instid1(VALU_DEP_1)
	v_cvt_u32_f32_e32 v5, v5
	v_mul_lo_u32 v6, s36, v5
	s_delay_alu instid0(VALU_DEP_1) | instskip(NEXT) | instid1(VALU_DEP_1)
	v_mul_hi_u32 v6, v5, v6
	v_add_nc_u32_e32 v3, v5, v6
	s_delay_alu instid0(VALU_DEP_1) | instskip(NEXT) | instid1(VALU_DEP_1)
	v_mul_hi_u32 v3, v7, v3
	v_add_nc_u32_e32 v6, 1, v3
	v_mul_lo_u32 v5, v3, s19
	s_delay_alu instid0(VALU_DEP_1) | instskip(NEXT) | instid1(VALU_DEP_1)
	v_sub_nc_u32_e32 v5, v7, v5
	v_subrev_nc_u32_e32 v8, s19, v5
	v_cmp_le_u32_e32 vcc_lo, s19, v5
	v_cndmask_b32_e32 v3, v3, v6, vcc_lo
	s_delay_alu instid0(VALU_DEP_1) | instskip(NEXT) | instid1(VALU_DEP_1)
	v_dual_cndmask_b32 v5, v5, v8 :: v_dual_add_nc_u32 v6, 1, v3
	v_cmp_le_u32_e32 vcc_lo, s19, v5
	s_delay_alu instid0(VALU_DEP_2) | instskip(NEXT) | instid1(VALU_DEP_1)
	v_cndmask_b32_e32 v3, v3, v6, vcc_lo
	v_mul_lo_u32 v5, v3, s19
	s_delay_alu instid0(VALU_DEP_1) | instskip(NEXT) | instid1(VALU_DEP_1)
	v_sub_nc_u32_e32 v7, v7, v5
	v_mad_u64_u32 v[5:6], null, s35, v7, v[0:1]
	s_delay_alu instid0(VALU_DEP_1)
	v_mov_b32_e32 v0, v5
	s_cbranch_scc1 .LBB83_6
.LBB83_7:                               ;   in Loop: Header=BB83_3 Depth=1
	s_set_inst_prefetch_distance 0x2
	s_delay_alu instid0(VALU_DEP_1)
	v_mad_u64_u32 v[5:6], null, s22, v3, v[0:1]
.LBB83_8:                               ;   in Loop: Header=BB83_3 Depth=1
	s_or_b32 exec_lo, exec_lo, s1
	v_mov_b32_e32 v6, 0
	v_mov_b32_e32 v7, 0
	v_cmp_lt_i32_e64 s1, 1, v31
	s_delay_alu instid0(VALU_DEP_1)
	s_and_saveexec_b32 s18, s1
	s_cbranch_execz .LBB83_13
; %bb.9:                                ;   in Loop: Header=BB83_3 Depth=1
	v_or_b32_e32 v3, 1, v29
	v_mov_b32_e32 v0, 0
	s_and_not1_b32 vcc_lo, exec_lo, s23
	s_cbranch_vccnz .LBB83_12
; %bb.10:                               ;   in Loop: Header=BB83_3 Depth=1
	v_mov_b32_e32 v0, 0
	s_mov_b64 s[2:3], s[16:17]
	s_mov_b32 s19, s26
	s_set_inst_prefetch_distance 0x1
	.p2align	6
.LBB83_11:                              ;   Parent Loop BB83_3 Depth=1
                                        ; =>  This Inner Loop Header: Depth=2
	s_clause 0x1
	s_load_b32 s35, s[2:3], 0x0
	s_load_b32 s36, s[2:3], 0x64
	s_add_i32 s19, s19, -1
	s_waitcnt lgkmcnt(0)
	v_cvt_f32_u32_e32 v6, s35
	s_sub_i32 s37, 0, s35
	s_add_u32 s2, s2, -4
	s_addc_u32 s3, s3, -1
	s_cmp_gt_u32 s19, 2
	v_rcp_iflag_f32_e32 v6, v6
	s_waitcnt_depctr 0xfff
	v_mul_f32_e32 v6, 0x4f7ffffe, v6
	s_delay_alu instid0(VALU_DEP_1) | instskip(NEXT) | instid1(VALU_DEP_1)
	v_cvt_u32_f32_e32 v6, v6
	v_mul_lo_u32 v7, s37, v6
	s_delay_alu instid0(VALU_DEP_1) | instskip(NEXT) | instid1(VALU_DEP_1)
	v_mul_hi_u32 v7, v6, v7
	v_dual_mov_b32 v8, v3 :: v_dual_add_nc_u32 v3, v6, v7
	s_delay_alu instid0(VALU_DEP_1) | instskip(NEXT) | instid1(VALU_DEP_1)
	v_mul_hi_u32 v3, v8, v3
	v_mul_lo_u32 v6, v3, s35
	v_add_nc_u32_e32 v7, 1, v3
	s_delay_alu instid0(VALU_DEP_2) | instskip(NEXT) | instid1(VALU_DEP_1)
	v_sub_nc_u32_e32 v6, v8, v6
	v_subrev_nc_u32_e32 v9, s35, v6
	v_cmp_le_u32_e32 vcc_lo, s35, v6
	s_delay_alu instid0(VALU_DEP_2) | instskip(NEXT) | instid1(VALU_DEP_1)
	v_dual_cndmask_b32 v3, v3, v7 :: v_dual_cndmask_b32 v6, v6, v9
	v_add_nc_u32_e32 v7, 1, v3
	s_delay_alu instid0(VALU_DEP_2) | instskip(NEXT) | instid1(VALU_DEP_2)
	v_cmp_le_u32_e32 vcc_lo, s35, v6
	v_cndmask_b32_e32 v3, v3, v7, vcc_lo
	s_delay_alu instid0(VALU_DEP_1) | instskip(NEXT) | instid1(VALU_DEP_1)
	v_mul_lo_u32 v6, v3, s35
	v_sub_nc_u32_e32 v8, v8, v6
	s_delay_alu instid0(VALU_DEP_1) | instskip(NEXT) | instid1(VALU_DEP_1)
	v_mad_u64_u32 v[6:7], null, s36, v8, v[0:1]
	v_mov_b32_e32 v0, v6
	s_cbranch_scc1 .LBB83_11
.LBB83_12:                              ;   in Loop: Header=BB83_3 Depth=1
	s_set_inst_prefetch_distance 0x2
	s_delay_alu instid0(VALU_DEP_1)
	v_mad_u64_u32 v[6:7], null, s22, v3, v[0:1]
	v_mov_b32_e32 v7, v4
.LBB83_13:                              ;   in Loop: Header=BB83_3 Depth=1
	s_or_b32 exec_lo, exec_lo, s18
	v_mov_b32_e32 v8, 0
	v_mov_b32_e32 v9, 0
	v_cmp_lt_i32_e64 s2, 2, v31
	s_delay_alu instid0(VALU_DEP_1)
	s_and_saveexec_b32 s3, s2
	s_cbranch_execz .LBB83_18
; %bb.14:                               ;   in Loop: Header=BB83_3 Depth=1
	v_or_b32_e32 v3, 2, v29
	v_mov_b32_e32 v0, 0
	s_and_not1_b32 vcc_lo, exec_lo, s23
	s_cbranch_vccnz .LBB83_17
; %bb.15:                               ;   in Loop: Header=BB83_3 Depth=1
	v_mov_b32_e32 v0, 0
	s_mov_b64 s[18:19], s[16:17]
	s_mov_b32 s35, s26
	s_set_inst_prefetch_distance 0x1
	.p2align	6
.LBB83_16:                              ;   Parent Loop BB83_3 Depth=1
                                        ; =>  This Inner Loop Header: Depth=2
	s_clause 0x1
	s_load_b32 s36, s[18:19], 0x0
	s_load_b32 s37, s[18:19], 0x64
	s_add_i32 s35, s35, -1
	s_waitcnt lgkmcnt(0)
	v_cvt_f32_u32_e32 v8, s36
	s_sub_i32 s38, 0, s36
	s_add_u32 s18, s18, -4
	s_addc_u32 s19, s19, -1
	s_cmp_gt_u32 s35, 2
	v_rcp_iflag_f32_e32 v8, v8
	s_waitcnt_depctr 0xfff
	v_mul_f32_e32 v8, 0x4f7ffffe, v8
	s_delay_alu instid0(VALU_DEP_1) | instskip(NEXT) | instid1(VALU_DEP_1)
	v_cvt_u32_f32_e32 v8, v8
	v_mul_lo_u32 v9, s38, v8
	s_delay_alu instid0(VALU_DEP_1) | instskip(NEXT) | instid1(VALU_DEP_1)
	v_mul_hi_u32 v9, v8, v9
	v_dual_mov_b32 v10, v3 :: v_dual_add_nc_u32 v3, v8, v9
	s_delay_alu instid0(VALU_DEP_1) | instskip(NEXT) | instid1(VALU_DEP_1)
	v_mul_hi_u32 v3, v10, v3
	v_mul_lo_u32 v8, v3, s36
	v_add_nc_u32_e32 v9, 1, v3
	s_delay_alu instid0(VALU_DEP_2) | instskip(NEXT) | instid1(VALU_DEP_1)
	v_sub_nc_u32_e32 v8, v10, v8
	v_subrev_nc_u32_e32 v11, s36, v8
	v_cmp_le_u32_e32 vcc_lo, s36, v8
	s_delay_alu instid0(VALU_DEP_2) | instskip(NEXT) | instid1(VALU_DEP_1)
	v_dual_cndmask_b32 v3, v3, v9 :: v_dual_cndmask_b32 v8, v8, v11
	v_add_nc_u32_e32 v9, 1, v3
	s_delay_alu instid0(VALU_DEP_2) | instskip(NEXT) | instid1(VALU_DEP_2)
	v_cmp_le_u32_e32 vcc_lo, s36, v8
	v_cndmask_b32_e32 v3, v3, v9, vcc_lo
	s_delay_alu instid0(VALU_DEP_1) | instskip(NEXT) | instid1(VALU_DEP_1)
	v_mul_lo_u32 v8, v3, s36
	v_sub_nc_u32_e32 v10, v10, v8
	s_delay_alu instid0(VALU_DEP_1) | instskip(NEXT) | instid1(VALU_DEP_1)
	v_mad_u64_u32 v[8:9], null, s37, v10, v[0:1]
	v_mov_b32_e32 v0, v8
	s_cbranch_scc1 .LBB83_16
.LBB83_17:                              ;   in Loop: Header=BB83_3 Depth=1
	s_set_inst_prefetch_distance 0x2
	s_delay_alu instid0(VALU_DEP_1)
	v_mad_u64_u32 v[8:9], null, s22, v3, v[0:1]
	v_mov_b32_e32 v9, v4
.LBB83_18:                              ;   in Loop: Header=BB83_3 Depth=1
	s_or_b32 exec_lo, exec_lo, s3
	v_mov_b32_e32 v12, 0
	v_mov_b32_e32 v13, 0
	v_cmp_lt_i32_e64 s3, 3, v31
	s_delay_alu instid0(VALU_DEP_1)
	s_and_saveexec_b32 s35, s3
	s_cbranch_execz .LBB83_23
; %bb.19:                               ;   in Loop: Header=BB83_3 Depth=1
	v_or_b32_e32 v3, 3, v29
	v_mov_b32_e32 v0, 0
	s_and_not1_b32 vcc_lo, exec_lo, s23
	s_cbranch_vccnz .LBB83_22
; %bb.20:                               ;   in Loop: Header=BB83_3 Depth=1
	v_mov_b32_e32 v0, 0
	s_mov_b64 s[18:19], s[16:17]
	s_mov_b32 s36, s26
	s_set_inst_prefetch_distance 0x1
	.p2align	6
.LBB83_21:                              ;   Parent Loop BB83_3 Depth=1
                                        ; =>  This Inner Loop Header: Depth=2
	s_clause 0x1
	s_load_b32 s37, s[18:19], 0x0
	s_load_b32 s38, s[18:19], 0x64
	s_add_i32 s36, s36, -1
	s_waitcnt lgkmcnt(0)
	v_cvt_f32_u32_e32 v10, s37
	s_sub_i32 s39, 0, s37
	s_add_u32 s18, s18, -4
	s_addc_u32 s19, s19, -1
	s_cmp_gt_u32 s36, 2
	v_rcp_iflag_f32_e32 v10, v10
	s_waitcnt_depctr 0xfff
	v_mul_f32_e32 v10, 0x4f7ffffe, v10
	s_delay_alu instid0(VALU_DEP_1) | instskip(NEXT) | instid1(VALU_DEP_1)
	v_cvt_u32_f32_e32 v10, v10
	v_mul_lo_u32 v11, s39, v10
	s_delay_alu instid0(VALU_DEP_1) | instskip(NEXT) | instid1(VALU_DEP_1)
	v_mul_hi_u32 v11, v10, v11
	v_dual_mov_b32 v12, v3 :: v_dual_add_nc_u32 v3, v10, v11
	s_delay_alu instid0(VALU_DEP_1) | instskip(NEXT) | instid1(VALU_DEP_1)
	v_mul_hi_u32 v3, v12, v3
	v_mul_lo_u32 v10, v3, s37
	v_add_nc_u32_e32 v11, 1, v3
	s_delay_alu instid0(VALU_DEP_2) | instskip(NEXT) | instid1(VALU_DEP_1)
	v_sub_nc_u32_e32 v10, v12, v10
	v_subrev_nc_u32_e32 v13, s37, v10
	v_cmp_le_u32_e32 vcc_lo, s37, v10
	s_delay_alu instid0(VALU_DEP_2) | instskip(NEXT) | instid1(VALU_DEP_1)
	v_dual_cndmask_b32 v3, v3, v11 :: v_dual_cndmask_b32 v10, v10, v13
	v_add_nc_u32_e32 v11, 1, v3
	s_delay_alu instid0(VALU_DEP_2) | instskip(NEXT) | instid1(VALU_DEP_2)
	v_cmp_le_u32_e32 vcc_lo, s37, v10
	v_cndmask_b32_e32 v3, v3, v11, vcc_lo
	s_delay_alu instid0(VALU_DEP_1) | instskip(NEXT) | instid1(VALU_DEP_1)
	v_mul_lo_u32 v10, v3, s37
	v_sub_nc_u32_e32 v12, v12, v10
	s_delay_alu instid0(VALU_DEP_1) | instskip(NEXT) | instid1(VALU_DEP_1)
	v_mad_u64_u32 v[10:11], null, s38, v12, v[0:1]
	v_mov_b32_e32 v0, v10
	s_cbranch_scc1 .LBB83_21
.LBB83_22:                              ;   in Loop: Header=BB83_3 Depth=1
	s_set_inst_prefetch_distance 0x2
	s_delay_alu instid0(VALU_DEP_1)
	v_mad_u64_u32 v[12:13], null, s22, v3, v[0:1]
	v_mov_b32_e32 v13, v4
.LBB83_23:                              ;   in Loop: Header=BB83_3 Depth=1
	s_or_b32 exec_lo, exec_lo, s35
	v_mul_lo_u32 v0, v29, s21
	v_mov_b32_e32 v19, s5
	v_dual_mov_b32 v17, s7 :: v_dual_mov_b32 v16, s6
	v_mov_b32_e32 v18, s4
	s_delay_alu instid0(VALU_DEP_4) | instskip(NEXT) | instid1(VALU_DEP_1)
	v_add_nc_u32_e32 v32, s21, v0
	v_add_nc_u32_e32 v33, s21, v32
	s_delay_alu instid0(VALU_DEP_1) | instskip(NEXT) | instid1(VALU_DEP_1)
	v_add_nc_u32_e32 v3, s21, v33
	v_cndmask_b32_e64 v3, 0, v3, s3
	s_delay_alu instid0(VALU_DEP_1) | instskip(NEXT) | instid1(VALU_DEP_1)
	v_lshlrev_b64 v[10:11], 2, v[3:4]
	v_add_co_u32 v10, vcc_lo, s8, v10
	s_delay_alu instid0(VALU_DEP_2)
	v_add_co_ci_u32_e32 v11, vcc_lo, s9, v11, vcc_lo
	s_and_not1_b32 vcc_lo, exec_lo, s24
	global_load_b32 v3, v[10:11], off
	s_cbranch_vccnz .LBB83_25
; %bb.24:                               ;   in Loop: Header=BB83_3 Depth=1
	v_dual_mov_b32 v11, s7 :: v_dual_mov_b32 v10, s6
	v_dual_mov_b32 v15, s5 :: v_dual_mov_b32 v14, s4
	flat_load_b64 v[10:11], v[10:11]
	flat_load_b64 v[18:19], v[14:15]
	s_waitcnt vmcnt(1) lgkmcnt(1)
	v_add_co_u32 v16, vcc_lo, v10, s10
	v_add_co_ci_u32_e32 v17, vcc_lo, s11, v11, vcc_lo
.LBB83_25:                              ;   in Loop: Header=BB83_3 Depth=1
	s_delay_alu instid0(VALU_DEP_1)
	v_alignbit_b32 v20, v17, v16, 2
	v_lshrrev_b32_e32 v14, 2, v17
	s_waitcnt vmcnt(0) lgkmcnt(0)
	v_add_nc_u32_e32 v35, 0xbb67ae85, v19
	v_add_nc_u32_e32 v36, 0x3c6ef372, v18
	;; [unrolled: 1-line block ×3, first 2 shown]
	v_add_co_u32 v15, vcc_lo, v20, 1
	s_delay_alu instid0(VALU_DEP_1) | instskip(SKIP_4) | instid1(VALU_DEP_4)
	v_cndmask_b32_e64 v10, 0, 1, vcc_lo
	v_add_co_ci_u32_e32 v17, vcc_lo, 0, v14, vcc_lo
	v_xor3_b32 v22, v30, v18, v14
	v_add_nc_u32_e32 v39, 0xed9eba14, v19
	v_add_nc_u32_e32 v40, 0x1fd5c5a3, v19
	v_cmp_eq_u32_e32 vcc_lo, 0, v17
	s_mov_b32 s3, exec_lo
	v_dual_cndmask_b32 v21, 0, v10 :: v_dual_add_nc_u32 v38, 0x32370b8f, v19
	v_mad_u64_u32 v[10:11], null, 0xd2511f53, v15, 0
	v_mad_u64_u32 v[14:15], null, 0xd2511f53, v20, 0
	s_delay_alu instid0(VALU_DEP_3) | instskip(NEXT) | instid1(VALU_DEP_3)
	v_add_nc_u32_e32 v24, v21, v1
	v_xor_b32_e32 v11, v11, v19
	s_delay_alu instid0(VALU_DEP_2) | instskip(SKIP_1) | instid1(VALU_DEP_1)
	v_cmp_eq_u32_e32 vcc_lo, 0, v24
	v_dual_cndmask_b32 v21, 0, v21 :: v_dual_add_nc_u32 v34, 0x9e3779b9, v18
	v_xor_b32_e32 v11, v21, v11
	v_mad_u64_u32 v[20:21], null, 0xd2511f53, v22, 0
	v_mad_u64_u32 v[22:23], null, 0xcd9e8d57, v24, 0
	s_delay_alu instid0(VALU_DEP_3) | instskip(SKIP_1) | instid1(VALU_DEP_4)
	v_mad_u64_u32 v[24:25], null, 0xcd9e8d57, v11, 0
	v_xor_b32_e32 v11, v15, v19
	v_xor3_b32 v26, v35, v21, v14
	s_delay_alu instid0(VALU_DEP_2) | instskip(SKIP_2) | instid1(VALU_DEP_4)
	v_mad_u64_u32 v[14:15], null, 0xcd9e8d57, v11, 0
	v_xor3_b32 v11, v23, v18, v17
	v_xor3_b32 v17, v34, v25, v22
	v_mad_u64_u32 v[21:22], null, 0xcd9e8d57, v26, 0
	s_delay_alu instid0(VALU_DEP_3) | instskip(NEXT) | instid1(VALU_DEP_3)
	v_mad_u64_u32 v[25:26], null, 0xd2511f53, v11, 0
	v_mad_u64_u32 v[27:28], null, 0xd2511f53, v17, 0
	v_xor3_b32 v11, v2, v15, v34
	s_delay_alu instid0(VALU_DEP_4) | instskip(SKIP_2) | instid1(VALU_DEP_4)
	v_xor3_b32 v22, v36, v22, v14
	v_add_nc_u32_e32 v17, 0xdaa66d2b, v18
	v_xor3_b32 v26, v35, v26, v10
	v_mad_u64_u32 v[14:15], null, 0xd2511f53, v11, 0
	v_xor3_b32 v28, v37, v28, v25
	v_mad_u64_u32 v[10:11], null, 0xd2511f53, v22, 0
	s_delay_alu instid0(VALU_DEP_4) | instskip(NEXT) | instid1(VALU_DEP_3)
	v_mad_u64_u32 v[22:23], null, 0xcd9e8d57, v26, 0
	v_mad_u64_u32 v[25:26], null, 0xcd9e8d57, v28, 0
	v_xor3_b32 v20, v37, v15, v20
	v_add_nc_u32_e32 v28, 0x78dde6e4, v18
	v_xor3_b32 v11, v38, v11, v14
	s_delay_alu instid0(VALU_DEP_3) | instskip(SKIP_2) | instid1(VALU_DEP_4)
	v_mad_u64_u32 v[14:15], null, 0xcd9e8d57, v20, 0
	v_xor3_b32 v20, v36, v23, v24
	v_xor3_b32 v24, v17, v26, v22
	v_mad_u64_u32 v[22:23], null, 0xcd9e8d57, v11, 0
	s_delay_alu instid0(VALU_DEP_3) | instskip(NEXT) | instid1(VALU_DEP_3)
	v_mad_u64_u32 v[34:35], null, 0xd2511f53, v20, 0
	v_mad_u64_u32 v[36:37], null, 0xd2511f53, v24, 0
	v_xor3_b32 v11, v17, v15, v21
	s_delay_alu instid0(VALU_DEP_4) | instskip(SKIP_2) | instid1(VALU_DEP_4)
	v_xor3_b32 v20, v28, v23, v14
	v_add_nc_u32_e32 v17, 0x1715609d, v18
	v_add_nc_u32_e32 v24, 0xa9066899, v19
	v_mad_u64_u32 v[14:15], null, 0xd2511f53, v11, 0
	v_xor3_b32 v11, v38, v35, v27
	v_xor3_b32 v23, v39, v37, v34
	v_mad_u64_u32 v[26:27], null, 0xd2511f53, v20, 0
	v_add_nc_u32_e32 v35, 0xb54cda56, v18
	s_delay_alu instid0(VALU_DEP_4) | instskip(NEXT) | instid1(VALU_DEP_4)
	v_mad_u64_u32 v[20:21], null, 0xcd9e8d57, v11, 0
	v_mad_u64_u32 v[37:38], null, 0xcd9e8d57, v23, 0
	v_xor3_b32 v15, v39, v15, v10
	v_xor3_b32 v23, v24, v27, v14
	v_add_nc_u32_e32 v34, 0x646e171e, v19
	v_xor3_b32 v25, v28, v21, v25
	s_delay_alu instid0(VALU_DEP_4) | instskip(SKIP_2) | instid1(VALU_DEP_4)
	v_mad_u64_u32 v[10:11], null, 0xcd9e8d57, v15, 0
	v_xor3_b32 v27, v17, v38, v20
	v_mad_u64_u32 v[14:15], null, 0xcd9e8d57, v23, 0
	v_mad_u64_u32 v[20:21], null, 0xd2511f53, v25, 0
	s_delay_alu instid0(VALU_DEP_3) | instskip(SKIP_3) | instid1(VALU_DEP_3)
	v_mad_u64_u32 v[38:39], null, 0xd2511f53, v27, 0
	v_xor3_b32 v17, v17, v11, v22
	v_add_nc_u32_e32 v25, 0x5384540f, v18
	v_xor3_b32 v15, v35, v15, v10
	v_mad_u64_u32 v[10:11], null, 0xd2511f53, v17, 0
	v_xor3_b32 v17, v24, v21, v36
	v_xor3_b32 v22, v34, v39, v20
	s_delay_alu instid0(VALU_DEP_4) | instskip(NEXT) | instid1(VALU_DEP_3)
	v_mad_u64_u32 v[20:21], null, 0xd2511f53, v15, 0
	v_mad_u64_u32 v[27:28], null, 0xcd9e8d57, v17, 0
	s_delay_alu instid0(VALU_DEP_3) | instskip(SKIP_1) | instid1(VALU_DEP_4)
	v_mad_u64_u32 v[23:24], null, 0xcd9e8d57, v22, 0
	v_xor3_b32 v15, v34, v11, v26
	v_xor3_b32 v17, v40, v21, v10
	v_add_co_u32 v34, null, 0xf1bbcdc8, v18
	s_delay_alu instid0(VALU_DEP_3) | instskip(SKIP_4) | instid1(VALU_DEP_4)
	v_mad_u64_u32 v[10:11], null, 0xcd9e8d57, v15, 0
	v_xor3_b32 v15, v35, v28, v37
	v_xor3_b32 v24, v25, v24, v27
	v_mad_u64_u32 v[21:22], null, 0xcd9e8d57, v17, 0
	v_add_nc_u32_e32 v35, 0xdb3d7428, v19
	v_mad_u64_u32 v[36:37], null, 0xd2511f53, v15, 0
	s_delay_alu instid0(VALU_DEP_4) | instskip(SKIP_4) | instid1(VALU_DEP_4)
	v_mad_u64_u32 v[26:27], null, 0xd2511f53, v24, 0
	v_xor3_b32 v11, v25, v11, v14
	v_xor3_b32 v14, v34, v22, v10
	v_add_nc_u32_e32 v22, 0x8ff34781, v18
	v_xor3_b32 v15, v40, v37, v38
	v_mad_u64_u32 v[24:25], null, 0xd2511f53, v11, 0
	v_xor3_b32 v17, v35, v27, v36
	v_mad_u64_u32 v[10:11], null, 0xd2511f53, v14, 0
	s_delay_alu instid0(VALU_DEP_4) | instskip(NEXT) | instid1(VALU_DEP_3)
	v_mad_u64_u32 v[27:28], null, 0xcd9e8d57, v15, 0
	v_mad_u64_u32 v[14:15], null, 0xcd9e8d57, v17, 0
	v_add_nc_u32_e32 v36, 0x96a522ad, v19
	v_and_b32_e32 v19, 3, v16
                                        ; implicit-def: $vgpr17
	s_delay_alu instid0(VALU_DEP_2) | instskip(NEXT) | instid1(VALU_DEP_4)
	v_xor3_b32 v18, v11, v24, v36
	v_xor3_b32 v11, v15, v27, v22
	s_delay_alu instid0(VALU_DEP_3)
	v_cmpx_lt_i32_e32 1, v19
	s_xor_b32 s3, exec_lo, s3
	s_cbranch_execz .LBB83_31
; %bb.26:                               ;   in Loop: Header=BB83_3 Depth=1
	s_mov_b32 s18, exec_lo
                                        ; implicit-def: $vgpr17
	v_cmpx_lt_i32_e32 2, v19
	s_xor_b32 s18, exec_lo, s18
; %bb.27:                               ;   in Loop: Header=BB83_3 Depth=1
	v_xor3_b32 v15, v34, v28, v23
                                        ; implicit-def: $vgpr18
	s_delay_alu instid0(VALU_DEP_1) | instskip(NEXT) | instid1(VALU_DEP_1)
	v_mul_hi_u32 v15, 0xd2511f53, v15
	v_xor3_b32 v17, v15, v26, v36
; %bb.28:                               ;   in Loop: Header=BB83_3 Depth=1
	s_and_not1_saveexec_b32 s18, s18
; %bb.29:                               ;   in Loop: Header=BB83_3 Depth=1
	v_dual_mov_b32 v17, v14 :: v_dual_mov_b32 v14, v11
	v_mov_b32_e32 v11, v10
	v_mov_b32_e32 v10, v18
; %bb.30:                               ;   in Loop: Header=BB83_3 Depth=1
	s_or_b32 exec_lo, exec_lo, s18
                                        ; implicit-def: $vgpr20_vgpr21
                                        ; implicit-def: $vgpr19
                                        ; implicit-def: $vgpr18
                                        ; implicit-def: $vgpr35
                                        ; implicit-def: $vgpr24_vgpr25
                                        ; implicit-def: $vgpr21_vgpr22
                                        ; implicit-def: $vgpr22
.LBB83_31:                              ;   in Loop: Header=BB83_3 Depth=1
	s_and_not1_saveexec_b32 s3, s3
	s_cbranch_execz .LBB83_35
; %bb.32:                               ;   in Loop: Header=BB83_3 Depth=1
	v_xor3_b32 v14, v35, v25, v20
	v_cmp_eq_u32_e32 vcc_lo, 1, v19
	s_delay_alu instid0(VALU_DEP_2) | instskip(SKIP_2) | instid1(VALU_DEP_3)
	v_mad_u64_u32 v[15:16], null, 0xcd9e8d57, v14, 0
	v_mov_b32_e32 v17, v10
	v_mov_b32_e32 v14, v18
	v_xor3_b32 v19, v16, v21, v22
	s_delay_alu instid0(VALU_DEP_4)
	v_mov_b32_e32 v16, v15
	s_and_saveexec_b32 s18, vcc_lo
; %bb.33:                               ;   in Loop: Header=BB83_3 Depth=1
	v_dual_mov_b32 v17, v11 :: v_dual_mov_b32 v14, v10
	v_dual_mov_b32 v16, v18 :: v_dual_mov_b32 v19, v15
; %bb.34:                               ;   in Loop: Header=BB83_3 Depth=1
	s_or_b32 exec_lo, exec_lo, s18
	s_delay_alu instid0(VALU_DEP_1)
	v_dual_mov_b32 v10, v19 :: v_dual_mov_b32 v11, v16
.LBB83_35:                              ;   in Loop: Header=BB83_3 Depth=1
	s_or_b32 exec_lo, exec_lo, s3
	v_min_i32_e32 v15, 4, v31
	s_mov_b32 s18, 0
	s_mov_b32 s38, 0
	;; [unrolled: 1-line block ×3, first 2 shown]
	s_mov_b32 s37, exec_lo
                                        ; implicit-def: $sgpr19
                                        ; implicit-def: $sgpr35
                                        ; implicit-def: $sgpr36
	v_cmpx_lt_i32_e32 2, v15
	s_xor_b32 s37, exec_lo, s37
	s_cbranch_execz .LBB83_47
; %bb.36:                               ;   in Loop: Header=BB83_3 Depth=1
	s_mov_b32 s36, -1
	s_mov_b32 s39, 0
	s_mov_b32 s35, exec_lo
                                        ; implicit-def: $sgpr19
                                        ; implicit-def: $sgpr3
	v_cmpx_lt_i32_e32 3, v15
	s_cbranch_execz .LBB83_42
; %bb.37:                               ;   in Loop: Header=BB83_3 Depth=1
	s_mov_b32 s40, 0
	s_mov_b32 s41, -1
	s_mov_b32 s36, exec_lo
                                        ; implicit-def: $sgpr19
                                        ; implicit-def: $sgpr3
	v_cmpx_eq_u32_e32 4, v15
	s_cbranch_execz .LBB83_41
; %bb.38:                               ;   in Loop: Header=BB83_3 Depth=1
	v_cmp_le_f32_e32 vcc_lo, 0, v3
	v_cmp_ge_f32_e64 s3, 1.0, v3
	s_mov_b32 s19, 0
	s_delay_alu instid0(VALU_DEP_1) | instskip(NEXT) | instid1(SALU_CYCLE_1)
	s_and_b32 s40, vcc_lo, s3
	s_and_saveexec_b32 s3, s40
	s_cbranch_execz .LBB83_40
; %bb.39:                               ;   in Loop: Header=BB83_3 Depth=1
	v_cvt_f32_u32_e32 v16, v17
	v_lshlrev_b64 v[12:13], 2, v[12:13]
	s_mov_b32 s39, exec_lo
	s_delay_alu instid0(VALU_DEP_2) | instskip(NEXT) | instid1(VALU_DEP_2)
	v_fmaak_f32 v16, 0x2f800000, v16, 0x2f800000
	v_add_co_u32 v12, vcc_lo, s12, v12
	s_delay_alu instid0(VALU_DEP_3) | instskip(NEXT) | instid1(VALU_DEP_3)
	v_add_co_ci_u32_e32 v13, vcc_lo, s13, v13, vcc_lo
	v_cmp_le_f32_e32 vcc_lo, v16, v3
	v_cndmask_b32_e64 v3, 0, 1.0, vcc_lo
	global_store_b32 v[12:13], v3, off
.LBB83_40:                              ;   in Loop: Header=BB83_3 Depth=1
	s_or_b32 exec_lo, exec_lo, s3
	s_mov_b32 s3, -1
	s_xor_b32 s41, exec_lo, -1
	s_and_b32 s40, s39, exec_lo
.LBB83_41:                              ;   in Loop: Header=BB83_3 Depth=1
	s_or_b32 exec_lo, exec_lo, s36
	s_delay_alu instid0(SALU_CYCLE_1)
	s_and_b32 s39, s41, exec_lo
	s_or_not1_b32 s36, s40, exec_lo
.LBB83_42:                              ;   in Loop: Header=BB83_3 Depth=1
	s_or_b32 exec_lo, exec_lo, s35
	s_mov_b32 s40, s19
	s_and_saveexec_b32 s35, s36
	s_cbranch_execz .LBB83_46
; %bb.43:                               ;   in Loop: Header=BB83_3 Depth=1
	v_cndmask_b32_e64 v3, 0, v33, s2
	s_mov_b32 s36, 0
	s_delay_alu instid0(VALU_DEP_1) | instskip(NEXT) | instid1(VALU_DEP_1)
	v_lshlrev_b64 v[12:13], 2, v[3:4]
	v_add_co_u32 v12, vcc_lo, s8, v12
	s_delay_alu instid0(VALU_DEP_2) | instskip(SKIP_4) | instid1(VALU_DEP_1)
	v_add_co_ci_u32_e32 v13, vcc_lo, s9, v13, vcc_lo
	global_load_b32 v3, v[12:13], off
	s_waitcnt vmcnt(0)
	v_cmp_le_f32_e32 vcc_lo, 0, v3
	v_cmp_ge_f32_e64 s2, 1.0, v3
	s_and_b32 s2, vcc_lo, s2
	s_delay_alu instid0(SALU_CYCLE_1) | instskip(NEXT) | instid1(SALU_CYCLE_1)
	s_and_saveexec_b32 s38, s2
	s_xor_b32 s2, exec_lo, s38
	s_cbranch_execz .LBB83_45
; %bb.44:                               ;   in Loop: Header=BB83_3 Depth=1
	v_cvt_f32_u32_e32 v12, v14
	v_lshlrev_b64 v[8:9], 2, v[8:9]
	s_mov_b32 s36, exec_lo
	s_delay_alu instid0(VALU_DEP_2) | instskip(NEXT) | instid1(VALU_DEP_2)
	v_fmaak_f32 v12, 0x2f800000, v12, 0x2f800000
	v_add_co_u32 v8, vcc_lo, s12, v8
	s_delay_alu instid0(VALU_DEP_3) | instskip(NEXT) | instid1(VALU_DEP_3)
	v_add_co_ci_u32_e32 v9, vcc_lo, s13, v9, vcc_lo
	v_cmp_le_f32_e32 vcc_lo, v12, v3
	v_cndmask_b32_e64 v3, 0, 1.0, vcc_lo
	global_store_b32 v[8:9], v3, off
.LBB83_45:                              ;   in Loop: Header=BB83_3 Depth=1
	s_or_b32 exec_lo, exec_lo, s2
	s_delay_alu instid0(SALU_CYCLE_1)
	s_and_not1_b32 s40, s19, exec_lo
	s_or_b32 s19, s19, exec_lo
	s_and_not1_b32 s3, s3, exec_lo
	s_and_b32 s38, s36, exec_lo
.LBB83_46:                              ;   in Loop: Header=BB83_3 Depth=1
	s_or_b32 exec_lo, exec_lo, s35
	s_delay_alu instid0(SALU_CYCLE_1)
	s_and_b32 s36, s40, exec_lo
	s_and_b32 s35, s19, exec_lo
	;; [unrolled: 1-line block ×5, first 2 shown]
.LBB83_47:                              ;   in Loop: Header=BB83_3 Depth=1
	s_and_not1_saveexec_b32 s2, s37
; %bb.48:                               ;   in Loop: Header=BB83_3 Depth=1
	v_cmp_lt_i32_e32 vcc_lo, 1, v15
	s_and_not1_b32 s37, s38, exec_lo
	s_mov_b32 s18, exec_lo
	s_and_not1_b32 s36, s36, exec_lo
	s_and_not1_b32 s35, s35, exec_lo
	s_and_b32 s38, vcc_lo, exec_lo
	s_and_not1_b32 s19, s19, exec_lo
	s_or_b32 s38, s37, s38
; %bb.49:                               ;   in Loop: Header=BB83_3 Depth=1
	s_or_b32 exec_lo, exec_lo, s2
	s_mov_b32 s37, 0
	s_mov_b32 s2, s36
	s_and_saveexec_b32 s39, s38
	s_cbranch_execnz .LBB83_52
; %bb.50:                               ;   in Loop: Header=BB83_3 Depth=1
	s_or_b32 exec_lo, exec_lo, s39
	s_and_saveexec_b32 s1, s18
	s_cbranch_execnz .LBB83_55
.LBB83_51:                              ;   in Loop: Header=BB83_3 Depth=1
	s_or_b32 exec_lo, exec_lo, s1
	s_and_saveexec_b32 s1, s37
	s_cbranch_execnz .LBB83_56
	s_branch .LBB83_59
.LBB83_52:                              ;   in Loop: Header=BB83_3 Depth=1
	v_cndmask_b32_e64 v3, 0, v32, s1
	s_delay_alu instid0(VALU_DEP_1) | instskip(NEXT) | instid1(VALU_DEP_1)
	v_lshlrev_b64 v[8:9], 2, v[3:4]
	v_add_co_u32 v8, vcc_lo, s8, v8
	s_delay_alu instid0(VALU_DEP_2) | instskip(SKIP_4) | instid1(VALU_DEP_1)
	v_add_co_ci_u32_e32 v9, vcc_lo, s9, v9, vcc_lo
	global_load_b32 v3, v[8:9], off
	s_waitcnt vmcnt(0)
	v_cmp_le_f32_e32 vcc_lo, 0, v3
	v_cmp_ge_f32_e64 s1, 1.0, v3
	s_and_b32 s1, vcc_lo, s1
	s_delay_alu instid0(SALU_CYCLE_1) | instskip(NEXT) | instid1(SALU_CYCLE_1)
	s_and_saveexec_b32 s2, s1
	s_xor_b32 s1, exec_lo, s2
	s_cbranch_execz .LBB83_54
; %bb.53:                               ;   in Loop: Header=BB83_3 Depth=1
	v_cvt_f32_u32_e32 v8, v11
	v_lshlrev_b64 v[6:7], 2, v[6:7]
	s_mov_b32 s37, exec_lo
	s_delay_alu instid0(VALU_DEP_2) | instskip(NEXT) | instid1(VALU_DEP_2)
	v_fmaak_f32 v8, 0x2f800000, v8, 0x2f800000
	v_add_co_u32 v6, vcc_lo, s12, v6
	s_delay_alu instid0(VALU_DEP_3) | instskip(NEXT) | instid1(VALU_DEP_3)
	v_add_co_ci_u32_e32 v7, vcc_lo, s13, v7, vcc_lo
	v_cmp_le_f32_e32 vcc_lo, v8, v3
	v_cndmask_b32_e64 v3, 0, 1.0, vcc_lo
	global_store_b32 v[6:7], v3, off
.LBB83_54:                              ;   in Loop: Header=BB83_3 Depth=1
	s_or_b32 exec_lo, exec_lo, s1
	s_delay_alu instid0(SALU_CYCLE_1)
	s_and_not1_b32 s2, s36, exec_lo
	s_or_b32 s36, s36, exec_lo
	s_and_not1_b32 s35, s35, exec_lo
	s_and_not1_b32 s19, s19, exec_lo
	s_and_b32 s37, s37, exec_lo
	s_and_not1_b32 s18, s18, exec_lo
	s_or_b32 exec_lo, exec_lo, s39
	s_and_saveexec_b32 s1, s18
	s_cbranch_execz .LBB83_51
.LBB83_55:                              ;   in Loop: Header=BB83_3 Depth=1
	v_cmp_eq_u32_e32 vcc_lo, 1, v15
	s_and_not1_b32 s18, s37, exec_lo
	s_and_not1_b32 s2, s2, exec_lo
	;; [unrolled: 1-line block ×4, first 2 shown]
	s_and_b32 s37, vcc_lo, exec_lo
	s_and_not1_b32 s19, s19, exec_lo
	s_or_b32 s3, s3, exec_lo
	s_or_b32 s37, s18, s37
	s_or_b32 exec_lo, exec_lo, s1
	s_and_saveexec_b32 s1, s37
	s_cbranch_execz .LBB83_59
.LBB83_56:                              ;   in Loop: Header=BB83_3 Depth=1
	v_cndmask_b32_e64 v3, 0, v0, s0
	s_mov_b32 s18, 0
	s_delay_alu instid0(VALU_DEP_1) | instskip(NEXT) | instid1(VALU_DEP_1)
	v_lshlrev_b64 v[6:7], 2, v[3:4]
	v_add_co_u32 v6, vcc_lo, s8, v6
	s_delay_alu instid0(VALU_DEP_2) | instskip(SKIP_4) | instid1(VALU_DEP_1)
	v_add_co_ci_u32_e32 v7, vcc_lo, s9, v7, vcc_lo
	global_load_b32 v0, v[6:7], off
	s_waitcnt vmcnt(0)
	v_cmp_le_f32_e32 vcc_lo, 0, v0
	v_cmp_ge_f32_e64 s0, 1.0, v0
	s_and_b32 s37, vcc_lo, s0
	s_delay_alu instid0(SALU_CYCLE_1)
	s_and_saveexec_b32 s0, s37
	s_cbranch_execz .LBB83_58
; %bb.57:                               ;   in Loop: Header=BB83_3 Depth=1
	v_cvt_f32_u32_e32 v3, v10
	v_mov_b32_e32 v6, v4
	s_mov_b32 s18, exec_lo
	s_delay_alu instid0(VALU_DEP_2) | instskip(NEXT) | instid1(VALU_DEP_2)
	v_fmaak_f32 v3, 0x2f800000, v3, 0x2f800000
	v_lshlrev_b64 v[5:6], 2, v[5:6]
	s_delay_alu instid0(VALU_DEP_1) | instskip(NEXT) | instid1(VALU_DEP_2)
	v_add_co_u32 v5, vcc_lo, s12, v5
	v_add_co_ci_u32_e32 v6, vcc_lo, s13, v6, vcc_lo
	s_delay_alu instid0(VALU_DEP_4)
	v_cmp_le_f32_e32 vcc_lo, v3, v0
	v_cndmask_b32_e64 v0, 0, 1.0, vcc_lo
	global_store_b32 v[5:6], v0, off
.LBB83_58:                              ;   in Loop: Header=BB83_3 Depth=1
	s_or_b32 exec_lo, exec_lo, s0
	s_delay_alu instid0(SALU_CYCLE_1)
	s_and_not1_b32 s0, s3, exec_lo
	s_and_b32 s3, s18, exec_lo
	s_or_b32 s2, s2, exec_lo
	s_and_not1_b32 s36, s36, exec_lo
	s_and_not1_b32 s35, s35, exec_lo
	;; [unrolled: 1-line block ×3, first 2 shown]
	s_or_b32 s3, s0, s3
.LBB83_59:                              ;   in Loop: Header=BB83_3 Depth=1
	s_or_b32 exec_lo, exec_lo, s1
	s_delay_alu instid0(SALU_CYCLE_1)
	s_and_not1_b32 s1, s34, exec_lo
	s_and_b32 s2, s2, exec_lo
	s_and_not1_b32 s18, s31, exec_lo
	s_and_b32 s31, s36, exec_lo
	s_or_b32 s34, s1, s2
	s_or_b32 s31, s18, s31
	s_and_not1_b32 s1, s33, exec_lo
	s_and_b32 s2, s35, exec_lo
	s_and_not1_b32 s18, s30, exec_lo
	s_and_b32 s19, s19, exec_lo
	s_mov_b32 s0, -1
	s_or_b32 s33, s1, s2
	s_or_b32 s30, s18, s19
	s_and_saveexec_b32 s1, s3
	s_cbranch_execz .LBB83_2
; %bb.60:                               ;   in Loop: Header=BB83_3 Depth=1
	v_add_nc_u32_e32 v29, s25, v29
	s_and_not1_b32 s34, s34, exec_lo
	s_and_not1_b32 s31, s31, exec_lo
	s_and_not1_b32 s33, s33, exec_lo
	s_and_not1_b32 s30, s30, exec_lo
	v_cmp_le_u32_e32 vcc_lo, s20, v29
	s_or_not1_b32 s0, vcc_lo, exec_lo
	s_branch .LBB83_2
.LBB83_61:
	s_or_b32 exec_lo, exec_lo, s15
	s_xor_b32 s3, s28, -1
	s_xor_b32 s4, s29, -1
	s_xor_b32 s0, s27, -1
	s_mov_b32 s1, 0
	s_and_saveexec_b32 s2, s0
	s_delay_alu instid0(SALU_CYCLE_1)
	s_xor_b32 s0, exec_lo, s2
	s_cbranch_execz .LBB83_70
; %bb.62:
	s_mov_b32 s2, 0
	s_and_saveexec_b32 s1, s4
	s_delay_alu instid0(SALU_CYCLE_1)
	s_xor_b32 s1, exec_lo, s1
	s_cbranch_execz .LBB83_68
; %bb.63:
	s_and_saveexec_b32 s4, s3
	s_delay_alu instid0(SALU_CYCLE_1)
	s_xor_b32 s3, exec_lo, s4
	s_cbranch_execz .LBB83_66
; %bb.64:
	s_and_saveexec_b32 s4, s14
	s_delay_alu instid0(SALU_CYCLE_1)
	s_xor_b32 s4, exec_lo, s4
	s_cbranch_execnz .LBB83_84
.LBB83_65:
	s_or_b32 exec_lo, exec_lo, s4
	s_delay_alu instid0(SALU_CYCLE_1)
	s_and_b32 s2, s2, exec_lo
.LBB83_66:
	s_and_not1_saveexec_b32 s3, s3
	s_cbranch_execnz .LBB83_80
.LBB83_67:
	s_or_b32 exec_lo, exec_lo, s3
	s_delay_alu instid0(SALU_CYCLE_1)
	s_and_b32 s2, s2, exec_lo
.LBB83_68:
	s_and_not1_saveexec_b32 s1, s1
	s_cbranch_execnz .LBB83_76
.LBB83_69:
	s_or_b32 exec_lo, exec_lo, s1
	s_delay_alu instid0(SALU_CYCLE_1)
	s_and_b32 s1, s2, exec_lo
.LBB83_70:
	s_and_not1_saveexec_b32 s0, s0
	s_cbranch_execnz .LBB83_74
; %bb.71:
	s_or_b32 exec_lo, exec_lo, s0
	s_delay_alu instid0(SALU_CYCLE_1)
	s_and_b32 exec_lo, exec_lo, s1
.LBB83_72:
	; divergent unreachable
.LBB83_73:
	s_nop 0
	s_sendmsg sendmsg(MSG_DEALLOC_VGPRS)
	s_endpgm
.LBB83_74:
	s_cbranch_execnz .LBB83_78
; %bb.75:
	s_or_b32 s1, s1, exec_lo
	s_or_b32 exec_lo, exec_lo, s0
	s_delay_alu instid0(SALU_CYCLE_1)
	s_and_b32 exec_lo, exec_lo, s1
	s_cbranch_execnz .LBB83_72
	s_branch .LBB83_73
.LBB83_76:
	s_cbranch_execnz .LBB83_82
; %bb.77:
	s_or_b32 s2, s2, exec_lo
	s_branch .LBB83_69
.LBB83_78:
	s_trap 2
	s_sendmsg_rtn_b32 s0, sendmsg(MSG_RTN_GET_DOORBELL)
	s_mov_b32 ttmp2, m0
	s_waitcnt lgkmcnt(0)
	s_and_b32 s0, s0, 0x3ff
	s_delay_alu instid0(SALU_CYCLE_1) | instskip(NEXT) | instid1(SALU_CYCLE_1)
	s_bitset1_b32 s0, 10
	s_mov_b32 m0, s0
	s_sendmsg sendmsg(MSG_INTERRUPT)
	s_mov_b32 m0, ttmp2
.LBB83_79:                              ; =>This Inner Loop Header: Depth=1
	s_sethalt 5
	s_branch .LBB83_79
.LBB83_80:
	s_cbranch_execnz .LBB83_86
; %bb.81:
	s_or_b32 s2, s2, exec_lo
	s_branch .LBB83_67
.LBB83_82:
	s_trap 2
	s_sendmsg_rtn_b32 s0, sendmsg(MSG_RTN_GET_DOORBELL)
	s_mov_b32 ttmp2, m0
	s_waitcnt lgkmcnt(0)
	s_and_b32 s0, s0, 0x3ff
	s_delay_alu instid0(SALU_CYCLE_1) | instskip(NEXT) | instid1(SALU_CYCLE_1)
	s_bitset1_b32 s0, 10
	s_mov_b32 m0, s0
	s_sendmsg sendmsg(MSG_INTERRUPT)
	s_mov_b32 m0, ttmp2
.LBB83_83:                              ; =>This Inner Loop Header: Depth=1
	s_sethalt 5
	s_branch .LBB83_83
.LBB83_84:
	s_cbranch_execnz .LBB83_88
; %bb.85:
	s_mov_b32 s2, exec_lo
	s_branch .LBB83_65
.LBB83_86:
	s_trap 2
	s_sendmsg_rtn_b32 s0, sendmsg(MSG_RTN_GET_DOORBELL)
	s_mov_b32 ttmp2, m0
	s_waitcnt lgkmcnt(0)
	s_and_b32 s0, s0, 0x3ff
	s_delay_alu instid0(SALU_CYCLE_1) | instskip(NEXT) | instid1(SALU_CYCLE_1)
	s_bitset1_b32 s0, 10
	s_mov_b32 m0, s0
	s_sendmsg sendmsg(MSG_INTERRUPT)
	s_mov_b32 m0, ttmp2
.LBB83_87:                              ; =>This Inner Loop Header: Depth=1
	s_sethalt 5
	s_branch .LBB83_87
.LBB83_88:
	s_trap 2
	s_sendmsg_rtn_b32 s0, sendmsg(MSG_RTN_GET_DOORBELL)
	s_mov_b32 ttmp2, m0
	s_waitcnt lgkmcnt(0)
	s_and_b32 s0, s0, 0x3ff
	s_delay_alu instid0(SALU_CYCLE_1) | instskip(NEXT) | instid1(SALU_CYCLE_1)
	s_bitset1_b32 s0, 10
	s_mov_b32 m0, s0
	s_sendmsg sendmsg(MSG_INTERRUPT)
	s_mov_b32 m0, ttmp2
.LBB83_89:                              ; =>This Inner Loop Header: Depth=1
	s_sethalt 5
	s_branch .LBB83_89
	.section	.rodata,"a",@progbits
	.p2align	6, 0x0
	.amdhsa_kernel _ZN2at4cuda12_GLOBAL__N_121kernelPointwiseApply2IZNS_6native9templates4cuda28bernoulli_tensor_cuda_kernelIffEEvRKNS_10TensorBaseES9_NS_15PhiloxCudaStateEEUliRfSB_SB_SB_RKfSD_SD_SD_E_fSC_jLin1ELi1ELi4ELi512ELi2EEEvNS0_6detail10TensorInfoIT0_T2_EENSG_IT1_SI_EESI_T_
		.amdhsa_group_segment_fixed_size 0
		.amdhsa_private_segment_fixed_size 0
		.amdhsa_kernarg_size 728
		.amdhsa_user_sgpr_count 15
		.amdhsa_user_sgpr_dispatch_ptr 0
		.amdhsa_user_sgpr_queue_ptr 0
		.amdhsa_user_sgpr_kernarg_segment_ptr 1
		.amdhsa_user_sgpr_dispatch_id 0
		.amdhsa_user_sgpr_private_segment_size 0
		.amdhsa_wavefront_size32 1
		.amdhsa_uses_dynamic_stack 0
		.amdhsa_enable_private_segment 0
		.amdhsa_system_sgpr_workgroup_id_x 1
		.amdhsa_system_sgpr_workgroup_id_y 0
		.amdhsa_system_sgpr_workgroup_id_z 0
		.amdhsa_system_sgpr_workgroup_info 0
		.amdhsa_system_vgpr_workitem_id 0
		.amdhsa_next_free_vgpr 41
		.amdhsa_next_free_sgpr 42
		.amdhsa_reserve_vcc 1
		.amdhsa_float_round_mode_32 0
		.amdhsa_float_round_mode_16_64 0
		.amdhsa_float_denorm_mode_32 3
		.amdhsa_float_denorm_mode_16_64 3
		.amdhsa_dx10_clamp 1
		.amdhsa_ieee_mode 1
		.amdhsa_fp16_overflow 0
		.amdhsa_workgroup_processor_mode 1
		.amdhsa_memory_ordered 1
		.amdhsa_forward_progress 0
		.amdhsa_shared_vgpr_count 0
		.amdhsa_exception_fp_ieee_invalid_op 0
		.amdhsa_exception_fp_denorm_src 0
		.amdhsa_exception_fp_ieee_div_zero 0
		.amdhsa_exception_fp_ieee_overflow 0
		.amdhsa_exception_fp_ieee_underflow 0
		.amdhsa_exception_fp_ieee_inexact 0
		.amdhsa_exception_int_div_zero 0
	.end_amdhsa_kernel
	.section	.text._ZN2at4cuda12_GLOBAL__N_121kernelPointwiseApply2IZNS_6native9templates4cuda28bernoulli_tensor_cuda_kernelIffEEvRKNS_10TensorBaseES9_NS_15PhiloxCudaStateEEUliRfSB_SB_SB_RKfSD_SD_SD_E_fSC_jLin1ELi1ELi4ELi512ELi2EEEvNS0_6detail10TensorInfoIT0_T2_EENSG_IT1_SI_EESI_T_,"axG",@progbits,_ZN2at4cuda12_GLOBAL__N_121kernelPointwiseApply2IZNS_6native9templates4cuda28bernoulli_tensor_cuda_kernelIffEEvRKNS_10TensorBaseES9_NS_15PhiloxCudaStateEEUliRfSB_SB_SB_RKfSD_SD_SD_E_fSC_jLin1ELi1ELi4ELi512ELi2EEEvNS0_6detail10TensorInfoIT0_T2_EENSG_IT1_SI_EESI_T_,comdat
.Lfunc_end83:
	.size	_ZN2at4cuda12_GLOBAL__N_121kernelPointwiseApply2IZNS_6native9templates4cuda28bernoulli_tensor_cuda_kernelIffEEvRKNS_10TensorBaseES9_NS_15PhiloxCudaStateEEUliRfSB_SB_SB_RKfSD_SD_SD_E_fSC_jLin1ELi1ELi4ELi512ELi2EEEvNS0_6detail10TensorInfoIT0_T2_EENSG_IT1_SI_EESI_T_, .Lfunc_end83-_ZN2at4cuda12_GLOBAL__N_121kernelPointwiseApply2IZNS_6native9templates4cuda28bernoulli_tensor_cuda_kernelIffEEvRKNS_10TensorBaseES9_NS_15PhiloxCudaStateEEUliRfSB_SB_SB_RKfSD_SD_SD_E_fSC_jLin1ELi1ELi4ELi512ELi2EEEvNS0_6detail10TensorInfoIT0_T2_EENSG_IT1_SI_EESI_T_
                                        ; -- End function
	.section	.AMDGPU.csdata,"",@progbits
; Kernel info:
; codeLenInByte = 4284
; NumSgprs: 44
; NumVgprs: 41
; ScratchSize: 0
; MemoryBound: 0
; FloatMode: 240
; IeeeMode: 1
; LDSByteSize: 0 bytes/workgroup (compile time only)
; SGPRBlocks: 5
; VGPRBlocks: 5
; NumSGPRsForWavesPerEU: 44
; NumVGPRsForWavesPerEU: 41
; Occupancy: 16
; WaveLimiterHint : 1
; COMPUTE_PGM_RSRC2:SCRATCH_EN: 0
; COMPUTE_PGM_RSRC2:USER_SGPR: 15
; COMPUTE_PGM_RSRC2:TRAP_HANDLER: 0
; COMPUTE_PGM_RSRC2:TGID_X_EN: 1
; COMPUTE_PGM_RSRC2:TGID_Y_EN: 0
; COMPUTE_PGM_RSRC2:TGID_Z_EN: 0
; COMPUTE_PGM_RSRC2:TIDIG_COMP_CNT: 0
	.section	.text._ZN2at4cuda12_GLOBAL__N_121kernelPointwiseApply2IZNS_6native9templates4cuda28bernoulli_tensor_cuda_kernelIffEEvRKNS_10TensorBaseES9_NS_15PhiloxCudaStateEEUliRfSB_SB_SB_RKfSD_SD_SD_E_fSC_jLin1ELi2ELi4ELi512ELi2EEEvNS0_6detail10TensorInfoIT0_T2_EENSG_IT1_SI_EESI_T_,"axG",@progbits,_ZN2at4cuda12_GLOBAL__N_121kernelPointwiseApply2IZNS_6native9templates4cuda28bernoulli_tensor_cuda_kernelIffEEvRKNS_10TensorBaseES9_NS_15PhiloxCudaStateEEUliRfSB_SB_SB_RKfSD_SD_SD_E_fSC_jLin1ELi2ELi4ELi512ELi2EEEvNS0_6detail10TensorInfoIT0_T2_EENSG_IT1_SI_EESI_T_,comdat
	.globl	_ZN2at4cuda12_GLOBAL__N_121kernelPointwiseApply2IZNS_6native9templates4cuda28bernoulli_tensor_cuda_kernelIffEEvRKNS_10TensorBaseES9_NS_15PhiloxCudaStateEEUliRfSB_SB_SB_RKfSD_SD_SD_E_fSC_jLin1ELi2ELi4ELi512ELi2EEEvNS0_6detail10TensorInfoIT0_T2_EENSG_IT1_SI_EESI_T_ ; -- Begin function _ZN2at4cuda12_GLOBAL__N_121kernelPointwiseApply2IZNS_6native9templates4cuda28bernoulli_tensor_cuda_kernelIffEEvRKNS_10TensorBaseES9_NS_15PhiloxCudaStateEEUliRfSB_SB_SB_RKfSD_SD_SD_E_fSC_jLin1ELi2ELi4ELi512ELi2EEEvNS0_6detail10TensorInfoIT0_T2_EENSG_IT1_SI_EESI_T_
	.p2align	8
	.type	_ZN2at4cuda12_GLOBAL__N_121kernelPointwiseApply2IZNS_6native9templates4cuda28bernoulli_tensor_cuda_kernelIffEEvRKNS_10TensorBaseES9_NS_15PhiloxCudaStateEEUliRfSB_SB_SB_RKfSD_SD_SD_E_fSC_jLin1ELi2ELi4ELi512ELi2EEEvNS0_6detail10TensorInfoIT0_T2_EENSG_IT1_SI_EESI_T_,@function
_ZN2at4cuda12_GLOBAL__N_121kernelPointwiseApply2IZNS_6native9templates4cuda28bernoulli_tensor_cuda_kernelIffEEvRKNS_10TensorBaseES9_NS_15PhiloxCudaStateEEUliRfSB_SB_SB_RKfSD_SD_SD_E_fSC_jLin1ELi2ELi4ELi512ELi2EEEvNS0_6detail10TensorInfoIT0_T2_EENSG_IT1_SI_EESI_T_: ; @_ZN2at4cuda12_GLOBAL__N_121kernelPointwiseApply2IZNS_6native9templates4cuda28bernoulli_tensor_cuda_kernelIffEEvRKNS_10TensorBaseES9_NS_15PhiloxCudaStateEEUliRfSB_SB_SB_RKfSD_SD_SD_E_fSC_jLin1ELi2ELi4ELi512ELi2EEEvNS0_6detail10TensorInfoIT0_T2_EENSG_IT1_SI_EESI_T_
; %bb.0:
	s_clause 0x1
	s_load_b32 s2, s[0:1], 0x1e4
	s_load_b32 s20, s[0:1], 0x1b0
	s_add_u32 s4, s0, 0x1d8
	s_addc_u32 s5, s1, 0
	s_waitcnt lgkmcnt(0)
	s_and_b32 s12, s2, 0xffff
	s_mov_b32 s2, exec_lo
	v_mad_u64_u32 v[1:2], null, s15, s12, v[0:1]
	s_delay_alu instid0(VALU_DEP_1) | instskip(NEXT) | instid1(VALU_DEP_1)
	v_lshlrev_b32_e32 v32, 2, v1
	v_cmpx_gt_u32_e64 s20, v32
	s_cbranch_execz .LBB84_81
; %bb.1:
	s_clause 0x3
	s_load_b32 s21, s[0:1], 0xe4
	s_load_b32 s18, s[0:1], 0xd0
	s_load_b64 s[2:3], s[0:1], 0x144
	s_load_b32 s6, s[0:1], 0x1d0
	v_mad_u64_u32 v[2:3], null, 0xcd9e8d57, v1, 0
	s_load_b32 s16, s[4:5], 0x0
	s_clause 0x2
	s_load_b32 s22, s[0:1], 0x6c
	s_load_b64 s[8:9], s[0:1], 0xd8
	s_load_b64 s[14:15], s[0:1], 0x0
	v_mov_b32_e32 v4, 0
                                        ; implicit-def: $sgpr26
                                        ; implicit-def: $sgpr28
                                        ; implicit-def: $sgpr27
                                        ; implicit-def: $sgpr29
                                        ; implicit-def: $sgpr31
                                        ; implicit-def: $sgpr30
                                        ; implicit-def: $sgpr33
	s_delay_alu instid0(VALU_DEP_2)
	v_mov_b32_e32 v33, v3
	s_waitcnt lgkmcnt(0)
	v_cvt_f32_u32_e32 v0, s21
	s_cmp_gt_i32 s18, 1
	s_cselect_b32 s23, -1, 0
	s_bitcmp1_b32 s6, 0
	s_delay_alu instid0(VALU_DEP_1)
	v_rcp_iflag_f32_e32 v0, v0
	s_cselect_b32 s24, -1, 0
	s_sub_i32 s13, 0, s21
	s_clause 0x1
	s_load_b64 s[10:11], s[0:1], 0x1c8
	s_load_b128 s[4:7], s[0:1], 0x1b8
	s_mul_i32 s16, s16, s12
	s_add_i32 s12, s18, -1
	s_lshl_b32 s25, s16, 2
	s_waitcnt_depctr 0xfff
	v_mul_f32_e32 v0, 0x4f7ffffe, v0
	s_delay_alu instid0(VALU_DEP_1) | instskip(NEXT) | instid1(VALU_DEP_1)
	v_cvt_u32_f32_e32 v0, v0
	v_mul_lo_u32 v5, s13, v0
	s_mov_b32 s13, 0
	s_delay_alu instid0(SALU_CYCLE_1) | instskip(SKIP_4) | instid1(VALU_DEP_1)
	s_lshl_b64 s[16:17], s[12:13], 2
	s_add_i32 s12, s18, 1
	s_add_u32 s0, s16, s0
	s_addc_u32 s1, s17, s1
	s_add_u32 s16, s0, 8
	v_mul_hi_u32 v5, v0, v5
	s_addc_u32 s17, s1, 0
                                        ; implicit-def: $sgpr1
	s_delay_alu instid0(VALU_DEP_1)
	v_add_nc_u32_e32 v34, v0, v5
	s_branch .LBB84_3
.LBB84_2:                               ;   in Loop: Header=BB84_3 Depth=1
	s_or_b32 exec_lo, exec_lo, s18
	s_delay_alu instid0(SALU_CYCLE_1) | instskip(NEXT) | instid1(SALU_CYCLE_1)
	s_and_b32 s0, exec_lo, s0
	s_or_b32 s13, s0, s13
	s_and_not1_b32 s0, s1, exec_lo
	s_and_b32 s1, s33, exec_lo
	s_and_not1_b32 s18, s27, exec_lo
	s_and_b32 s19, s30, exec_lo
	s_or_b32 s1, s0, s1
	s_or_b32 s27, s18, s19
	s_and_not1_b32 s0, s28, exec_lo
	s_and_b32 s18, s31, exec_lo
	s_and_not1_b32 s19, s26, exec_lo
	s_and_b32 s26, s29, exec_lo
	s_or_b32 s28, s0, s18
	s_or_b32 s26, s19, s26
	s_and_not1_b32 exec_lo, exec_lo, s13
	s_cbranch_execz .LBB84_69
.LBB84_3:                               ; =>This Loop Header: Depth=1
                                        ;     Child Loop BB84_6 Depth 2
                                        ;     Child Loop BB84_13 Depth 2
                                        ;     Child Loop BB84_20 Depth 2
                                        ;     Child Loop BB84_27 Depth 2
	v_sub_nc_u32_e32 v35, s20, v32
	v_mov_b32_e32 v5, 0
	s_delay_alu instid0(VALU_DEP_2) | instskip(NEXT) | instid1(VALU_DEP_1)
	v_cmp_lt_i32_e64 s0, 0, v35
	s_and_saveexec_b32 s34, s0
	s_cbranch_execz .LBB84_8
; %bb.4:                                ;   in Loop: Header=BB84_3 Depth=1
	v_dual_mov_b32 v0, 0 :: v_dual_mov_b32 v3, v32
	s_and_not1_b32 vcc_lo, exec_lo, s23
	s_cbranch_vccnz .LBB84_7
; %bb.5:                                ;   in Loop: Header=BB84_3 Depth=1
	v_dual_mov_b32 v0, 0 :: v_dual_mov_b32 v3, v32
	s_mov_b64 s[18:19], s[16:17]
	s_mov_b32 s35, s12
	s_set_inst_prefetch_distance 0x1
	.p2align	6
.LBB84_6:                               ;   Parent Loop BB84_3 Depth=1
                                        ; =>  This Inner Loop Header: Depth=2
	s_clause 0x1
	s_load_b32 s36, s[18:19], 0x0
	s_load_b32 s37, s[18:19], 0x64
	v_mov_b32_e32 v7, v3
	s_add_i32 s35, s35, -1
	s_waitcnt lgkmcnt(0)
	v_cvt_f32_u32_e32 v5, s36
	s_sub_i32 s38, 0, s36
	s_add_u32 s18, s18, -4
	s_addc_u32 s19, s19, -1
	s_cmp_gt_u32 s35, 2
	v_rcp_iflag_f32_e32 v5, v5
	s_waitcnt_depctr 0xfff
	v_mul_f32_e32 v5, 0x4f7ffffe, v5
	s_delay_alu instid0(VALU_DEP_1) | instskip(NEXT) | instid1(VALU_DEP_1)
	v_cvt_u32_f32_e32 v5, v5
	v_mul_lo_u32 v6, s38, v5
	s_delay_alu instid0(VALU_DEP_1) | instskip(NEXT) | instid1(VALU_DEP_1)
	v_mul_hi_u32 v6, v5, v6
	v_add_nc_u32_e32 v3, v5, v6
	s_delay_alu instid0(VALU_DEP_1) | instskip(NEXT) | instid1(VALU_DEP_1)
	v_mul_hi_u32 v3, v7, v3
	v_add_nc_u32_e32 v6, 1, v3
	v_mul_lo_u32 v5, v3, s36
	s_delay_alu instid0(VALU_DEP_1) | instskip(NEXT) | instid1(VALU_DEP_1)
	v_sub_nc_u32_e32 v5, v7, v5
	v_subrev_nc_u32_e32 v8, s36, v5
	v_cmp_le_u32_e32 vcc_lo, s36, v5
	v_cndmask_b32_e32 v3, v3, v6, vcc_lo
	s_delay_alu instid0(VALU_DEP_1) | instskip(NEXT) | instid1(VALU_DEP_1)
	v_dual_cndmask_b32 v5, v5, v8 :: v_dual_add_nc_u32 v6, 1, v3
	v_cmp_le_u32_e32 vcc_lo, s36, v5
	s_delay_alu instid0(VALU_DEP_2) | instskip(NEXT) | instid1(VALU_DEP_1)
	v_cndmask_b32_e32 v3, v3, v6, vcc_lo
	v_mul_lo_u32 v5, v3, s36
	s_delay_alu instid0(VALU_DEP_1) | instskip(NEXT) | instid1(VALU_DEP_1)
	v_sub_nc_u32_e32 v7, v7, v5
	v_mad_u64_u32 v[5:6], null, s37, v7, v[0:1]
	s_delay_alu instid0(VALU_DEP_1)
	v_mov_b32_e32 v0, v5
	s_cbranch_scc1 .LBB84_6
.LBB84_7:                               ;   in Loop: Header=BB84_3 Depth=1
	s_set_inst_prefetch_distance 0x2
	s_delay_alu instid0(VALU_DEP_1)
	v_mad_u64_u32 v[5:6], null, s22, v3, v[0:1]
.LBB84_8:                               ;   in Loop: Header=BB84_3 Depth=1
	s_or_b32 exec_lo, exec_lo, s34
	v_mov_b32_e32 v8, 0
	v_mov_b32_e32 v6, 0
	s_and_saveexec_b32 s18, s0
	s_cbranch_execz .LBB84_10
; %bb.9:                                ;   in Loop: Header=BB84_3 Depth=1
	v_mul_hi_u32 v0, v32, v34
	s_delay_alu instid0(VALU_DEP_1) | instskip(NEXT) | instid1(VALU_DEP_1)
	v_mul_lo_u32 v3, v0, s21
	v_sub_nc_u32_e32 v3, v32, v3
	s_delay_alu instid0(VALU_DEP_1) | instskip(SKIP_1) | instid1(VALU_DEP_2)
	v_subrev_nc_u32_e32 v7, s21, v3
	v_cmp_le_u32_e32 vcc_lo, s21, v3
	v_dual_cndmask_b32 v3, v3, v7 :: v_dual_add_nc_u32 v6, 1, v0
	s_delay_alu instid0(VALU_DEP_1) | instskip(NEXT) | instid1(VALU_DEP_2)
	v_cndmask_b32_e32 v0, v0, v6, vcc_lo
	v_cmp_le_u32_e32 vcc_lo, s21, v3
	s_delay_alu instid0(VALU_DEP_2) | instskip(NEXT) | instid1(VALU_DEP_1)
	v_add_nc_u32_e32 v6, 1, v0
	v_cndmask_b32_e32 v3, v0, v6, vcc_lo
	s_delay_alu instid0(VALU_DEP_1) | instskip(NEXT) | instid1(VALU_DEP_1)
	v_mul_lo_u32 v0, v3, s21
	v_sub_nc_u32_e32 v0, v32, v0
	s_delay_alu instid0(VALU_DEP_1) | instskip(NEXT) | instid1(VALU_DEP_1)
	v_mul_lo_u32 v0, v0, s3
	v_mad_u64_u32 v[6:7], null, v3, s2, v[0:1]
.LBB84_10:                              ;   in Loop: Header=BB84_3 Depth=1
	s_or_b32 exec_lo, exec_lo, s18
	v_or_b32_e32 v7, 1, v32
	v_cmp_lt_i32_e64 s0, 1, v35
	s_delay_alu instid0(VALU_DEP_1)
	s_and_saveexec_b32 s34, s0
	s_cbranch_execz .LBB84_15
; %bb.11:                               ;   in Loop: Header=BB84_3 Depth=1
	s_delay_alu instid0(VALU_DEP_2)
	v_dual_mov_b32 v0, 0 :: v_dual_mov_b32 v3, v7
	s_and_not1_b32 vcc_lo, exec_lo, s23
	s_cbranch_vccnz .LBB84_14
; %bb.12:                               ;   in Loop: Header=BB84_3 Depth=1
	v_dual_mov_b32 v0, 0 :: v_dual_mov_b32 v3, v7
	s_mov_b64 s[18:19], s[16:17]
	s_mov_b32 s35, s12
	s_set_inst_prefetch_distance 0x1
	.p2align	6
.LBB84_13:                              ;   Parent Loop BB84_3 Depth=1
                                        ; =>  This Inner Loop Header: Depth=2
	s_clause 0x1
	s_load_b32 s36, s[18:19], 0x0
	s_load_b32 s37, s[18:19], 0x64
	s_add_i32 s35, s35, -1
	s_waitcnt lgkmcnt(0)
	v_cvt_f32_u32_e32 v8, s36
	s_sub_i32 s38, 0, s36
	s_add_u32 s18, s18, -4
	s_addc_u32 s19, s19, -1
	s_cmp_gt_u32 s35, 2
	v_rcp_iflag_f32_e32 v8, v8
	s_waitcnt_depctr 0xfff
	v_mul_f32_e32 v8, 0x4f7ffffe, v8
	s_delay_alu instid0(VALU_DEP_1) | instskip(NEXT) | instid1(VALU_DEP_1)
	v_cvt_u32_f32_e32 v8, v8
	v_mul_lo_u32 v9, s38, v8
	s_delay_alu instid0(VALU_DEP_1) | instskip(NEXT) | instid1(VALU_DEP_1)
	v_mul_hi_u32 v9, v8, v9
	v_dual_mov_b32 v10, v3 :: v_dual_add_nc_u32 v3, v8, v9
	s_delay_alu instid0(VALU_DEP_1) | instskip(NEXT) | instid1(VALU_DEP_1)
	v_mul_hi_u32 v3, v10, v3
	v_mul_lo_u32 v8, v3, s36
	v_add_nc_u32_e32 v9, 1, v3
	s_delay_alu instid0(VALU_DEP_2) | instskip(NEXT) | instid1(VALU_DEP_1)
	v_sub_nc_u32_e32 v8, v10, v8
	v_subrev_nc_u32_e32 v11, s36, v8
	v_cmp_le_u32_e32 vcc_lo, s36, v8
	s_delay_alu instid0(VALU_DEP_2) | instskip(NEXT) | instid1(VALU_DEP_1)
	v_dual_cndmask_b32 v3, v3, v9 :: v_dual_cndmask_b32 v8, v8, v11
	v_add_nc_u32_e32 v9, 1, v3
	s_delay_alu instid0(VALU_DEP_2) | instskip(NEXT) | instid1(VALU_DEP_2)
	v_cmp_le_u32_e32 vcc_lo, s36, v8
	v_cndmask_b32_e32 v3, v3, v9, vcc_lo
	s_delay_alu instid0(VALU_DEP_1) | instskip(NEXT) | instid1(VALU_DEP_1)
	v_mul_lo_u32 v8, v3, s36
	v_sub_nc_u32_e32 v10, v10, v8
	s_delay_alu instid0(VALU_DEP_1) | instskip(NEXT) | instid1(VALU_DEP_1)
	v_mad_u64_u32 v[8:9], null, s37, v10, v[0:1]
	v_mov_b32_e32 v0, v8
	s_cbranch_scc1 .LBB84_13
.LBB84_14:                              ;   in Loop: Header=BB84_3 Depth=1
	s_set_inst_prefetch_distance 0x2
	s_delay_alu instid0(VALU_DEP_1)
	v_mad_u64_u32 v[8:9], null, s22, v3, v[0:1]
.LBB84_15:                              ;   in Loop: Header=BB84_3 Depth=1
	s_or_b32 exec_lo, exec_lo, s34
	v_mov_b32_e32 v3, 0
	s_and_saveexec_b32 s18, s0
	s_cbranch_execz .LBB84_17
; %bb.16:                               ;   in Loop: Header=BB84_3 Depth=1
	v_mul_hi_u32 v0, v7, v34
	s_delay_alu instid0(VALU_DEP_1) | instskip(SKIP_1) | instid1(VALU_DEP_2)
	v_mul_lo_u32 v3, v0, s21
	v_add_nc_u32_e32 v9, 1, v0
	v_sub_nc_u32_e32 v3, v7, v3
	s_delay_alu instid0(VALU_DEP_1) | instskip(SKIP_1) | instid1(VALU_DEP_2)
	v_subrev_nc_u32_e32 v10, s21, v3
	v_cmp_le_u32_e32 vcc_lo, s21, v3
	v_dual_cndmask_b32 v0, v0, v9 :: v_dual_cndmask_b32 v3, v3, v10
	s_delay_alu instid0(VALU_DEP_1) | instskip(NEXT) | instid1(VALU_DEP_2)
	v_add_nc_u32_e32 v9, 1, v0
	v_cmp_le_u32_e32 vcc_lo, s21, v3
	s_delay_alu instid0(VALU_DEP_2) | instskip(NEXT) | instid1(VALU_DEP_1)
	v_cndmask_b32_e32 v3, v0, v9, vcc_lo
	v_mul_lo_u32 v0, v3, s21
	s_delay_alu instid0(VALU_DEP_1) | instskip(NEXT) | instid1(VALU_DEP_1)
	v_sub_nc_u32_e32 v0, v7, v0
	v_mul_lo_u32 v0, v0, s3
	s_delay_alu instid0(VALU_DEP_1) | instskip(NEXT) | instid1(VALU_DEP_1)
	v_mad_u64_u32 v[9:10], null, v3, s2, v[0:1]
	v_mov_b32_e32 v3, v9
.LBB84_17:                              ;   in Loop: Header=BB84_3 Depth=1
	s_or_b32 exec_lo, exec_lo, s18
	v_mov_b32_e32 v9, 0
	v_or_b32_e32 v7, 2, v32
	v_mov_b32_e32 v10, 0
	v_cmp_lt_i32_e64 s0, 2, v35
	s_delay_alu instid0(VALU_DEP_1)
	s_and_saveexec_b32 s34, s0
	s_cbranch_execz .LBB84_22
; %bb.18:                               ;   in Loop: Header=BB84_3 Depth=1
	v_dual_mov_b32 v0, 0 :: v_dual_mov_b32 v11, v7
	s_and_not1_b32 vcc_lo, exec_lo, s23
	s_cbranch_vccnz .LBB84_21
; %bb.19:                               ;   in Loop: Header=BB84_3 Depth=1
	v_dual_mov_b32 v0, 0 :: v_dual_mov_b32 v11, v7
	s_mov_b64 s[18:19], s[16:17]
	s_mov_b32 s35, s12
	s_set_inst_prefetch_distance 0x1
	.p2align	6
.LBB84_20:                              ;   Parent Loop BB84_3 Depth=1
                                        ; =>  This Inner Loop Header: Depth=2
	s_clause 0x1
	s_load_b32 s36, s[18:19], 0x0
	s_load_b32 s37, s[18:19], 0x64
	s_add_i32 s35, s35, -1
	v_mov_b32_e32 v12, v11
	s_waitcnt lgkmcnt(0)
	v_cvt_f32_u32_e32 v9, s36
	s_sub_i32 s38, 0, s36
	s_add_u32 s18, s18, -4
	s_addc_u32 s19, s19, -1
	s_cmp_gt_u32 s35, 2
	v_rcp_iflag_f32_e32 v9, v9
	s_waitcnt_depctr 0xfff
	v_mul_f32_e32 v9, 0x4f7ffffe, v9
	s_delay_alu instid0(VALU_DEP_1) | instskip(NEXT) | instid1(VALU_DEP_1)
	v_cvt_u32_f32_e32 v9, v9
	v_mul_lo_u32 v10, s38, v9
	s_delay_alu instid0(VALU_DEP_1) | instskip(NEXT) | instid1(VALU_DEP_1)
	v_mul_hi_u32 v10, v9, v10
	v_add_nc_u32_e32 v9, v9, v10
	s_delay_alu instid0(VALU_DEP_1) | instskip(NEXT) | instid1(VALU_DEP_1)
	v_mul_hi_u32 v9, v12, v9
	v_mul_lo_u32 v10, v9, s36
	v_add_nc_u32_e32 v11, 1, v9
	s_delay_alu instid0(VALU_DEP_2) | instskip(NEXT) | instid1(VALU_DEP_1)
	v_sub_nc_u32_e32 v10, v12, v10
	v_subrev_nc_u32_e32 v13, s36, v10
	v_cmp_le_u32_e32 vcc_lo, s36, v10
	s_delay_alu instid0(VALU_DEP_2) | instskip(NEXT) | instid1(VALU_DEP_1)
	v_dual_cndmask_b32 v9, v9, v11 :: v_dual_cndmask_b32 v10, v10, v13
	v_add_nc_u32_e32 v11, 1, v9
	s_delay_alu instid0(VALU_DEP_2) | instskip(NEXT) | instid1(VALU_DEP_2)
	v_cmp_le_u32_e32 vcc_lo, s36, v10
	v_cndmask_b32_e32 v11, v9, v11, vcc_lo
	s_delay_alu instid0(VALU_DEP_1) | instskip(NEXT) | instid1(VALU_DEP_1)
	v_mul_lo_u32 v9, v11, s36
	v_sub_nc_u32_e32 v12, v12, v9
	s_delay_alu instid0(VALU_DEP_1) | instskip(NEXT) | instid1(VALU_DEP_1)
	v_mad_u64_u32 v[9:10], null, s37, v12, v[0:1]
	v_mov_b32_e32 v0, v9
	s_cbranch_scc1 .LBB84_20
.LBB84_21:                              ;   in Loop: Header=BB84_3 Depth=1
	s_set_inst_prefetch_distance 0x2
	s_delay_alu instid0(VALU_DEP_1)
	v_mad_u64_u32 v[9:10], null, s22, v11, v[0:1]
	v_mov_b32_e32 v10, v4
.LBB84_22:                              ;   in Loop: Header=BB84_3 Depth=1
	s_or_b32 exec_lo, exec_lo, s34
	v_mov_b32_e32 v15, 0
	v_mov_b32_e32 v16, 0
	s_delay_alu instid0(VALU_DEP_1)
	v_dual_mov_b32 v11, v15 :: v_dual_mov_b32 v12, v16
	s_and_saveexec_b32 s18, s0
	s_cbranch_execz .LBB84_24
; %bb.23:                               ;   in Loop: Header=BB84_3 Depth=1
	v_mul_hi_u32 v0, v7, v34
	s_delay_alu instid0(VALU_DEP_1) | instskip(NEXT) | instid1(VALU_DEP_1)
	v_mul_lo_u32 v11, v0, s21
	v_sub_nc_u32_e32 v11, v7, v11
	s_delay_alu instid0(VALU_DEP_1) | instskip(SKIP_1) | instid1(VALU_DEP_2)
	v_subrev_nc_u32_e32 v13, s21, v11
	v_cmp_le_u32_e32 vcc_lo, s21, v11
	v_dual_cndmask_b32 v11, v11, v13 :: v_dual_add_nc_u32 v12, 1, v0
	s_delay_alu instid0(VALU_DEP_1) | instskip(NEXT) | instid1(VALU_DEP_2)
	v_cndmask_b32_e32 v0, v0, v12, vcc_lo
	v_cmp_le_u32_e32 vcc_lo, s21, v11
	s_delay_alu instid0(VALU_DEP_2) | instskip(NEXT) | instid1(VALU_DEP_1)
	v_add_nc_u32_e32 v12, 1, v0
	v_cndmask_b32_e32 v13, v0, v12, vcc_lo
	s_delay_alu instid0(VALU_DEP_1) | instskip(NEXT) | instid1(VALU_DEP_1)
	v_mul_lo_u32 v0, v13, s21
	v_sub_nc_u32_e32 v0, v7, v0
	s_delay_alu instid0(VALU_DEP_1) | instskip(NEXT) | instid1(VALU_DEP_1)
	v_mul_lo_u32 v0, v0, s3
	v_mad_u64_u32 v[11:12], null, v13, s2, v[0:1]
	v_mov_b32_e32 v12, v4
.LBB84_24:                              ;   in Loop: Header=BB84_3 Depth=1
	s_or_b32 exec_lo, exec_lo, s18
	v_or_b32_e32 v7, 3, v32
	v_cmp_lt_i32_e64 s0, 3, v35
	s_delay_alu instid0(VALU_DEP_1)
	s_and_saveexec_b32 s34, s0
	s_cbranch_execz .LBB84_29
; %bb.25:                               ;   in Loop: Header=BB84_3 Depth=1
	s_delay_alu instid0(VALU_DEP_2)
	v_dual_mov_b32 v0, 0 :: v_dual_mov_b32 v13, v7
	s_and_not1_b32 vcc_lo, exec_lo, s23
	s_cbranch_vccnz .LBB84_28
; %bb.26:                               ;   in Loop: Header=BB84_3 Depth=1
	v_dual_mov_b32 v0, 0 :: v_dual_mov_b32 v13, v7
	s_mov_b64 s[18:19], s[16:17]
	s_mov_b32 s35, s12
	s_set_inst_prefetch_distance 0x1
	.p2align	6
.LBB84_27:                              ;   Parent Loop BB84_3 Depth=1
                                        ; =>  This Inner Loop Header: Depth=2
	s_clause 0x1
	s_load_b32 s36, s[18:19], 0x0
	s_load_b32 s37, s[18:19], 0x64
	s_add_i32 s35, s35, -1
	s_waitcnt lgkmcnt(0)
	v_cvt_f32_u32_e32 v14, s36
	s_sub_i32 s38, 0, s36
	s_add_u32 s18, s18, -4
	s_addc_u32 s19, s19, -1
	s_cmp_gt_u32 s35, 2
	v_rcp_iflag_f32_e32 v14, v14
	s_waitcnt_depctr 0xfff
	v_mul_f32_e32 v14, 0x4f7ffffe, v14
	s_delay_alu instid0(VALU_DEP_1) | instskip(NEXT) | instid1(VALU_DEP_1)
	v_cvt_u32_f32_e32 v14, v14
	v_mul_lo_u32 v15, s38, v14
	s_delay_alu instid0(VALU_DEP_1) | instskip(NEXT) | instid1(VALU_DEP_1)
	v_mul_hi_u32 v15, v14, v15
	v_dual_mov_b32 v16, v13 :: v_dual_add_nc_u32 v13, v14, v15
	s_delay_alu instid0(VALU_DEP_1) | instskip(NEXT) | instid1(VALU_DEP_1)
	v_mul_hi_u32 v13, v16, v13
	v_mul_lo_u32 v14, v13, s36
	v_add_nc_u32_e32 v15, 1, v13
	s_delay_alu instid0(VALU_DEP_2) | instskip(NEXT) | instid1(VALU_DEP_1)
	v_sub_nc_u32_e32 v14, v16, v14
	v_subrev_nc_u32_e32 v17, s36, v14
	v_cmp_le_u32_e32 vcc_lo, s36, v14
	s_delay_alu instid0(VALU_DEP_2) | instskip(NEXT) | instid1(VALU_DEP_1)
	v_dual_cndmask_b32 v13, v13, v15 :: v_dual_cndmask_b32 v14, v14, v17
	v_add_nc_u32_e32 v15, 1, v13
	s_delay_alu instid0(VALU_DEP_2) | instskip(NEXT) | instid1(VALU_DEP_2)
	v_cmp_le_u32_e32 vcc_lo, s36, v14
	v_cndmask_b32_e32 v13, v13, v15, vcc_lo
	s_delay_alu instid0(VALU_DEP_1) | instskip(NEXT) | instid1(VALU_DEP_1)
	v_mul_lo_u32 v14, v13, s36
	v_sub_nc_u32_e32 v16, v16, v14
	s_delay_alu instid0(VALU_DEP_1) | instskip(NEXT) | instid1(VALU_DEP_1)
	v_mad_u64_u32 v[14:15], null, s37, v16, v[0:1]
	v_mov_b32_e32 v0, v14
	s_cbranch_scc1 .LBB84_27
.LBB84_28:                              ;   in Loop: Header=BB84_3 Depth=1
	s_set_inst_prefetch_distance 0x2
	s_delay_alu instid0(VALU_DEP_1)
	v_mad_u64_u32 v[15:16], null, s22, v13, v[0:1]
	v_mov_b32_e32 v16, v4
.LBB84_29:                              ;   in Loop: Header=BB84_3 Depth=1
	s_or_b32 exec_lo, exec_lo, s34
	v_mov_b32_e32 v13, 0
	v_mov_b32_e32 v14, 0
	s_and_saveexec_b32 s18, s0
	s_cbranch_execz .LBB84_31
; %bb.30:                               ;   in Loop: Header=BB84_3 Depth=1
	v_mul_hi_u32 v0, v7, v34
	s_delay_alu instid0(VALU_DEP_1) | instskip(NEXT) | instid1(VALU_DEP_1)
	v_mul_lo_u32 v13, v0, s21
	v_sub_nc_u32_e32 v13, v7, v13
	s_delay_alu instid0(VALU_DEP_1) | instskip(SKIP_1) | instid1(VALU_DEP_2)
	v_subrev_nc_u32_e32 v17, s21, v13
	v_cmp_le_u32_e32 vcc_lo, s21, v13
	v_dual_cndmask_b32 v13, v13, v17 :: v_dual_add_nc_u32 v14, 1, v0
	s_delay_alu instid0(VALU_DEP_1) | instskip(NEXT) | instid1(VALU_DEP_2)
	v_cndmask_b32_e32 v0, v0, v14, vcc_lo
	v_cmp_le_u32_e32 vcc_lo, s21, v13
	s_delay_alu instid0(VALU_DEP_2) | instskip(NEXT) | instid1(VALU_DEP_1)
	v_add_nc_u32_e32 v14, 1, v0
	v_cndmask_b32_e32 v17, v0, v14, vcc_lo
	s_delay_alu instid0(VALU_DEP_1) | instskip(NEXT) | instid1(VALU_DEP_1)
	v_mul_lo_u32 v0, v17, s21
	v_sub_nc_u32_e32 v0, v7, v0
	s_delay_alu instid0(VALU_DEP_1) | instskip(NEXT) | instid1(VALU_DEP_1)
	v_mul_lo_u32 v0, v0, s3
	v_mad_u64_u32 v[13:14], null, v17, s2, v[0:1]
	v_mov_b32_e32 v14, v4
.LBB84_31:                              ;   in Loop: Header=BB84_3 Depth=1
	s_or_b32 exec_lo, exec_lo, s18
	s_delay_alu instid0(VALU_DEP_1) | instskip(SKIP_3) | instid1(VALU_DEP_3)
	v_lshlrev_b64 v[13:14], 2, v[13:14]
	s_waitcnt lgkmcnt(0)
	v_dual_mov_b32 v20, s7 :: v_dual_mov_b32 v19, s6
	v_dual_mov_b32 v22, s5 :: v_dual_mov_b32 v21, s4
	v_add_co_u32 v13, vcc_lo, s8, v13
	s_delay_alu instid0(VALU_DEP_4)
	v_add_co_ci_u32_e32 v14, vcc_lo, s9, v14, vcc_lo
	s_and_not1_b32 vcc_lo, exec_lo, s24
	global_load_b32 v0, v[13:14], off
	s_cbranch_vccnz .LBB84_33
; %bb.32:                               ;   in Loop: Header=BB84_3 Depth=1
	v_dual_mov_b32 v14, s7 :: v_dual_mov_b32 v13, s6
	v_dual_mov_b32 v18, s5 :: v_dual_mov_b32 v17, s4
	flat_load_b64 v[13:14], v[13:14]
	flat_load_b64 v[21:22], v[17:18]
	s_waitcnt vmcnt(1) lgkmcnt(1)
	v_add_co_u32 v19, vcc_lo, v13, s10
	v_add_co_ci_u32_e32 v20, vcc_lo, s11, v14, vcc_lo
.LBB84_33:                              ;   in Loop: Header=BB84_3 Depth=1
	s_delay_alu instid0(VALU_DEP_1)
	v_alignbit_b32 v7, v20, v19, 2
	v_lshrrev_b32_e32 v17, 2, v20
	s_waitcnt vmcnt(0) lgkmcnt(0)
	v_add_nc_u32_e32 v37, 0xbb67ae85, v22
	v_add_nc_u32_e32 v38, 0x3c6ef372, v21
	;; [unrolled: 1-line block ×3, first 2 shown]
	v_add_co_u32 v18, vcc_lo, v7, 1
	s_delay_alu instid0(VALU_DEP_1) | instskip(SKIP_4) | instid1(VALU_DEP_4)
	v_cndmask_b32_e64 v13, 0, 1, vcc_lo
	v_add_co_ci_u32_e32 v20, vcc_lo, 0, v17, vcc_lo
	v_xor3_b32 v25, v33, v21, v17
	v_add_nc_u32_e32 v41, 0xed9eba14, v22
	v_add_nc_u32_e32 v42, 0x1fd5c5a3, v22
	v_cmp_eq_u32_e32 vcc_lo, 0, v20
	s_mov_b32 s0, exec_lo
	v_dual_cndmask_b32 v23, 0, v13 :: v_dual_add_nc_u32 v40, 0x32370b8f, v22
	v_mad_u64_u32 v[13:14], null, 0xd2511f53, v18, 0
	v_mad_u64_u32 v[17:18], null, 0xd2511f53, v7, 0
	s_delay_alu instid0(VALU_DEP_3) | instskip(NEXT) | instid1(VALU_DEP_3)
	v_add_nc_u32_e32 v27, v23, v1
	v_xor_b32_e32 v14, v14, v22
	s_delay_alu instid0(VALU_DEP_2) | instskip(SKIP_1) | instid1(VALU_DEP_1)
	v_cmp_eq_u32_e32 vcc_lo, 0, v27
	v_dual_cndmask_b32 v23, 0, v23 :: v_dual_add_nc_u32 v36, 0x9e3779b9, v21
	v_xor_b32_e32 v7, v23, v14
	v_mad_u64_u32 v[23:24], null, 0xd2511f53, v25, 0
	v_mad_u64_u32 v[25:26], null, 0xcd9e8d57, v27, 0
	s_delay_alu instid0(VALU_DEP_3) | instskip(SKIP_1) | instid1(VALU_DEP_4)
	v_mad_u64_u32 v[27:28], null, 0xcd9e8d57, v7, 0
	v_xor_b32_e32 v7, v18, v22
	v_xor3_b32 v14, v37, v24, v17
	s_delay_alu instid0(VALU_DEP_2) | instskip(SKIP_2) | instid1(VALU_DEP_4)
	v_mad_u64_u32 v[17:18], null, 0xcd9e8d57, v7, 0
	v_xor3_b32 v7, v26, v21, v20
	v_xor3_b32 v20, v36, v28, v25
	v_mad_u64_u32 v[24:25], null, 0xcd9e8d57, v14, 0
	s_delay_alu instid0(VALU_DEP_3) | instskip(NEXT) | instid1(VALU_DEP_3)
	v_mad_u64_u32 v[28:29], null, 0xd2511f53, v7, 0
	v_mad_u64_u32 v[30:31], null, 0xd2511f53, v20, 0
	v_xor3_b32 v7, v2, v18, v36
	s_delay_alu instid0(VALU_DEP_4) | instskip(SKIP_1) | instid1(VALU_DEP_3)
	v_xor3_b32 v25, v38, v25, v17
	v_add_nc_u32_e32 v20, 0xdaa66d2b, v21
	v_mad_u64_u32 v[17:18], null, 0xd2511f53, v7, 0
	v_xor3_b32 v7, v37, v29, v13
	v_xor3_b32 v31, v39, v31, v28
	v_mad_u64_u32 v[13:14], null, 0xd2511f53, v25, 0
	s_delay_alu instid0(VALU_DEP_3) | instskip(NEXT) | instid1(VALU_DEP_3)
	v_mad_u64_u32 v[25:26], null, 0xcd9e8d57, v7, 0
	v_mad_u64_u32 v[28:29], null, 0xcd9e8d57, v31, 0
	v_xor3_b32 v7, v39, v18, v23
	s_delay_alu instid0(VALU_DEP_4) | instskip(SKIP_1) | instid1(VALU_DEP_3)
	v_xor3_b32 v14, v40, v14, v17
	v_add_nc_u32_e32 v31, 0x78dde6e4, v21
	v_mad_u64_u32 v[17:18], null, 0xcd9e8d57, v7, 0
	v_xor3_b32 v7, v38, v26, v27
	v_xor3_b32 v23, v20, v29, v25
	v_mad_u64_u32 v[25:26], null, 0xcd9e8d57, v14, 0
	v_add_nc_u32_e32 v27, 0xa9066899, v22
	s_delay_alu instid0(VALU_DEP_4) | instskip(NEXT) | instid1(VALU_DEP_4)
	v_mad_u64_u32 v[36:37], null, 0xd2511f53, v7, 0
	v_mad_u64_u32 v[38:39], null, 0xd2511f53, v23, 0
	v_xor3_b32 v7, v20, v18, v24
	v_xor3_b32 v14, v31, v26, v17
	v_add_nc_u32_e32 v20, 0x1715609d, v21
	s_delay_alu instid0(VALU_DEP_3) | instskip(SKIP_4) | instid1(VALU_DEP_4)
	v_mad_u64_u32 v[17:18], null, 0xd2511f53, v7, 0
	v_xor3_b32 v7, v40, v37, v30
	v_xor3_b32 v26, v41, v39, v36
	v_mad_u64_u32 v[29:30], null, 0xd2511f53, v14, 0
	v_add_nc_u32_e32 v37, 0xb54cda56, v21
	v_mad_u64_u32 v[23:24], null, 0xcd9e8d57, v7, 0
	s_delay_alu instid0(VALU_DEP_4) | instskip(SKIP_3) | instid1(VALU_DEP_3)
	v_mad_u64_u32 v[39:40], null, 0xcd9e8d57, v26, 0
	v_xor3_b32 v7, v41, v18, v13
	v_xor3_b32 v26, v27, v30, v17
	v_add_nc_u32_e32 v36, 0x646e171e, v22
	v_mad_u64_u32 v[13:14], null, 0xcd9e8d57, v7, 0
	v_xor3_b32 v7, v31, v24, v28
	v_xor3_b32 v28, v20, v40, v23
	v_mad_u64_u32 v[17:18], null, 0xcd9e8d57, v26, 0
	s_delay_alu instid0(VALU_DEP_3) | instskip(NEXT) | instid1(VALU_DEP_3)
	v_mad_u64_u32 v[23:24], null, 0xd2511f53, v7, 0
	v_mad_u64_u32 v[40:41], null, 0xd2511f53, v28, 0
	v_xor3_b32 v7, v20, v14, v25
	s_delay_alu instid0(VALU_DEP_4) | instskip(SKIP_1) | instid1(VALU_DEP_3)
	v_xor3_b32 v18, v37, v18, v13
	v_add_nc_u32_e32 v20, 0x5384540f, v21
	v_mad_u64_u32 v[13:14], null, 0xd2511f53, v7, 0
	v_xor3_b32 v7, v27, v24, v38
	v_xor3_b32 v25, v36, v41, v23
	v_mad_u64_u32 v[23:24], null, 0xd2511f53, v18, 0
	s_delay_alu instid0(VALU_DEP_3) | instskip(NEXT) | instid1(VALU_DEP_3)
	v_mad_u64_u32 v[30:31], null, 0xcd9e8d57, v7, 0
	v_mad_u64_u32 v[26:27], null, 0xcd9e8d57, v25, 0
	v_xor3_b32 v7, v36, v14, v29
	s_delay_alu instid0(VALU_DEP_4) | instskip(SKIP_1) | instid1(VALU_DEP_3)
	v_xor3_b32 v18, v42, v24, v13
	v_add_co_u32 v36, null, 0xf1bbcdc8, v21
	v_mad_u64_u32 v[13:14], null, 0xcd9e8d57, v7, 0
	v_xor3_b32 v7, v37, v31, v39
	v_xor3_b32 v27, v20, v27, v30
	v_mad_u64_u32 v[24:25], null, 0xcd9e8d57, v18, 0
	v_add_nc_u32_e32 v37, 0xdb3d7428, v22
	s_delay_alu instid0(VALU_DEP_4) | instskip(NEXT) | instid1(VALU_DEP_4)
	v_mad_u64_u32 v[38:39], null, 0xd2511f53, v7, 0
	v_mad_u64_u32 v[29:30], null, 0xd2511f53, v27, 0
	v_xor3_b32 v7, v20, v14, v17
	v_xor3_b32 v17, v36, v25, v13
	v_add_nc_u32_e32 v25, 0x96a522ad, v22
	v_add_nc_u32_e32 v22, 0x8ff34781, v21
	v_and_b32_e32 v21, 3, v19
	v_mad_u64_u32 v[27:28], null, 0xd2511f53, v7, 0
	v_xor3_b32 v7, v42, v39, v40
	v_xor3_b32 v20, v37, v30, v38
	v_mad_u64_u32 v[13:14], null, 0xd2511f53, v17, 0
	s_delay_alu instid0(VALU_DEP_3) | instskip(NEXT) | instid1(VALU_DEP_3)
	v_mad_u64_u32 v[30:31], null, 0xcd9e8d57, v7, 0
	v_mad_u64_u32 v[17:18], null, 0xcd9e8d57, v20, 0
                                        ; implicit-def: $vgpr20
	s_delay_alu instid0(VALU_DEP_3) | instskip(NEXT) | instid1(VALU_DEP_2)
	v_xor3_b32 v14, v14, v27, v25
	v_xor3_b32 v7, v18, v30, v22
	v_cmpx_lt_i32_e32 1, v21
	s_xor_b32 s0, exec_lo, s0
	s_cbranch_execz .LBB84_39
; %bb.34:                               ;   in Loop: Header=BB84_3 Depth=1
	s_mov_b32 s18, exec_lo
                                        ; implicit-def: $vgpr20
	v_cmpx_lt_i32_e32 2, v21
	s_xor_b32 s18, exec_lo, s18
; %bb.35:                               ;   in Loop: Header=BB84_3 Depth=1
	v_xor3_b32 v14, v36, v31, v26
	s_delay_alu instid0(VALU_DEP_1) | instskip(NEXT) | instid1(VALU_DEP_1)
	v_mul_hi_u32 v14, 0xd2511f53, v14
	v_xor3_b32 v20, v14, v29, v25
                                        ; implicit-def: $vgpr14
; %bb.36:                               ;   in Loop: Header=BB84_3 Depth=1
	s_and_not1_saveexec_b32 s18, s18
; %bb.37:                               ;   in Loop: Header=BB84_3 Depth=1
	v_dual_mov_b32 v20, v17 :: v_dual_mov_b32 v17, v7
	v_mov_b32_e32 v7, v13
	v_mov_b32_e32 v13, v14
; %bb.38:                               ;   in Loop: Header=BB84_3 Depth=1
	s_or_b32 exec_lo, exec_lo, s18
                                        ; implicit-def: $vgpr23_vgpr24
                                        ; implicit-def: $vgpr21
                                        ; implicit-def: $vgpr14
                                        ; implicit-def: $vgpr37
                                        ; implicit-def: $vgpr27_vgpr28
                                        ; implicit-def: $vgpr22
                                        ; implicit-def: $vgpr24_vgpr25
.LBB84_39:                              ;   in Loop: Header=BB84_3 Depth=1
	s_and_not1_saveexec_b32 s0, s0
	s_cbranch_execz .LBB84_43
; %bb.40:                               ;   in Loop: Header=BB84_3 Depth=1
	v_xor3_b32 v17, v37, v28, v23
	v_cmp_eq_u32_e32 vcc_lo, 1, v21
	v_mov_b32_e32 v20, v13
	s_delay_alu instid0(VALU_DEP_3) | instskip(SKIP_1) | instid1(VALU_DEP_2)
	v_mad_u64_u32 v[18:19], null, 0xcd9e8d57, v17, 0
	v_mov_b32_e32 v17, v14
	v_xor3_b32 v21, v19, v24, v22
	s_delay_alu instid0(VALU_DEP_3)
	v_mov_b32_e32 v19, v18
	s_and_saveexec_b32 s18, vcc_lo
; %bb.41:                               ;   in Loop: Header=BB84_3 Depth=1
	v_dual_mov_b32 v20, v7 :: v_dual_mov_b32 v17, v13
	v_mov_b32_e32 v19, v14
	v_mov_b32_e32 v21, v18
; %bb.42:                               ;   in Loop: Header=BB84_3 Depth=1
	s_or_b32 exec_lo, exec_lo, s18
	s_delay_alu instid0(VALU_DEP_1) | instskip(NEXT) | instid1(VALU_DEP_3)
	v_mov_b32_e32 v13, v21
	v_mov_b32_e32 v7, v19
.LBB84_43:                              ;   in Loop: Header=BB84_3 Depth=1
	s_or_b32 exec_lo, exec_lo, s0
	v_min_i32_e32 v14, 4, v35
	s_mov_b32 s18, 0
	s_mov_b32 s39, 0
	;; [unrolled: 1-line block ×3, first 2 shown]
                                        ; implicit-def: $sgpr34
                                        ; implicit-def: $sgpr35
                                        ; implicit-def: $sgpr36
	s_mov_b32 s0, exec_lo
	v_cmpx_lt_i32_e32 2, v14
	s_xor_b32 s37, exec_lo, s0
	s_cbranch_execz .LBB84_55
; %bb.44:                               ;   in Loop: Header=BB84_3 Depth=1
	s_mov_b32 s0, -1
	s_mov_b32 s38, 0
	s_mov_b32 s35, exec_lo
                                        ; implicit-def: $sgpr19
                                        ; implicit-def: $sgpr34
	v_cmpx_lt_i32_e32 3, v14
	s_cbranch_execz .LBB84_50
; %bb.45:                               ;   in Loop: Header=BB84_3 Depth=1
	s_mov_b32 s0, 0
	s_mov_b32 s39, -1
	s_mov_b32 s36, exec_lo
                                        ; implicit-def: $sgpr19
                                        ; implicit-def: $sgpr34
	v_cmpx_eq_u32_e32 4, v14
	s_cbranch_execz .LBB84_49
; %bb.46:                               ;   in Loop: Header=BB84_3 Depth=1
	v_cmp_le_f32_e32 vcc_lo, 0, v0
	v_cmp_ge_f32_e64 s0, 1.0, v0
	s_mov_b32 s19, 0
	s_delay_alu instid0(VALU_DEP_1)
	s_and_b32 s39, vcc_lo, s0
	s_mov_b32 s0, 0
	s_and_saveexec_b32 s34, s39
	s_cbranch_execz .LBB84_48
; %bb.47:                               ;   in Loop: Header=BB84_3 Depth=1
	v_cvt_f32_u32_e32 v18, v20
	v_lshlrev_b64 v[15:16], 2, v[15:16]
	s_mov_b32 s0, exec_lo
	s_delay_alu instid0(VALU_DEP_2) | instskip(NEXT) | instid1(VALU_DEP_2)
	v_fmaak_f32 v18, 0x2f800000, v18, 0x2f800000
	v_add_co_u32 v15, vcc_lo, s14, v15
	s_delay_alu instid0(VALU_DEP_3) | instskip(NEXT) | instid1(VALU_DEP_3)
	v_add_co_ci_u32_e32 v16, vcc_lo, s15, v16, vcc_lo
	v_cmp_le_f32_e32 vcc_lo, v18, v0
	v_cndmask_b32_e64 v0, 0, 1.0, vcc_lo
	global_store_b32 v[15:16], v0, off
.LBB84_48:                              ;   in Loop: Header=BB84_3 Depth=1
	s_or_b32 exec_lo, exec_lo, s34
	s_mov_b32 s34, -1
	s_xor_b32 s39, exec_lo, -1
	s_and_b32 s0, s0, exec_lo
.LBB84_49:                              ;   in Loop: Header=BB84_3 Depth=1
	s_or_b32 exec_lo, exec_lo, s36
	s_delay_alu instid0(SALU_CYCLE_1)
	s_and_b32 s39, s39, exec_lo
	s_or_not1_b32 s0, s0, exec_lo
.LBB84_50:                              ;   in Loop: Header=BB84_3 Depth=1
	s_or_b32 exec_lo, exec_lo, s35
	s_mov_b32 s36, s19
	s_and_saveexec_b32 s35, s0
	s_cbranch_execz .LBB84_54
; %bb.51:                               ;   in Loop: Header=BB84_3 Depth=1
	v_lshlrev_b64 v[11:12], 2, v[11:12]
	s_delay_alu instid0(VALU_DEP_1) | instskip(NEXT) | instid1(VALU_DEP_2)
	v_add_co_u32 v11, vcc_lo, s8, v11
	v_add_co_ci_u32_e32 v12, vcc_lo, s9, v12, vcc_lo
	global_load_b32 v0, v[11:12], off
	s_waitcnt vmcnt(0)
	v_cmp_le_f32_e32 vcc_lo, 0, v0
	v_cmp_ge_f32_e64 s0, 1.0, v0
	s_delay_alu instid0(VALU_DEP_1) | instskip(SKIP_2) | instid1(SALU_CYCLE_1)
	s_and_b32 s36, vcc_lo, s0
	s_mov_b32 s0, 0
	s_and_saveexec_b32 s38, s36
	s_xor_b32 s36, exec_lo, s38
	s_cbranch_execz .LBB84_53
; %bb.52:                               ;   in Loop: Header=BB84_3 Depth=1
	v_cvt_f32_u32_e32 v11, v17
	v_lshlrev_b64 v[9:10], 2, v[9:10]
	s_mov_b32 s0, exec_lo
	s_delay_alu instid0(VALU_DEP_2) | instskip(NEXT) | instid1(VALU_DEP_2)
	v_fmaak_f32 v11, 0x2f800000, v11, 0x2f800000
	v_add_co_u32 v9, vcc_lo, s14, v9
	s_delay_alu instid0(VALU_DEP_3) | instskip(NEXT) | instid1(VALU_DEP_3)
	v_add_co_ci_u32_e32 v10, vcc_lo, s15, v10, vcc_lo
	v_cmp_le_f32_e32 vcc_lo, v11, v0
	v_cndmask_b32_e64 v0, 0, 1.0, vcc_lo
	global_store_b32 v[9:10], v0, off
.LBB84_53:                              ;   in Loop: Header=BB84_3 Depth=1
	s_or_b32 exec_lo, exec_lo, s36
	s_delay_alu instid0(SALU_CYCLE_1)
	s_and_not1_b32 s36, s19, exec_lo
	s_or_b32 s19, s19, exec_lo
	s_and_not1_b32 s34, s34, exec_lo
	s_and_b32 s38, s0, exec_lo
.LBB84_54:                              ;   in Loop: Header=BB84_3 Depth=1
	s_or_b32 exec_lo, exec_lo, s35
	s_delay_alu instid0(SALU_CYCLE_1)
	s_and_b32 s36, s36, exec_lo
	s_and_b32 s35, s19, exec_lo
	;; [unrolled: 1-line block ×5, first 2 shown]
.LBB84_55:                              ;   in Loop: Header=BB84_3 Depth=1
	s_and_not1_saveexec_b32 s0, s37
; %bb.56:                               ;   in Loop: Header=BB84_3 Depth=1
	v_cmp_lt_i32_e32 vcc_lo, 1, v14
	s_and_not1_b32 s37, s39, exec_lo
	s_mov_b32 s18, exec_lo
	s_and_not1_b32 s36, s36, exec_lo
	s_and_not1_b32 s35, s35, exec_lo
	s_and_b32 s38, vcc_lo, exec_lo
	s_and_not1_b32 s34, s34, exec_lo
	s_or_b32 s39, s37, s38
; %bb.57:                               ;   in Loop: Header=BB84_3 Depth=1
	s_or_b32 exec_lo, exec_lo, s0
	s_mov_b32 s0, 0
	s_mov_b32 s37, s36
	s_and_saveexec_b32 s38, s39
	s_cbranch_execnz .LBB84_60
; %bb.58:                               ;   in Loop: Header=BB84_3 Depth=1
	s_or_b32 exec_lo, exec_lo, s38
	s_and_saveexec_b32 s38, s18
	s_cbranch_execnz .LBB84_63
.LBB84_59:                              ;   in Loop: Header=BB84_3 Depth=1
	s_or_b32 exec_lo, exec_lo, s38
	s_and_saveexec_b32 s18, s0
	s_cbranch_execnz .LBB84_64
	s_branch .LBB84_67
.LBB84_60:                              ;   in Loop: Header=BB84_3 Depth=1
	v_lshlrev_b64 v[9:10], 2, v[3:4]
	s_mov_b32 s39, 0
	s_delay_alu instid0(VALU_DEP_1) | instskip(NEXT) | instid1(VALU_DEP_2)
	v_add_co_u32 v9, vcc_lo, s8, v9
	v_add_co_ci_u32_e32 v10, vcc_lo, s9, v10, vcc_lo
	global_load_b32 v0, v[9:10], off
	s_waitcnt vmcnt(0)
	v_cmp_le_f32_e32 vcc_lo, 0, v0
	v_cmp_ge_f32_e64 s0, 1.0, v0
	s_delay_alu instid0(VALU_DEP_1) | instskip(NEXT) | instid1(SALU_CYCLE_1)
	s_and_b32 s0, vcc_lo, s0
	s_and_saveexec_b32 s37, s0
	s_delay_alu instid0(SALU_CYCLE_1)
	s_xor_b32 s0, exec_lo, s37
	s_cbranch_execz .LBB84_62
; %bb.61:                               ;   in Loop: Header=BB84_3 Depth=1
	v_mov_b32_e32 v9, v4
	v_cvt_f32_u32_e32 v3, v7
	s_mov_b32 s39, exec_lo
	s_delay_alu instid0(VALU_DEP_2) | instskip(NEXT) | instid1(VALU_DEP_2)
	v_lshlrev_b64 v[7:8], 2, v[8:9]
	v_fmaak_f32 v3, 0x2f800000, v3, 0x2f800000
	s_delay_alu instid0(VALU_DEP_2) | instskip(NEXT) | instid1(VALU_DEP_3)
	v_add_co_u32 v7, vcc_lo, s14, v7
	v_add_co_ci_u32_e32 v8, vcc_lo, s15, v8, vcc_lo
	s_delay_alu instid0(VALU_DEP_3)
	v_cmp_le_f32_e32 vcc_lo, v3, v0
	v_cndmask_b32_e64 v0, 0, 1.0, vcc_lo
	global_store_b32 v[7:8], v0, off
.LBB84_62:                              ;   in Loop: Header=BB84_3 Depth=1
	s_or_b32 exec_lo, exec_lo, s0
	s_delay_alu instid0(SALU_CYCLE_1)
	s_and_not1_b32 s37, s36, exec_lo
	s_or_b32 s36, s36, exec_lo
	s_and_not1_b32 s35, s35, exec_lo
	s_and_not1_b32 s34, s34, exec_lo
	s_and_b32 s0, s39, exec_lo
	s_and_not1_b32 s18, s18, exec_lo
	s_or_b32 exec_lo, exec_lo, s38
	s_and_saveexec_b32 s38, s18
	s_cbranch_execz .LBB84_59
.LBB84_63:                              ;   in Loop: Header=BB84_3 Depth=1
	v_cmp_eq_u32_e32 vcc_lo, 1, v14
	s_and_not1_b32 s0, s0, exec_lo
	s_and_not1_b32 s37, s37, exec_lo
	;; [unrolled: 1-line block ×4, first 2 shown]
	s_and_b32 s18, vcc_lo, exec_lo
	s_and_not1_b32 s34, s34, exec_lo
	s_or_b32 s19, s19, exec_lo
	s_or_b32 s0, s0, s18
	s_or_b32 exec_lo, exec_lo, s38
	s_and_saveexec_b32 s18, s0
	s_cbranch_execz .LBB84_67
.LBB84_64:                              ;   in Loop: Header=BB84_3 Depth=1
	v_mov_b32_e32 v7, v4
	s_mov_b32 s38, 0
	s_delay_alu instid0(VALU_DEP_1) | instskip(NEXT) | instid1(VALU_DEP_1)
	v_lshlrev_b64 v[6:7], 2, v[6:7]
	v_add_co_u32 v6, vcc_lo, s8, v6
	s_delay_alu instid0(VALU_DEP_2) | instskip(SKIP_4) | instid1(VALU_DEP_1)
	v_add_co_ci_u32_e32 v7, vcc_lo, s9, v7, vcc_lo
	global_load_b32 v0, v[6:7], off
	s_waitcnt vmcnt(0)
	v_cmp_le_f32_e32 vcc_lo, 0, v0
	v_cmp_ge_f32_e64 s0, 1.0, v0
	s_and_b32 s39, vcc_lo, s0
	s_delay_alu instid0(SALU_CYCLE_1)
	s_and_saveexec_b32 s0, s39
	s_cbranch_execz .LBB84_66
; %bb.65:                               ;   in Loop: Header=BB84_3 Depth=1
	v_cvt_f32_u32_e32 v3, v13
	v_mov_b32_e32 v6, v4
	s_mov_b32 s38, exec_lo
	s_delay_alu instid0(VALU_DEP_2) | instskip(NEXT) | instid1(VALU_DEP_2)
	v_fmaak_f32 v3, 0x2f800000, v3, 0x2f800000
	v_lshlrev_b64 v[5:6], 2, v[5:6]
	s_delay_alu instid0(VALU_DEP_1) | instskip(NEXT) | instid1(VALU_DEP_2)
	v_add_co_u32 v5, vcc_lo, s14, v5
	v_add_co_ci_u32_e32 v6, vcc_lo, s15, v6, vcc_lo
	s_delay_alu instid0(VALU_DEP_4)
	v_cmp_le_f32_e32 vcc_lo, v3, v0
	v_cndmask_b32_e64 v0, 0, 1.0, vcc_lo
	global_store_b32 v[5:6], v0, off
.LBB84_66:                              ;   in Loop: Header=BB84_3 Depth=1
	s_or_b32 exec_lo, exec_lo, s0
	s_delay_alu instid0(SALU_CYCLE_1)
	s_and_not1_b32 s0, s19, exec_lo
	s_and_b32 s19, s38, exec_lo
	s_or_b32 s37, s37, exec_lo
	s_and_not1_b32 s36, s36, exec_lo
	s_and_not1_b32 s35, s35, exec_lo
	;; [unrolled: 1-line block ×3, first 2 shown]
	s_or_b32 s19, s0, s19
.LBB84_67:                              ;   in Loop: Header=BB84_3 Depth=1
	s_or_b32 exec_lo, exec_lo, s18
	s_delay_alu instid0(SALU_CYCLE_1)
	s_and_not1_b32 s18, s33, exec_lo
	s_and_b32 s33, s37, exec_lo
	s_and_not1_b32 s30, s30, exec_lo
	s_and_b32 s36, s36, exec_lo
	s_or_b32 s33, s18, s33
	s_and_not1_b32 s18, s31, exec_lo
	s_and_b32 s31, s35, exec_lo
	s_and_not1_b32 s29, s29, exec_lo
	s_and_b32 s34, s34, exec_lo
	s_mov_b32 s0, -1
	s_or_b32 s30, s30, s36
	s_or_b32 s31, s18, s31
	;; [unrolled: 1-line block ×3, first 2 shown]
	s_and_saveexec_b32 s18, s19
	s_cbranch_execz .LBB84_2
; %bb.68:                               ;   in Loop: Header=BB84_3 Depth=1
	v_add_nc_u32_e32 v32, s25, v32
	s_and_not1_b32 s33, s33, exec_lo
	s_and_not1_b32 s30, s30, exec_lo
	;; [unrolled: 1-line block ×4, first 2 shown]
	v_cmp_le_u32_e32 vcc_lo, s20, v32
	s_or_not1_b32 s0, vcc_lo, exec_lo
	s_branch .LBB84_2
.LBB84_69:
	s_or_b32 exec_lo, exec_lo, s13
	s_xor_b32 s4, s27, -1
	s_xor_b32 s5, s28, -1
	;; [unrolled: 1-line block ×3, first 2 shown]
	s_mov_b32 s2, 0
	s_and_saveexec_b32 s3, s0
	s_delay_alu instid0(SALU_CYCLE_1)
	s_xor_b32 s0, exec_lo, s3
	s_cbranch_execz .LBB84_78
; %bb.70:
	s_mov_b32 s3, 0
	s_and_saveexec_b32 s2, s5
	s_delay_alu instid0(SALU_CYCLE_1)
	s_xor_b32 s2, exec_lo, s2
	s_cbranch_execz .LBB84_76
; %bb.71:
	s_and_saveexec_b32 s5, s4
	s_delay_alu instid0(SALU_CYCLE_1)
	s_xor_b32 s4, exec_lo, s5
	s_cbranch_execz .LBB84_74
; %bb.72:
	s_and_saveexec_b32 s5, s1
	s_delay_alu instid0(SALU_CYCLE_1)
	s_xor_b32 s1, exec_lo, s5
	s_cbranch_execnz .LBB84_92
.LBB84_73:
	s_or_b32 exec_lo, exec_lo, s1
	s_delay_alu instid0(SALU_CYCLE_1)
	s_and_b32 s3, s3, exec_lo
.LBB84_74:
	s_and_not1_saveexec_b32 s1, s4
	s_cbranch_execnz .LBB84_88
.LBB84_75:
	s_or_b32 exec_lo, exec_lo, s1
	s_delay_alu instid0(SALU_CYCLE_1)
	s_and_b32 s3, s3, exec_lo
.LBB84_76:
	s_and_not1_saveexec_b32 s1, s2
	s_cbranch_execnz .LBB84_84
.LBB84_77:
	s_or_b32 exec_lo, exec_lo, s1
	s_delay_alu instid0(SALU_CYCLE_1)
	s_and_b32 s2, s3, exec_lo
.LBB84_78:
	s_and_not1_saveexec_b32 s0, s0
	s_cbranch_execnz .LBB84_82
; %bb.79:
	s_or_b32 exec_lo, exec_lo, s0
	s_delay_alu instid0(SALU_CYCLE_1)
	s_and_b32 exec_lo, exec_lo, s2
.LBB84_80:
	; divergent unreachable
.LBB84_81:
	s_nop 0
	s_sendmsg sendmsg(MSG_DEALLOC_VGPRS)
	s_endpgm
.LBB84_82:
	s_cbranch_execnz .LBB84_86
; %bb.83:
	s_or_b32 s2, s2, exec_lo
	s_or_b32 exec_lo, exec_lo, s0
	s_delay_alu instid0(SALU_CYCLE_1)
	s_and_b32 exec_lo, exec_lo, s2
	s_cbranch_execnz .LBB84_80
	s_branch .LBB84_81
.LBB84_84:
	s_cbranch_execnz .LBB84_90
; %bb.85:
	s_or_b32 s3, s3, exec_lo
	s_branch .LBB84_77
.LBB84_86:
	s_trap 2
	s_sendmsg_rtn_b32 s0, sendmsg(MSG_RTN_GET_DOORBELL)
	s_mov_b32 ttmp2, m0
	s_waitcnt lgkmcnt(0)
	s_and_b32 s0, s0, 0x3ff
	s_delay_alu instid0(SALU_CYCLE_1) | instskip(NEXT) | instid1(SALU_CYCLE_1)
	s_bitset1_b32 s0, 10
	s_mov_b32 m0, s0
	s_sendmsg sendmsg(MSG_INTERRUPT)
	s_mov_b32 m0, ttmp2
.LBB84_87:                              ; =>This Inner Loop Header: Depth=1
	s_sethalt 5
	s_branch .LBB84_87
.LBB84_88:
	s_cbranch_execnz .LBB84_94
; %bb.89:
	s_or_b32 s3, s3, exec_lo
	s_branch .LBB84_75
.LBB84_90:
	s_trap 2
	s_sendmsg_rtn_b32 s0, sendmsg(MSG_RTN_GET_DOORBELL)
	s_mov_b32 ttmp2, m0
	s_waitcnt lgkmcnt(0)
	s_and_b32 s0, s0, 0x3ff
	s_delay_alu instid0(SALU_CYCLE_1) | instskip(NEXT) | instid1(SALU_CYCLE_1)
	s_bitset1_b32 s0, 10
	s_mov_b32 m0, s0
	s_sendmsg sendmsg(MSG_INTERRUPT)
	s_mov_b32 m0, ttmp2
.LBB84_91:                              ; =>This Inner Loop Header: Depth=1
	s_sethalt 5
	s_branch .LBB84_91
.LBB84_92:
	s_cbranch_execnz .LBB84_96
; %bb.93:
	s_mov_b32 s3, exec_lo
	s_branch .LBB84_73
.LBB84_94:
	s_trap 2
	s_sendmsg_rtn_b32 s0, sendmsg(MSG_RTN_GET_DOORBELL)
	s_mov_b32 ttmp2, m0
	s_waitcnt lgkmcnt(0)
	s_and_b32 s0, s0, 0x3ff
	s_delay_alu instid0(SALU_CYCLE_1) | instskip(NEXT) | instid1(SALU_CYCLE_1)
	s_bitset1_b32 s0, 10
	s_mov_b32 m0, s0
	s_sendmsg sendmsg(MSG_INTERRUPT)
	s_mov_b32 m0, ttmp2
.LBB84_95:                              ; =>This Inner Loop Header: Depth=1
	s_sethalt 5
	s_branch .LBB84_95
.LBB84_96:
	s_trap 2
	s_sendmsg_rtn_b32 s0, sendmsg(MSG_RTN_GET_DOORBELL)
	s_mov_b32 ttmp2, m0
	s_waitcnt lgkmcnt(0)
	s_and_b32 s0, s0, 0x3ff
	s_delay_alu instid0(SALU_CYCLE_1) | instskip(NEXT) | instid1(SALU_CYCLE_1)
	s_bitset1_b32 s0, 10
	s_mov_b32 m0, s0
	s_sendmsg sendmsg(MSG_INTERRUPT)
	s_mov_b32 m0, ttmp2
.LBB84_97:                              ; =>This Inner Loop Header: Depth=1
	s_sethalt 5
	s_branch .LBB84_97
	.section	.rodata,"a",@progbits
	.p2align	6, 0x0
	.amdhsa_kernel _ZN2at4cuda12_GLOBAL__N_121kernelPointwiseApply2IZNS_6native9templates4cuda28bernoulli_tensor_cuda_kernelIffEEvRKNS_10TensorBaseES9_NS_15PhiloxCudaStateEEUliRfSB_SB_SB_RKfSD_SD_SD_E_fSC_jLin1ELi2ELi4ELi512ELi2EEEvNS0_6detail10TensorInfoIT0_T2_EENSG_IT1_SI_EESI_T_
		.amdhsa_group_segment_fixed_size 0
		.amdhsa_private_segment_fixed_size 0
		.amdhsa_kernarg_size 728
		.amdhsa_user_sgpr_count 15
		.amdhsa_user_sgpr_dispatch_ptr 0
		.amdhsa_user_sgpr_queue_ptr 0
		.amdhsa_user_sgpr_kernarg_segment_ptr 1
		.amdhsa_user_sgpr_dispatch_id 0
		.amdhsa_user_sgpr_private_segment_size 0
		.amdhsa_wavefront_size32 1
		.amdhsa_uses_dynamic_stack 0
		.amdhsa_enable_private_segment 0
		.amdhsa_system_sgpr_workgroup_id_x 1
		.amdhsa_system_sgpr_workgroup_id_y 0
		.amdhsa_system_sgpr_workgroup_id_z 0
		.amdhsa_system_sgpr_workgroup_info 0
		.amdhsa_system_vgpr_workitem_id 0
		.amdhsa_next_free_vgpr 43
		.amdhsa_next_free_sgpr 40
		.amdhsa_reserve_vcc 1
		.amdhsa_float_round_mode_32 0
		.amdhsa_float_round_mode_16_64 0
		.amdhsa_float_denorm_mode_32 3
		.amdhsa_float_denorm_mode_16_64 3
		.amdhsa_dx10_clamp 1
		.amdhsa_ieee_mode 1
		.amdhsa_fp16_overflow 0
		.amdhsa_workgroup_processor_mode 1
		.amdhsa_memory_ordered 1
		.amdhsa_forward_progress 0
		.amdhsa_shared_vgpr_count 0
		.amdhsa_exception_fp_ieee_invalid_op 0
		.amdhsa_exception_fp_denorm_src 0
		.amdhsa_exception_fp_ieee_div_zero 0
		.amdhsa_exception_fp_ieee_overflow 0
		.amdhsa_exception_fp_ieee_underflow 0
		.amdhsa_exception_fp_ieee_inexact 0
		.amdhsa_exception_int_div_zero 0
	.end_amdhsa_kernel
	.section	.text._ZN2at4cuda12_GLOBAL__N_121kernelPointwiseApply2IZNS_6native9templates4cuda28bernoulli_tensor_cuda_kernelIffEEvRKNS_10TensorBaseES9_NS_15PhiloxCudaStateEEUliRfSB_SB_SB_RKfSD_SD_SD_E_fSC_jLin1ELi2ELi4ELi512ELi2EEEvNS0_6detail10TensorInfoIT0_T2_EENSG_IT1_SI_EESI_T_,"axG",@progbits,_ZN2at4cuda12_GLOBAL__N_121kernelPointwiseApply2IZNS_6native9templates4cuda28bernoulli_tensor_cuda_kernelIffEEvRKNS_10TensorBaseES9_NS_15PhiloxCudaStateEEUliRfSB_SB_SB_RKfSD_SD_SD_E_fSC_jLin1ELi2ELi4ELi512ELi2EEEvNS0_6detail10TensorInfoIT0_T2_EENSG_IT1_SI_EESI_T_,comdat
.Lfunc_end84:
	.size	_ZN2at4cuda12_GLOBAL__N_121kernelPointwiseApply2IZNS_6native9templates4cuda28bernoulli_tensor_cuda_kernelIffEEvRKNS_10TensorBaseES9_NS_15PhiloxCudaStateEEUliRfSB_SB_SB_RKfSD_SD_SD_E_fSC_jLin1ELi2ELi4ELi512ELi2EEEvNS0_6detail10TensorInfoIT0_T2_EENSG_IT1_SI_EESI_T_, .Lfunc_end84-_ZN2at4cuda12_GLOBAL__N_121kernelPointwiseApply2IZNS_6native9templates4cuda28bernoulli_tensor_cuda_kernelIffEEvRKNS_10TensorBaseES9_NS_15PhiloxCudaStateEEUliRfSB_SB_SB_RKfSD_SD_SD_E_fSC_jLin1ELi2ELi4ELi512ELi2EEEvNS0_6detail10TensorInfoIT0_T2_EENSG_IT1_SI_EESI_T_
                                        ; -- End function
	.section	.AMDGPU.csdata,"",@progbits
; Kernel info:
; codeLenInByte = 4844
; NumSgprs: 42
; NumVgprs: 43
; ScratchSize: 0
; MemoryBound: 0
; FloatMode: 240
; IeeeMode: 1
; LDSByteSize: 0 bytes/workgroup (compile time only)
; SGPRBlocks: 5
; VGPRBlocks: 5
; NumSGPRsForWavesPerEU: 42
; NumVGPRsForWavesPerEU: 43
; Occupancy: 16
; WaveLimiterHint : 1
; COMPUTE_PGM_RSRC2:SCRATCH_EN: 0
; COMPUTE_PGM_RSRC2:USER_SGPR: 15
; COMPUTE_PGM_RSRC2:TRAP_HANDLER: 0
; COMPUTE_PGM_RSRC2:TGID_X_EN: 1
; COMPUTE_PGM_RSRC2:TGID_Y_EN: 0
; COMPUTE_PGM_RSRC2:TGID_Z_EN: 0
; COMPUTE_PGM_RSRC2:TIDIG_COMP_CNT: 0
	.section	.text._ZN2at4cuda12_GLOBAL__N_121kernelPointwiseApply2IZNS_6native9templates4cuda28bernoulli_tensor_cuda_kernelIffEEvRKNS_10TensorBaseES9_NS_15PhiloxCudaStateEEUliRfSB_SB_SB_RKfSD_SD_SD_E_fSC_jLin1ELin1ELi4ELi512ELi2EEEvNS0_6detail10TensorInfoIT0_T2_EENSG_IT1_SI_EESI_T_,"axG",@progbits,_ZN2at4cuda12_GLOBAL__N_121kernelPointwiseApply2IZNS_6native9templates4cuda28bernoulli_tensor_cuda_kernelIffEEvRKNS_10TensorBaseES9_NS_15PhiloxCudaStateEEUliRfSB_SB_SB_RKfSD_SD_SD_E_fSC_jLin1ELin1ELi4ELi512ELi2EEEvNS0_6detail10TensorInfoIT0_T2_EENSG_IT1_SI_EESI_T_,comdat
	.globl	_ZN2at4cuda12_GLOBAL__N_121kernelPointwiseApply2IZNS_6native9templates4cuda28bernoulli_tensor_cuda_kernelIffEEvRKNS_10TensorBaseES9_NS_15PhiloxCudaStateEEUliRfSB_SB_SB_RKfSD_SD_SD_E_fSC_jLin1ELin1ELi4ELi512ELi2EEEvNS0_6detail10TensorInfoIT0_T2_EENSG_IT1_SI_EESI_T_ ; -- Begin function _ZN2at4cuda12_GLOBAL__N_121kernelPointwiseApply2IZNS_6native9templates4cuda28bernoulli_tensor_cuda_kernelIffEEvRKNS_10TensorBaseES9_NS_15PhiloxCudaStateEEUliRfSB_SB_SB_RKfSD_SD_SD_E_fSC_jLin1ELin1ELi4ELi512ELi2EEEvNS0_6detail10TensorInfoIT0_T2_EENSG_IT1_SI_EESI_T_
	.p2align	8
	.type	_ZN2at4cuda12_GLOBAL__N_121kernelPointwiseApply2IZNS_6native9templates4cuda28bernoulli_tensor_cuda_kernelIffEEvRKNS_10TensorBaseES9_NS_15PhiloxCudaStateEEUliRfSB_SB_SB_RKfSD_SD_SD_E_fSC_jLin1ELin1ELi4ELi512ELi2EEEvNS0_6detail10TensorInfoIT0_T2_EENSG_IT1_SI_EESI_T_,@function
_ZN2at4cuda12_GLOBAL__N_121kernelPointwiseApply2IZNS_6native9templates4cuda28bernoulli_tensor_cuda_kernelIffEEvRKNS_10TensorBaseES9_NS_15PhiloxCudaStateEEUliRfSB_SB_SB_RKfSD_SD_SD_E_fSC_jLin1ELin1ELi4ELi512ELi2EEEvNS0_6detail10TensorInfoIT0_T2_EENSG_IT1_SI_EESI_T_: ; @_ZN2at4cuda12_GLOBAL__N_121kernelPointwiseApply2IZNS_6native9templates4cuda28bernoulli_tensor_cuda_kernelIffEEvRKNS_10TensorBaseES9_NS_15PhiloxCudaStateEEUliRfSB_SB_SB_RKfSD_SD_SD_E_fSC_jLin1ELin1ELi4ELi512ELi2EEEvNS0_6detail10TensorInfoIT0_T2_EENSG_IT1_SI_EESI_T_
; %bb.0:
	s_clause 0x1
	s_load_b32 s4, s[0:1], 0x1e4
	s_load_b32 s20, s[0:1], 0x1b0
	s_add_u32 s2, s0, 0x1d8
	s_addc_u32 s3, s1, 0
	s_waitcnt lgkmcnt(0)
	s_and_b32 s12, s4, 0xffff
	s_mov_b32 s4, exec_lo
	v_mad_u64_u32 v[1:2], null, s15, s12, v[0:1]
	s_delay_alu instid0(VALU_DEP_1) | instskip(NEXT) | instid1(VALU_DEP_1)
	v_lshlrev_b32_e32 v30, 2, v1
	v_cmpx_gt_u32_e64 s20, v30
	s_cbranch_execz .LBB85_93
; %bb.1:
	s_clause 0x2
	s_load_b32 s16, s[0:1], 0xd0
	s_load_b32 s17, s[0:1], 0x1a8
	;; [unrolled: 1-line block ×4, first 2 shown]
	s_clause 0x1
	s_load_b64 s[2:3], s[0:1], 0x1c8
	s_load_b128 s[4:7], s[0:1], 0x1b8
	s_add_u32 s18, s0, 0xd8
	s_addc_u32 s19, s1, 0
	s_clause 0x3
	s_load_b32 s21, s[0:1], 0x144
	s_load_b64 s[8:9], s[0:1], 0xd8
	s_load_b32 s22, s[0:1], 0x6c
	s_load_b64 s[10:11], s[0:1], 0x0
	s_mov_b32 s13, 0
	v_mad_u64_u32 v[2:3], null, 0xcd9e8d57, v1, 0
	v_mov_b32_e32 v4, 0
                                        ; implicit-def: $sgpr29
                                        ; implicit-def: $sgpr31
                                        ; implicit-def: $sgpr30
                                        ; implicit-def: $sgpr33
                                        ; implicit-def: $sgpr35
                                        ; implicit-def: $sgpr34
                                        ; implicit-def: $sgpr36
	s_delay_alu instid0(VALU_DEP_2)
	v_mov_b32_e32 v31, v3
	s_waitcnt lgkmcnt(0)
	s_cmp_gt_i32 s16, 1
	s_cselect_b32 s23, -1, 0
	s_cmp_gt_i32 s17, 1
	s_mul_i32 s15, s15, s12
	s_cselect_b32 s24, -1, 0
	s_bitcmp1_b32 s14, 0
	s_cselect_b32 s25, -1, 0
	s_add_i32 s12, s16, -1
	s_lshl_b32 s26, s15, 2
	s_lshl_b64 s[14:15], s[12:13], 2
	s_add_i32 s27, s16, 1
	s_add_u32 s0, s14, s0
	s_addc_u32 s1, s15, s1
	s_add_u32 s14, s0, 8
	s_addc_u32 s15, s1, 0
	s_add_i32 s12, s17, -1
	s_add_i32 s28, s17, 1
	s_lshl_b64 s[0:1], s[12:13], 2
                                        ; implicit-def: $sgpr12
	s_delay_alu instid0(SALU_CYCLE_1)
	s_add_u32 s0, s0, s18
	s_addc_u32 s1, s1, s19
	s_add_u32 s16, s0, 8
	s_addc_u32 s17, s1, 0
	s_branch .LBB85_3
.LBB85_2:                               ;   in Loop: Header=BB85_3 Depth=1
	s_or_b32 exec_lo, exec_lo, s1
	s_delay_alu instid0(SALU_CYCLE_1) | instskip(NEXT) | instid1(SALU_CYCLE_1)
	s_and_b32 s0, exec_lo, s0
	s_or_b32 s13, s0, s13
	s_and_not1_b32 s0, s12, exec_lo
	s_and_b32 s1, s36, exec_lo
	s_and_not1_b32 s18, s30, exec_lo
	s_and_b32 s19, s34, exec_lo
	s_or_b32 s12, s0, s1
	s_or_b32 s30, s18, s19
	s_and_not1_b32 s0, s31, exec_lo
	s_and_b32 s1, s35, exec_lo
	s_and_not1_b32 s18, s29, exec_lo
	s_and_b32 s19, s33, exec_lo
	s_or_b32 s31, s0, s1
	s_or_b32 s29, s18, s19
	s_and_not1_b32 exec_lo, exec_lo, s13
	s_cbranch_execz .LBB85_81
.LBB85_3:                               ; =>This Loop Header: Depth=1
                                        ;     Child Loop BB85_6 Depth 2
                                        ;     Child Loop BB85_11 Depth 2
	;; [unrolled: 1-line block ×8, first 2 shown]
	v_sub_nc_u32_e32 v32, s20, v30
	v_mov_b32_e32 v5, 0
	s_delay_alu instid0(VALU_DEP_2) | instskip(NEXT) | instid1(VALU_DEP_1)
	v_cmp_lt_i32_e64 s0, 0, v32
	s_and_saveexec_b32 s1, s0
	s_cbranch_execz .LBB85_8
; %bb.4:                                ;   in Loop: Header=BB85_3 Depth=1
	v_dual_mov_b32 v0, 0 :: v_dual_mov_b32 v3, v30
	s_and_not1_b32 vcc_lo, exec_lo, s23
	s_cbranch_vccnz .LBB85_7
; %bb.5:                                ;   in Loop: Header=BB85_3 Depth=1
	v_dual_mov_b32 v0, 0 :: v_dual_mov_b32 v3, v30
	s_mov_b64 s[18:19], s[14:15]
	s_mov_b32 s37, s27
	s_set_inst_prefetch_distance 0x1
	.p2align	6
.LBB85_6:                               ;   Parent Loop BB85_3 Depth=1
                                        ; =>  This Inner Loop Header: Depth=2
	s_clause 0x1
	s_load_b32 s38, s[18:19], 0x0
	s_load_b32 s39, s[18:19], 0x64
	v_mov_b32_e32 v7, v3
	s_add_i32 s37, s37, -1
	s_waitcnt lgkmcnt(0)
	v_cvt_f32_u32_e32 v5, s38
	s_sub_i32 s40, 0, s38
	s_add_u32 s18, s18, -4
	s_addc_u32 s19, s19, -1
	s_cmp_gt_u32 s37, 2
	v_rcp_iflag_f32_e32 v5, v5
	s_waitcnt_depctr 0xfff
	v_mul_f32_e32 v5, 0x4f7ffffe, v5
	s_delay_alu instid0(VALU_DEP_1) | instskip(NEXT) | instid1(VALU_DEP_1)
	v_cvt_u32_f32_e32 v5, v5
	v_mul_lo_u32 v6, s40, v5
	s_delay_alu instid0(VALU_DEP_1) | instskip(NEXT) | instid1(VALU_DEP_1)
	v_mul_hi_u32 v6, v5, v6
	v_add_nc_u32_e32 v3, v5, v6
	s_delay_alu instid0(VALU_DEP_1) | instskip(NEXT) | instid1(VALU_DEP_1)
	v_mul_hi_u32 v3, v7, v3
	v_add_nc_u32_e32 v6, 1, v3
	v_mul_lo_u32 v5, v3, s38
	s_delay_alu instid0(VALU_DEP_1) | instskip(NEXT) | instid1(VALU_DEP_1)
	v_sub_nc_u32_e32 v5, v7, v5
	v_subrev_nc_u32_e32 v8, s38, v5
	v_cmp_le_u32_e32 vcc_lo, s38, v5
	v_cndmask_b32_e32 v3, v3, v6, vcc_lo
	s_delay_alu instid0(VALU_DEP_1) | instskip(NEXT) | instid1(VALU_DEP_1)
	v_dual_cndmask_b32 v5, v5, v8 :: v_dual_add_nc_u32 v6, 1, v3
	v_cmp_le_u32_e32 vcc_lo, s38, v5
	s_delay_alu instid0(VALU_DEP_2) | instskip(NEXT) | instid1(VALU_DEP_1)
	v_cndmask_b32_e32 v3, v3, v6, vcc_lo
	v_mul_lo_u32 v5, v3, s38
	s_delay_alu instid0(VALU_DEP_1) | instskip(NEXT) | instid1(VALU_DEP_1)
	v_sub_nc_u32_e32 v7, v7, v5
	v_mad_u64_u32 v[5:6], null, s39, v7, v[0:1]
	s_delay_alu instid0(VALU_DEP_1)
	v_mov_b32_e32 v0, v5
	s_cbranch_scc1 .LBB85_6
.LBB85_7:                               ;   in Loop: Header=BB85_3 Depth=1
	s_set_inst_prefetch_distance 0x2
	s_delay_alu instid0(VALU_DEP_1)
	v_mad_u64_u32 v[5:6], null, s22, v3, v[0:1]
.LBB85_8:                               ;   in Loop: Header=BB85_3 Depth=1
	s_or_b32 exec_lo, exec_lo, s1
	v_mov_b32_e32 v6, 0
	s_and_saveexec_b32 s18, s0
	s_cbranch_execz .LBB85_13
; %bb.9:                                ;   in Loop: Header=BB85_3 Depth=1
	v_dual_mov_b32 v0, 0 :: v_dual_mov_b32 v3, v30
	s_and_not1_b32 vcc_lo, exec_lo, s24
	s_cbranch_vccnz .LBB85_12
; %bb.10:                               ;   in Loop: Header=BB85_3 Depth=1
	v_dual_mov_b32 v0, 0 :: v_dual_mov_b32 v3, v30
	s_mov_b64 s[0:1], s[16:17]
	s_mov_b32 s19, s28
	s_set_inst_prefetch_distance 0x1
	.p2align	6
.LBB85_11:                              ;   Parent Loop BB85_3 Depth=1
                                        ; =>  This Inner Loop Header: Depth=2
	s_clause 0x1
	s_load_b32 s37, s[0:1], 0x0
	s_load_b32 s38, s[0:1], 0x64
	s_add_i32 s19, s19, -1
	s_waitcnt lgkmcnt(0)
	v_cvt_f32_u32_e32 v6, s37
	s_sub_i32 s39, 0, s37
	s_add_u32 s0, s0, -4
	s_addc_u32 s1, s1, -1
	s_cmp_gt_u32 s19, 2
	v_rcp_iflag_f32_e32 v6, v6
	s_waitcnt_depctr 0xfff
	v_mul_f32_e32 v6, 0x4f7ffffe, v6
	s_delay_alu instid0(VALU_DEP_1) | instskip(NEXT) | instid1(VALU_DEP_1)
	v_cvt_u32_f32_e32 v6, v6
	v_mul_lo_u32 v7, s39, v6
	s_delay_alu instid0(VALU_DEP_1) | instskip(NEXT) | instid1(VALU_DEP_1)
	v_mul_hi_u32 v7, v6, v7
	v_dual_mov_b32 v8, v3 :: v_dual_add_nc_u32 v3, v6, v7
	s_delay_alu instid0(VALU_DEP_1) | instskip(NEXT) | instid1(VALU_DEP_1)
	v_mul_hi_u32 v3, v8, v3
	v_mul_lo_u32 v6, v3, s37
	v_add_nc_u32_e32 v7, 1, v3
	s_delay_alu instid0(VALU_DEP_2) | instskip(NEXT) | instid1(VALU_DEP_1)
	v_sub_nc_u32_e32 v6, v8, v6
	v_subrev_nc_u32_e32 v9, s37, v6
	v_cmp_le_u32_e32 vcc_lo, s37, v6
	s_delay_alu instid0(VALU_DEP_2) | instskip(NEXT) | instid1(VALU_DEP_1)
	v_dual_cndmask_b32 v3, v3, v7 :: v_dual_cndmask_b32 v6, v6, v9
	v_add_nc_u32_e32 v7, 1, v3
	s_delay_alu instid0(VALU_DEP_2) | instskip(NEXT) | instid1(VALU_DEP_2)
	v_cmp_le_u32_e32 vcc_lo, s37, v6
	v_cndmask_b32_e32 v3, v3, v7, vcc_lo
	s_delay_alu instid0(VALU_DEP_1) | instskip(NEXT) | instid1(VALU_DEP_1)
	v_mul_lo_u32 v6, v3, s37
	v_sub_nc_u32_e32 v8, v8, v6
	s_delay_alu instid0(VALU_DEP_1) | instskip(NEXT) | instid1(VALU_DEP_1)
	v_mad_u64_u32 v[6:7], null, s38, v8, v[0:1]
	v_mov_b32_e32 v0, v6
	s_cbranch_scc1 .LBB85_11
.LBB85_12:                              ;   in Loop: Header=BB85_3 Depth=1
	s_set_inst_prefetch_distance 0x2
	s_delay_alu instid0(VALU_DEP_1)
	v_mad_u64_u32 v[6:7], null, s21, v3, v[0:1]
.LBB85_13:                              ;   in Loop: Header=BB85_3 Depth=1
	s_or_b32 exec_lo, exec_lo, s18
	v_or_b32_e32 v9, 1, v30
	v_cmp_lt_i32_e64 s0, 1, v32
	v_mov_b32_e32 v7, 0
	s_delay_alu instid0(VALU_DEP_2)
	s_and_saveexec_b32 s1, s0
	s_cbranch_execz .LBB85_18
; %bb.14:                               ;   in Loop: Header=BB85_3 Depth=1
	v_dual_mov_b32 v0, 0 :: v_dual_mov_b32 v3, v9
	s_and_not1_b32 vcc_lo, exec_lo, s23
	s_cbranch_vccnz .LBB85_17
; %bb.15:                               ;   in Loop: Header=BB85_3 Depth=1
	v_dual_mov_b32 v0, 0 :: v_dual_mov_b32 v3, v9
	s_mov_b64 s[18:19], s[14:15]
	s_mov_b32 s37, s27
	s_set_inst_prefetch_distance 0x1
	.p2align	6
.LBB85_16:                              ;   Parent Loop BB85_3 Depth=1
                                        ; =>  This Inner Loop Header: Depth=2
	s_clause 0x1
	s_load_b32 s38, s[18:19], 0x0
	s_load_b32 s39, s[18:19], 0x64
	s_add_i32 s37, s37, -1
	v_mov_b32_e32 v10, v3
	s_waitcnt lgkmcnt(0)
	v_cvt_f32_u32_e32 v7, s38
	s_sub_i32 s40, 0, s38
	s_add_u32 s18, s18, -4
	s_addc_u32 s19, s19, -1
	s_cmp_gt_u32 s37, 2
	v_rcp_iflag_f32_e32 v7, v7
	s_waitcnt_depctr 0xfff
	v_mul_f32_e32 v7, 0x4f7ffffe, v7
	s_delay_alu instid0(VALU_DEP_1) | instskip(NEXT) | instid1(VALU_DEP_1)
	v_cvt_u32_f32_e32 v7, v7
	v_mul_lo_u32 v8, s40, v7
	s_delay_alu instid0(VALU_DEP_1) | instskip(NEXT) | instid1(VALU_DEP_1)
	v_mul_hi_u32 v8, v7, v8
	v_add_nc_u32_e32 v3, v7, v8
	s_delay_alu instid0(VALU_DEP_1) | instskip(NEXT) | instid1(VALU_DEP_1)
	v_mul_hi_u32 v3, v10, v3
	v_mul_lo_u32 v7, v3, s38
	v_add_nc_u32_e32 v8, 1, v3
	s_delay_alu instid0(VALU_DEP_2) | instskip(NEXT) | instid1(VALU_DEP_1)
	v_sub_nc_u32_e32 v7, v10, v7
	v_subrev_nc_u32_e32 v11, s38, v7
	v_cmp_le_u32_e32 vcc_lo, s38, v7
	s_delay_alu instid0(VALU_DEP_4) | instskip(NEXT) | instid1(VALU_DEP_3)
	v_cndmask_b32_e32 v3, v3, v8, vcc_lo
	v_cndmask_b32_e32 v7, v7, v11, vcc_lo
	s_delay_alu instid0(VALU_DEP_2) | instskip(NEXT) | instid1(VALU_DEP_2)
	v_add_nc_u32_e32 v8, 1, v3
	v_cmp_le_u32_e32 vcc_lo, s38, v7
	s_delay_alu instid0(VALU_DEP_2) | instskip(NEXT) | instid1(VALU_DEP_1)
	v_cndmask_b32_e32 v3, v3, v8, vcc_lo
	v_mul_lo_u32 v7, v3, s38
	s_delay_alu instid0(VALU_DEP_1) | instskip(NEXT) | instid1(VALU_DEP_1)
	v_sub_nc_u32_e32 v10, v10, v7
	v_mad_u64_u32 v[7:8], null, s39, v10, v[0:1]
	s_delay_alu instid0(VALU_DEP_1)
	v_mov_b32_e32 v0, v7
	s_cbranch_scc1 .LBB85_16
.LBB85_17:                              ;   in Loop: Header=BB85_3 Depth=1
	s_set_inst_prefetch_distance 0x2
	s_delay_alu instid0(VALU_DEP_1)
	v_mad_u64_u32 v[7:8], null, s22, v3, v[0:1]
.LBB85_18:                              ;   in Loop: Header=BB85_3 Depth=1
	s_or_b32 exec_lo, exec_lo, s1
	v_mov_b32_e32 v3, 0
	s_and_saveexec_b32 s18, s0
	s_cbranch_execz .LBB85_23
; %bb.19:                               ;   in Loop: Header=BB85_3 Depth=1
	v_mov_b32_e32 v0, 0
	s_and_not1_b32 vcc_lo, exec_lo, s24
	s_cbranch_vccnz .LBB85_22
; %bb.20:                               ;   in Loop: Header=BB85_3 Depth=1
	v_mov_b32_e32 v0, 0
	s_mov_b64 s[0:1], s[16:17]
	s_mov_b32 s19, s28
	s_set_inst_prefetch_distance 0x1
	.p2align	6
.LBB85_21:                              ;   Parent Loop BB85_3 Depth=1
                                        ; =>  This Inner Loop Header: Depth=2
	s_clause 0x1
	s_load_b32 s37, s[0:1], 0x0
	s_load_b32 s38, s[0:1], 0x64
	s_add_i32 s19, s19, -1
	v_mov_b32_e32 v10, v9
	s_waitcnt lgkmcnt(0)
	v_cvt_f32_u32_e32 v3, s37
	s_sub_i32 s39, 0, s37
	s_add_u32 s0, s0, -4
	s_addc_u32 s1, s1, -1
	s_cmp_gt_u32 s19, 2
	v_rcp_iflag_f32_e32 v3, v3
	s_waitcnt_depctr 0xfff
	v_mul_f32_e32 v3, 0x4f7ffffe, v3
	s_delay_alu instid0(VALU_DEP_1) | instskip(NEXT) | instid1(VALU_DEP_1)
	v_cvt_u32_f32_e32 v3, v3
	v_mul_lo_u32 v8, s39, v3
	s_delay_alu instid0(VALU_DEP_1) | instskip(NEXT) | instid1(VALU_DEP_1)
	v_mul_hi_u32 v8, v3, v8
	v_add_nc_u32_e32 v3, v3, v8
	s_delay_alu instid0(VALU_DEP_1) | instskip(NEXT) | instid1(VALU_DEP_1)
	v_mul_hi_u32 v3, v10, v3
	v_mul_lo_u32 v8, v3, s37
	v_add_nc_u32_e32 v9, 1, v3
	s_delay_alu instid0(VALU_DEP_2) | instskip(NEXT) | instid1(VALU_DEP_1)
	v_sub_nc_u32_e32 v8, v10, v8
	v_subrev_nc_u32_e32 v11, s37, v8
	v_cmp_le_u32_e32 vcc_lo, s37, v8
	s_delay_alu instid0(VALU_DEP_2) | instskip(NEXT) | instid1(VALU_DEP_1)
	v_dual_cndmask_b32 v3, v3, v9 :: v_dual_cndmask_b32 v8, v8, v11
	v_add_nc_u32_e32 v9, 1, v3
	s_delay_alu instid0(VALU_DEP_2) | instskip(NEXT) | instid1(VALU_DEP_2)
	v_cmp_le_u32_e32 vcc_lo, s37, v8
	v_cndmask_b32_e32 v9, v3, v9, vcc_lo
	s_delay_alu instid0(VALU_DEP_1) | instskip(NEXT) | instid1(VALU_DEP_1)
	v_mul_lo_u32 v3, v9, s37
	v_sub_nc_u32_e32 v3, v10, v3
	s_delay_alu instid0(VALU_DEP_1) | instskip(NEXT) | instid1(VALU_DEP_1)
	v_mad_u64_u32 v[10:11], null, s38, v3, v[0:1]
	v_mov_b32_e32 v0, v10
	s_cbranch_scc1 .LBB85_21
.LBB85_22:                              ;   in Loop: Header=BB85_3 Depth=1
	s_set_inst_prefetch_distance 0x2
	s_delay_alu instid0(VALU_DEP_1) | instskip(NEXT) | instid1(VALU_DEP_1)
	v_mad_u64_u32 v[10:11], null, s21, v9, v[0:1]
	v_mov_b32_e32 v3, v10
.LBB85_23:                              ;   in Loop: Header=BB85_3 Depth=1
	s_or_b32 exec_lo, exec_lo, s18
	v_or_b32_e32 v11, 2, v30
	v_cmp_lt_i32_e64 s0, 2, v32
	v_mov_b32_e32 v8, 0
	s_delay_alu instid0(VALU_DEP_2)
	s_and_saveexec_b32 s1, s0
	s_cbranch_execz .LBB85_28
; %bb.24:                               ;   in Loop: Header=BB85_3 Depth=1
	v_mov_b32_e32 v0, 0
	v_mov_b32_e32 v10, v11
	s_and_not1_b32 vcc_lo, exec_lo, s23
	s_cbranch_vccnz .LBB85_27
; %bb.25:                               ;   in Loop: Header=BB85_3 Depth=1
	v_mov_b32_e32 v0, 0
	v_mov_b32_e32 v10, v11
	s_mov_b64 s[18:19], s[14:15]
	s_mov_b32 s37, s27
	s_set_inst_prefetch_distance 0x1
	.p2align	6
.LBB85_26:                              ;   Parent Loop BB85_3 Depth=1
                                        ; =>  This Inner Loop Header: Depth=2
	s_clause 0x1
	s_load_b32 s38, s[18:19], 0x0
	s_load_b32 s39, s[18:19], 0x64
	v_mov_b32_e32 v12, v10
	s_add_i32 s37, s37, -1
	s_waitcnt lgkmcnt(0)
	v_cvt_f32_u32_e32 v8, s38
	s_sub_i32 s40, 0, s38
	s_add_u32 s18, s18, -4
	s_addc_u32 s19, s19, -1
	s_cmp_gt_u32 s37, 2
	v_rcp_iflag_f32_e32 v8, v8
	s_waitcnt_depctr 0xfff
	v_mul_f32_e32 v8, 0x4f7ffffe, v8
	s_delay_alu instid0(VALU_DEP_1) | instskip(NEXT) | instid1(VALU_DEP_1)
	v_cvt_u32_f32_e32 v8, v8
	v_mul_lo_u32 v9, s40, v8
	s_delay_alu instid0(VALU_DEP_1) | instskip(NEXT) | instid1(VALU_DEP_1)
	v_mul_hi_u32 v9, v8, v9
	v_add_nc_u32_e32 v8, v8, v9
	s_delay_alu instid0(VALU_DEP_1) | instskip(NEXT) | instid1(VALU_DEP_1)
	v_mul_hi_u32 v8, v12, v8
	v_mul_lo_u32 v9, v8, s38
	v_add_nc_u32_e32 v10, 1, v8
	s_delay_alu instid0(VALU_DEP_2) | instskip(NEXT) | instid1(VALU_DEP_1)
	v_sub_nc_u32_e32 v9, v12, v9
	v_subrev_nc_u32_e32 v13, s38, v9
	v_cmp_le_u32_e32 vcc_lo, s38, v9
	s_delay_alu instid0(VALU_DEP_2) | instskip(NEXT) | instid1(VALU_DEP_1)
	v_dual_cndmask_b32 v9, v9, v13 :: v_dual_cndmask_b32 v8, v8, v10
	v_cmp_le_u32_e32 vcc_lo, s38, v9
	s_delay_alu instid0(VALU_DEP_2) | instskip(NEXT) | instid1(VALU_DEP_1)
	v_add_nc_u32_e32 v10, 1, v8
	v_cndmask_b32_e32 v10, v8, v10, vcc_lo
	s_delay_alu instid0(VALU_DEP_1) | instskip(NEXT) | instid1(VALU_DEP_1)
	v_mul_lo_u32 v8, v10, s38
	v_sub_nc_u32_e32 v12, v12, v8
	s_delay_alu instid0(VALU_DEP_1) | instskip(NEXT) | instid1(VALU_DEP_1)
	v_mad_u64_u32 v[8:9], null, s39, v12, v[0:1]
	v_mov_b32_e32 v0, v8
	s_cbranch_scc1 .LBB85_26
.LBB85_27:                              ;   in Loop: Header=BB85_3 Depth=1
	s_set_inst_prefetch_distance 0x2
	s_delay_alu instid0(VALU_DEP_1)
	v_mad_u64_u32 v[8:9], null, s22, v10, v[0:1]
.LBB85_28:                              ;   in Loop: Header=BB85_3 Depth=1
	s_or_b32 exec_lo, exec_lo, s1
	v_mov_b32_e32 v9, 0
	v_mov_b32_e32 v10, 0
	s_and_saveexec_b32 s18, s0
	s_cbranch_execz .LBB85_33
; %bb.29:                               ;   in Loop: Header=BB85_3 Depth=1
	v_mov_b32_e32 v0, 0
	s_and_not1_b32 vcc_lo, exec_lo, s24
	s_cbranch_vccnz .LBB85_32
; %bb.30:                               ;   in Loop: Header=BB85_3 Depth=1
	v_mov_b32_e32 v0, 0
	s_mov_b64 s[0:1], s[16:17]
	s_mov_b32 s19, s28
	s_set_inst_prefetch_distance 0x1
	.p2align	6
.LBB85_31:                              ;   Parent Loop BB85_3 Depth=1
                                        ; =>  This Inner Loop Header: Depth=2
	s_clause 0x1
	s_load_b32 s37, s[0:1], 0x0
	s_load_b32 s38, s[0:1], 0x64
	s_add_i32 s19, s19, -1
	v_mov_b32_e32 v12, v11
	s_waitcnt lgkmcnt(0)
	v_cvt_f32_u32_e32 v9, s37
	s_sub_i32 s39, 0, s37
	s_add_u32 s0, s0, -4
	s_addc_u32 s1, s1, -1
	s_cmp_gt_u32 s19, 2
	v_rcp_iflag_f32_e32 v9, v9
	s_waitcnt_depctr 0xfff
	v_mul_f32_e32 v9, 0x4f7ffffe, v9
	s_delay_alu instid0(VALU_DEP_1) | instskip(NEXT) | instid1(VALU_DEP_1)
	v_cvt_u32_f32_e32 v9, v9
	v_mul_lo_u32 v10, s39, v9
	s_delay_alu instid0(VALU_DEP_1) | instskip(NEXT) | instid1(VALU_DEP_1)
	v_mul_hi_u32 v10, v9, v10
	v_add_nc_u32_e32 v9, v9, v10
	s_delay_alu instid0(VALU_DEP_1) | instskip(NEXT) | instid1(VALU_DEP_1)
	v_mul_hi_u32 v9, v12, v9
	v_mul_lo_u32 v10, v9, s37
	v_add_nc_u32_e32 v11, 1, v9
	s_delay_alu instid0(VALU_DEP_2) | instskip(NEXT) | instid1(VALU_DEP_1)
	v_sub_nc_u32_e32 v10, v12, v10
	v_subrev_nc_u32_e32 v13, s37, v10
	v_cmp_le_u32_e32 vcc_lo, s37, v10
	s_delay_alu instid0(VALU_DEP_2) | instskip(NEXT) | instid1(VALU_DEP_1)
	v_dual_cndmask_b32 v9, v9, v11 :: v_dual_cndmask_b32 v10, v10, v13
	v_add_nc_u32_e32 v11, 1, v9
	s_delay_alu instid0(VALU_DEP_2) | instskip(NEXT) | instid1(VALU_DEP_2)
	v_cmp_le_u32_e32 vcc_lo, s37, v10
	v_cndmask_b32_e32 v11, v9, v11, vcc_lo
	s_delay_alu instid0(VALU_DEP_1) | instskip(NEXT) | instid1(VALU_DEP_1)
	v_mul_lo_u32 v9, v11, s37
	v_sub_nc_u32_e32 v12, v12, v9
	s_delay_alu instid0(VALU_DEP_1) | instskip(NEXT) | instid1(VALU_DEP_1)
	v_mad_u64_u32 v[9:10], null, s38, v12, v[0:1]
	v_mov_b32_e32 v0, v9
	s_cbranch_scc1 .LBB85_31
.LBB85_32:                              ;   in Loop: Header=BB85_3 Depth=1
	s_set_inst_prefetch_distance 0x2
	s_delay_alu instid0(VALU_DEP_1)
	v_mad_u64_u32 v[9:10], null, s21, v11, v[0:1]
	v_mov_b32_e32 v10, v4
.LBB85_33:                              ;   in Loop: Header=BB85_3 Depth=1
	s_or_b32 exec_lo, exec_lo, s18
	v_mov_b32_e32 v11, 0
	v_or_b32_e32 v15, 3, v30
	v_mov_b32_e32 v12, 0
	v_cmp_lt_i32_e64 s0, 3, v32
	s_delay_alu instid0(VALU_DEP_1)
	s_and_saveexec_b32 s1, s0
	s_cbranch_execz .LBB85_38
; %bb.34:                               ;   in Loop: Header=BB85_3 Depth=1
	v_dual_mov_b32 v0, 0 :: v_dual_mov_b32 v13, v15
	s_and_not1_b32 vcc_lo, exec_lo, s23
	s_cbranch_vccnz .LBB85_37
; %bb.35:                               ;   in Loop: Header=BB85_3 Depth=1
	v_dual_mov_b32 v0, 0 :: v_dual_mov_b32 v13, v15
	s_mov_b64 s[18:19], s[14:15]
	s_mov_b32 s37, s27
	s_set_inst_prefetch_distance 0x1
	.p2align	6
.LBB85_36:                              ;   Parent Loop BB85_3 Depth=1
                                        ; =>  This Inner Loop Header: Depth=2
	s_clause 0x1
	s_load_b32 s38, s[18:19], 0x0
	s_load_b32 s39, s[18:19], 0x64
	s_add_i32 s37, s37, -1
	v_mov_b32_e32 v14, v13
	s_waitcnt lgkmcnt(0)
	v_cvt_f32_u32_e32 v11, s38
	s_sub_i32 s40, 0, s38
	s_add_u32 s18, s18, -4
	s_addc_u32 s19, s19, -1
	s_cmp_gt_u32 s37, 2
	v_rcp_iflag_f32_e32 v11, v11
	s_waitcnt_depctr 0xfff
	v_mul_f32_e32 v11, 0x4f7ffffe, v11
	s_delay_alu instid0(VALU_DEP_1) | instskip(NEXT) | instid1(VALU_DEP_1)
	v_cvt_u32_f32_e32 v11, v11
	v_mul_lo_u32 v12, s40, v11
	s_delay_alu instid0(VALU_DEP_1) | instskip(NEXT) | instid1(VALU_DEP_1)
	v_mul_hi_u32 v12, v11, v12
	v_add_nc_u32_e32 v11, v11, v12
	s_delay_alu instid0(VALU_DEP_1) | instskip(NEXT) | instid1(VALU_DEP_1)
	v_mul_hi_u32 v11, v14, v11
	v_mul_lo_u32 v12, v11, s38
	s_delay_alu instid0(VALU_DEP_1) | instskip(NEXT) | instid1(VALU_DEP_1)
	v_sub_nc_u32_e32 v12, v14, v12
	v_subrev_nc_u32_e32 v16, s38, v12
	v_cmp_le_u32_e32 vcc_lo, s38, v12
	s_delay_alu instid0(VALU_DEP_2) | instskip(NEXT) | instid1(VALU_DEP_1)
	v_dual_cndmask_b32 v12, v12, v16 :: v_dual_add_nc_u32 v13, 1, v11
	v_cndmask_b32_e32 v11, v11, v13, vcc_lo
	s_delay_alu instid0(VALU_DEP_2) | instskip(NEXT) | instid1(VALU_DEP_2)
	v_cmp_le_u32_e32 vcc_lo, s38, v12
	v_add_nc_u32_e32 v13, 1, v11
	s_delay_alu instid0(VALU_DEP_1) | instskip(NEXT) | instid1(VALU_DEP_1)
	v_cndmask_b32_e32 v13, v11, v13, vcc_lo
	v_mul_lo_u32 v11, v13, s38
	s_delay_alu instid0(VALU_DEP_1) | instskip(NEXT) | instid1(VALU_DEP_1)
	v_sub_nc_u32_e32 v14, v14, v11
	v_mad_u64_u32 v[11:12], null, s39, v14, v[0:1]
	s_delay_alu instid0(VALU_DEP_1)
	v_mov_b32_e32 v0, v11
	s_cbranch_scc1 .LBB85_36
.LBB85_37:                              ;   in Loop: Header=BB85_3 Depth=1
	s_set_inst_prefetch_distance 0x2
	s_delay_alu instid0(VALU_DEP_1)
	v_mad_u64_u32 v[11:12], null, s22, v13, v[0:1]
	v_mov_b32_e32 v12, v4
.LBB85_38:                              ;   in Loop: Header=BB85_3 Depth=1
	s_or_b32 exec_lo, exec_lo, s1
	v_mov_b32_e32 v13, 0
	v_mov_b32_e32 v14, 0
	s_and_saveexec_b32 s18, s0
	s_cbranch_execz .LBB85_43
; %bb.39:                               ;   in Loop: Header=BB85_3 Depth=1
	v_mov_b32_e32 v0, 0
	s_and_not1_b32 vcc_lo, exec_lo, s24
	s_cbranch_vccnz .LBB85_42
; %bb.40:                               ;   in Loop: Header=BB85_3 Depth=1
	v_mov_b32_e32 v0, 0
	s_mov_b64 s[0:1], s[16:17]
	s_mov_b32 s19, s28
	s_set_inst_prefetch_distance 0x1
	.p2align	6
.LBB85_41:                              ;   Parent Loop BB85_3 Depth=1
                                        ; =>  This Inner Loop Header: Depth=2
	s_clause 0x1
	s_load_b32 s37, s[0:1], 0x0
	s_load_b32 s38, s[0:1], 0x64
	s_add_i32 s19, s19, -1
	v_mov_b32_e32 v16, v15
	s_waitcnt lgkmcnt(0)
	v_cvt_f32_u32_e32 v13, s37
	s_sub_i32 s39, 0, s37
	s_add_u32 s0, s0, -4
	s_addc_u32 s1, s1, -1
	s_cmp_gt_u32 s19, 2
	v_rcp_iflag_f32_e32 v13, v13
	s_waitcnt_depctr 0xfff
	v_mul_f32_e32 v13, 0x4f7ffffe, v13
	s_delay_alu instid0(VALU_DEP_1) | instskip(NEXT) | instid1(VALU_DEP_1)
	v_cvt_u32_f32_e32 v13, v13
	v_mul_lo_u32 v14, s39, v13
	s_delay_alu instid0(VALU_DEP_1) | instskip(NEXT) | instid1(VALU_DEP_1)
	v_mul_hi_u32 v14, v13, v14
	v_add_nc_u32_e32 v13, v13, v14
	s_delay_alu instid0(VALU_DEP_1) | instskip(NEXT) | instid1(VALU_DEP_1)
	v_mul_hi_u32 v13, v16, v13
	v_mul_lo_u32 v14, v13, s37
	v_add_nc_u32_e32 v15, 1, v13
	s_delay_alu instid0(VALU_DEP_2) | instskip(NEXT) | instid1(VALU_DEP_1)
	v_sub_nc_u32_e32 v14, v16, v14
	v_subrev_nc_u32_e32 v17, s37, v14
	v_cmp_le_u32_e32 vcc_lo, s37, v14
	s_delay_alu instid0(VALU_DEP_2) | instskip(NEXT) | instid1(VALU_DEP_1)
	v_dual_cndmask_b32 v13, v13, v15 :: v_dual_cndmask_b32 v14, v14, v17
	v_add_nc_u32_e32 v15, 1, v13
	s_delay_alu instid0(VALU_DEP_2) | instskip(NEXT) | instid1(VALU_DEP_2)
	v_cmp_le_u32_e32 vcc_lo, s37, v14
	v_cndmask_b32_e32 v15, v13, v15, vcc_lo
	s_delay_alu instid0(VALU_DEP_1) | instskip(NEXT) | instid1(VALU_DEP_1)
	v_mul_lo_u32 v13, v15, s37
	v_sub_nc_u32_e32 v16, v16, v13
	s_delay_alu instid0(VALU_DEP_1) | instskip(NEXT) | instid1(VALU_DEP_1)
	v_mad_u64_u32 v[13:14], null, s38, v16, v[0:1]
	v_mov_b32_e32 v0, v13
	s_cbranch_scc1 .LBB85_41
.LBB85_42:                              ;   in Loop: Header=BB85_3 Depth=1
	s_set_inst_prefetch_distance 0x2
	s_delay_alu instid0(VALU_DEP_1)
	v_mad_u64_u32 v[13:14], null, s21, v15, v[0:1]
	v_mov_b32_e32 v14, v4
.LBB85_43:                              ;   in Loop: Header=BB85_3 Depth=1
	s_or_b32 exec_lo, exec_lo, s18
	s_delay_alu instid0(VALU_DEP_1) | instskip(SKIP_2) | instid1(VALU_DEP_3)
	v_lshlrev_b64 v[13:14], 2, v[13:14]
	v_dual_mov_b32 v18, s7 :: v_dual_mov_b32 v17, s6
	v_dual_mov_b32 v20, s5 :: v_dual_mov_b32 v19, s4
	v_add_co_u32 v13, vcc_lo, s8, v13
	s_delay_alu instid0(VALU_DEP_4)
	v_add_co_ci_u32_e32 v14, vcc_lo, s9, v14, vcc_lo
	s_and_not1_b32 vcc_lo, exec_lo, s25
	global_load_b32 v0, v[13:14], off
	s_cbranch_vccnz .LBB85_45
; %bb.44:                               ;   in Loop: Header=BB85_3 Depth=1
	v_dual_mov_b32 v14, s7 :: v_dual_mov_b32 v13, s6
	v_dual_mov_b32 v16, s5 :: v_dual_mov_b32 v15, s4
	flat_load_b64 v[13:14], v[13:14]
	flat_load_b64 v[19:20], v[15:16]
	s_waitcnt vmcnt(1) lgkmcnt(1)
	v_add_co_u32 v17, vcc_lo, v13, s2
	v_add_co_ci_u32_e32 v18, vcc_lo, s3, v14, vcc_lo
.LBB85_45:                              ;   in Loop: Header=BB85_3 Depth=1
	s_delay_alu instid0(VALU_DEP_1)
	v_alignbit_b32 v16, v18, v17, 2
	v_lshrrev_b32_e32 v15, 2, v18
	s_waitcnt vmcnt(0) lgkmcnt(0)
	v_add_nc_u32_e32 v33, 0x9e3779b9, v19
	v_add_nc_u32_e32 v35, 0x76cf5d0a, v20
	;; [unrolled: 1-line block ×3, first 2 shown]
	v_add_co_u32 v18, vcc_lo, v16, 1
	s_delay_alu instid0(VALU_DEP_1) | instskip(SKIP_4) | instid1(VALU_DEP_4)
	v_cndmask_b32_e64 v13, 0, 1, vcc_lo
	v_add_co_ci_u32_e32 v27, vcc_lo, 0, v15, vcc_lo
	v_xor3_b32 v23, v31, v19, v15
	v_add_nc_u32_e32 v37, 0x32370b8f, v20
	v_add_nc_u32_e32 v38, 0xed9eba14, v20
	v_cmp_eq_u32_e32 vcc_lo, 0, v27
	v_add_nc_u32_e32 v39, 0x1715609d, v19
	v_add_nc_u32_e32 v40, 0xa9066899, v20
	s_mov_b32 s0, exec_lo
	v_dual_cndmask_b32 v21, 0, v13 :: v_dual_add_nc_u32 v34, 0xbb67ae85, v20
	v_mad_u64_u32 v[13:14], null, 0xd2511f53, v18, 0
	s_delay_alu instid0(VALU_DEP_2) | instskip(NEXT) | instid1(VALU_DEP_2)
	v_add_nc_u32_e32 v18, v21, v1
	v_xor_b32_e32 v22, v14, v20
	s_delay_alu instid0(VALU_DEP_2) | instskip(SKIP_2) | instid1(VALU_DEP_1)
	v_cmp_eq_u32_e32 vcc_lo, 0, v18
	v_mad_u64_u32 v[14:15], null, 0xd2511f53, v16, 0
	v_cndmask_b32_e32 v21, 0, v21, vcc_lo
	v_xor_b32_e32 v16, v21, v22
	v_mad_u64_u32 v[21:22], null, 0xd2511f53, v23, 0
	v_mad_u64_u32 v[23:24], null, 0xcd9e8d57, v18, 0
	v_add_nc_u32_e32 v18, 0x3c6ef372, v19
	s_delay_alu instid0(VALU_DEP_4) | instskip(SKIP_2) | instid1(VALU_DEP_2)
	v_mad_u64_u32 v[25:26], null, 0xcd9e8d57, v16, 0
	v_xor_b32_e32 v16, v15, v20
	v_xor3_b32 v28, v34, v22, v14
	v_mad_u64_u32 v[14:15], null, 0xcd9e8d57, v16, 0
	v_xor3_b32 v16, v24, v19, v27
	v_xor3_b32 v24, v33, v26, v23
	s_delay_alu instid0(VALU_DEP_4) | instskip(NEXT) | instid1(VALU_DEP_3)
	v_mad_u64_u32 v[22:23], null, 0xcd9e8d57, v28, 0
	v_mad_u64_u32 v[26:27], null, 0xd2511f53, v16, 0
	s_delay_alu instid0(VALU_DEP_3) | instskip(SKIP_1) | instid1(VALU_DEP_4)
	v_mad_u64_u32 v[28:29], null, 0xd2511f53, v24, 0
	v_xor3_b32 v16, v2, v15, v33
	v_xor3_b32 v33, v18, v23, v14
	s_delay_alu instid0(VALU_DEP_4) | instskip(NEXT) | instid1(VALU_DEP_3)
	v_xor3_b32 v13, v34, v27, v13
	v_mad_u64_u32 v[14:15], null, 0xd2511f53, v16, 0
	v_xor3_b32 v16, v35, v29, v26
	s_delay_alu instid0(VALU_DEP_4) | instskip(NEXT) | instid1(VALU_DEP_4)
	v_mad_u64_u32 v[23:24], null, 0xd2511f53, v33, 0
	v_mad_u64_u32 v[26:27], null, 0xcd9e8d57, v13, 0
	s_delay_alu instid0(VALU_DEP_3) | instskip(SKIP_4) | instid1(VALU_DEP_4)
	v_mad_u64_u32 v[33:34], null, 0xcd9e8d57, v16, 0
	v_xor3_b32 v15, v35, v15, v21
	v_add_nc_u32_e32 v29, 0x78dde6e4, v19
	v_xor3_b32 v21, v37, v24, v14
	v_xor3_b32 v18, v18, v27, v25
	v_mad_u64_u32 v[13:14], null, 0xcd9e8d57, v15, 0
	v_xor3_b32 v34, v36, v34, v26
	s_delay_alu instid0(VALU_DEP_4) | instskip(NEXT) | instid1(VALU_DEP_4)
	v_mad_u64_u32 v[15:16], null, 0xcd9e8d57, v21, 0
	v_mad_u64_u32 v[24:25], null, 0xd2511f53, v18, 0
	s_delay_alu instid0(VALU_DEP_3) | instskip(SKIP_1) | instid1(VALU_DEP_4)
	v_mad_u64_u32 v[26:27], null, 0xd2511f53, v34, 0
	v_xor3_b32 v18, v36, v14, v22
	v_xor3_b32 v16, v29, v16, v13
	s_delay_alu instid0(VALU_DEP_2) | instskip(SKIP_2) | instid1(VALU_DEP_4)
	v_mad_u64_u32 v[13:14], null, 0xd2511f53, v18, 0
	v_xor3_b32 v18, v37, v25, v28
	v_xor3_b32 v24, v38, v27, v24
	v_mad_u64_u32 v[27:28], null, 0xd2511f53, v16, 0
	s_delay_alu instid0(VALU_DEP_3) | instskip(NEXT) | instid1(VALU_DEP_3)
	v_mad_u64_u32 v[21:22], null, 0xcd9e8d57, v18, 0
	v_mad_u64_u32 v[34:35], null, 0xcd9e8d57, v24, 0
	v_xor3_b32 v16, v38, v14, v23
	s_delay_alu instid0(VALU_DEP_4) | instskip(SKIP_2) | instid1(VALU_DEP_4)
	v_xor3_b32 v24, v40, v28, v13
	v_add_nc_u32_e32 v18, 0xb54cda56, v19
	v_add_nc_u32_e32 v23, 0x646e171e, v20
	v_mad_u64_u32 v[13:14], null, 0xcd9e8d57, v16, 0
	v_xor3_b32 v16, v29, v22, v33
	v_xor3_b32 v25, v39, v35, v21
	v_mad_u64_u32 v[35:36], null, 0xcd9e8d57, v24, 0
	v_add_nc_u32_e32 v29, 0x5384540f, v19
	s_delay_alu instid0(VALU_DEP_4) | instskip(NEXT) | instid1(VALU_DEP_4)
	v_mad_u64_u32 v[21:22], null, 0xd2511f53, v16, 0
	v_mad_u64_u32 v[37:38], null, 0xd2511f53, v25, 0
	v_xor3_b32 v15, v39, v14, v15
	v_xor3_b32 v16, v18, v36, v13
	v_add_nc_u32_e32 v39, 0x1fd5c5a3, v20
	v_add_co_u32 v33, null, 0xf1bbcdc8, v19
	v_xor3_b32 v24, v40, v22, v26
	v_xor3_b32 v26, v23, v38, v21
	v_mad_u64_u32 v[13:14], null, 0xd2511f53, v15, 0
	v_mad_u64_u32 v[21:22], null, 0xd2511f53, v16, 0
	s_delay_alu instid0(VALU_DEP_4) | instskip(NEXT) | instid1(VALU_DEP_4)
	v_mad_u64_u32 v[15:16], null, 0xcd9e8d57, v24, 0
	v_mad_u64_u32 v[24:25], null, 0xcd9e8d57, v26, 0
	s_delay_alu instid0(VALU_DEP_4) | instskip(NEXT) | instid1(VALU_DEP_4)
	v_xor3_b32 v23, v23, v14, v27
	v_xor3_b32 v26, v39, v22, v13
	s_delay_alu instid0(VALU_DEP_4) | instskip(NEXT) | instid1(VALU_DEP_3)
	v_xor3_b32 v18, v18, v16, v34
	v_mad_u64_u32 v[13:14], null, 0xcd9e8d57, v23, 0
	v_xor3_b32 v25, v29, v25, v15
	s_delay_alu instid0(VALU_DEP_4) | instskip(NEXT) | instid1(VALU_DEP_4)
	v_mad_u64_u32 v[22:23], null, 0xcd9e8d57, v26, 0
	v_mad_u64_u32 v[15:16], null, 0xd2511f53, v18, 0
	s_delay_alu instid0(VALU_DEP_3)
	v_mad_u64_u32 v[27:28], null, 0xd2511f53, v25, 0
	v_add_nc_u32_e32 v34, 0xdb3d7428, v20
	v_xor3_b32 v14, v29, v14, v35
	v_xor3_b32 v18, v33, v23, v13
	v_add_nc_u32_e32 v35, 0x96a522ad, v20
	v_xor3_b32 v16, v39, v16, v37
	v_and_b32_e32 v20, 3, v17
	v_xor3_b32 v23, v34, v28, v15
	v_mad_u64_u32 v[25:26], null, 0xd2511f53, v14, 0
	v_mad_u64_u32 v[13:14], null, 0xd2511f53, v18, 0
	;; [unrolled: 1-line block ×3, first 2 shown]
	s_delay_alu instid0(VALU_DEP_4) | instskip(SKIP_1) | instid1(VALU_DEP_4)
	v_mad_u64_u32 v[15:16], null, 0xcd9e8d57, v23, 0
	v_add_nc_u32_e32 v23, 0x8ff34781, v19
                                        ; implicit-def: $vgpr18
	v_xor3_b32 v19, v14, v25, v35
	s_delay_alu instid0(VALU_DEP_2)
	v_xor3_b32 v14, v16, v28, v23
	v_cmpx_lt_i32_e32 1, v20
	s_xor_b32 s0, exec_lo, s0
	s_cbranch_execz .LBB85_51
; %bb.46:                               ;   in Loop: Header=BB85_3 Depth=1
	s_mov_b32 s1, exec_lo
                                        ; implicit-def: $vgpr18
	v_cmpx_lt_i32_e32 2, v20
	s_xor_b32 s1, exec_lo, s1
; %bb.47:                               ;   in Loop: Header=BB85_3 Depth=1
	v_xor3_b32 v16, v33, v29, v24
                                        ; implicit-def: $vgpr19
	s_delay_alu instid0(VALU_DEP_1) | instskip(NEXT) | instid1(VALU_DEP_1)
	v_mul_hi_u32 v16, 0xd2511f53, v16
	v_xor3_b32 v18, v16, v27, v35
; %bb.48:                               ;   in Loop: Header=BB85_3 Depth=1
	s_and_not1_saveexec_b32 s1, s1
; %bb.49:                               ;   in Loop: Header=BB85_3 Depth=1
	v_dual_mov_b32 v18, v15 :: v_dual_mov_b32 v15, v14
	v_dual_mov_b32 v14, v13 :: v_dual_mov_b32 v13, v19
; %bb.50:                               ;   in Loop: Header=BB85_3 Depth=1
	s_or_b32 exec_lo, exec_lo, s1
                                        ; implicit-def: $vgpr21_vgpr22
                                        ; implicit-def: $vgpr20
                                        ; implicit-def: $vgpr19
                                        ; implicit-def: $vgpr34
                                        ; implicit-def: $vgpr25_vgpr26
                                        ; implicit-def: $vgpr22_vgpr23
                                        ; implicit-def: $vgpr23
.LBB85_51:                              ;   in Loop: Header=BB85_3 Depth=1
	s_and_not1_saveexec_b32 s0, s0
	s_cbranch_execz .LBB85_55
; %bb.52:                               ;   in Loop: Header=BB85_3 Depth=1
	v_xor3_b32 v15, v34, v26, v21
	v_cmp_eq_u32_e32 vcc_lo, 1, v20
	v_mov_b32_e32 v18, v13
	s_delay_alu instid0(VALU_DEP_3) | instskip(SKIP_1) | instid1(VALU_DEP_2)
	v_mad_u64_u32 v[16:17], null, 0xcd9e8d57, v15, 0
	v_mov_b32_e32 v15, v19
	v_xor3_b32 v20, v17, v22, v23
	s_delay_alu instid0(VALU_DEP_3)
	v_mov_b32_e32 v17, v16
	s_and_saveexec_b32 s1, vcc_lo
; %bb.53:                               ;   in Loop: Header=BB85_3 Depth=1
	v_dual_mov_b32 v18, v14 :: v_dual_mov_b32 v15, v13
	v_dual_mov_b32 v17, v19 :: v_dual_mov_b32 v20, v16
; %bb.54:                               ;   in Loop: Header=BB85_3 Depth=1
	s_or_b32 exec_lo, exec_lo, s1
	s_delay_alu instid0(VALU_DEP_1)
	v_dual_mov_b32 v13, v20 :: v_dual_mov_b32 v14, v17
.LBB85_55:                              ;   in Loop: Header=BB85_3 Depth=1
	s_or_b32 exec_lo, exec_lo, s0
	v_min_i32_e32 v16, 4, v32
	s_mov_b32 s1, 0
	s_mov_b32 s41, 0
	;; [unrolled: 1-line block ×3, first 2 shown]
                                        ; implicit-def: $sgpr19
                                        ; implicit-def: $sgpr37
                                        ; implicit-def: $sgpr38
	s_mov_b32 s0, exec_lo
	v_cmpx_lt_i32_e32 2, v16
	s_xor_b32 s39, exec_lo, s0
	s_cbranch_execz .LBB85_67
; %bb.56:                               ;   in Loop: Header=BB85_3 Depth=1
	s_mov_b32 s0, -1
	s_mov_b32 s40, 0
	s_mov_b32 s37, exec_lo
                                        ; implicit-def: $sgpr18
                                        ; implicit-def: $sgpr19
	v_cmpx_lt_i32_e32 3, v16
	s_cbranch_execz .LBB85_62
; %bb.57:                               ;   in Loop: Header=BB85_3 Depth=1
	s_mov_b32 s0, 0
	s_mov_b32 s41, -1
	s_mov_b32 s38, exec_lo
                                        ; implicit-def: $sgpr18
                                        ; implicit-def: $sgpr19
	v_cmpx_eq_u32_e32 4, v16
	s_cbranch_execz .LBB85_61
; %bb.58:                               ;   in Loop: Header=BB85_3 Depth=1
	v_cmp_le_f32_e32 vcc_lo, 0, v0
	v_cmp_ge_f32_e64 s0, 1.0, v0
	s_mov_b32 s18, 0
	s_delay_alu instid0(VALU_DEP_1)
	s_and_b32 s41, vcc_lo, s0
	s_mov_b32 s0, 0
	s_and_saveexec_b32 s19, s41
	s_cbranch_execz .LBB85_60
; %bb.59:                               ;   in Loop: Header=BB85_3 Depth=1
	v_cvt_f32_u32_e32 v17, v18
	v_lshlrev_b64 v[11:12], 2, v[11:12]
	s_mov_b32 s0, exec_lo
	s_delay_alu instid0(VALU_DEP_2) | instskip(NEXT) | instid1(VALU_DEP_2)
	v_fmaak_f32 v17, 0x2f800000, v17, 0x2f800000
	v_add_co_u32 v11, vcc_lo, s10, v11
	s_delay_alu instid0(VALU_DEP_3) | instskip(NEXT) | instid1(VALU_DEP_3)
	v_add_co_ci_u32_e32 v12, vcc_lo, s11, v12, vcc_lo
	v_cmp_le_f32_e32 vcc_lo, v17, v0
	v_cndmask_b32_e64 v0, 0, 1.0, vcc_lo
	global_store_b32 v[11:12], v0, off
.LBB85_60:                              ;   in Loop: Header=BB85_3 Depth=1
	s_or_b32 exec_lo, exec_lo, s19
	s_mov_b32 s19, -1
	s_xor_b32 s41, exec_lo, -1
	s_and_b32 s0, s0, exec_lo
.LBB85_61:                              ;   in Loop: Header=BB85_3 Depth=1
	s_or_b32 exec_lo, exec_lo, s38
	s_delay_alu instid0(SALU_CYCLE_1)
	s_and_b32 s41, s41, exec_lo
	s_or_not1_b32 s0, s0, exec_lo
.LBB85_62:                              ;   in Loop: Header=BB85_3 Depth=1
	s_or_b32 exec_lo, exec_lo, s37
	s_mov_b32 s38, s18
	s_and_saveexec_b32 s37, s0
	s_cbranch_execz .LBB85_66
; %bb.63:                               ;   in Loop: Header=BB85_3 Depth=1
	v_lshlrev_b64 v[9:10], 2, v[9:10]
	s_delay_alu instid0(VALU_DEP_1) | instskip(NEXT) | instid1(VALU_DEP_2)
	v_add_co_u32 v9, vcc_lo, s8, v9
	v_add_co_ci_u32_e32 v10, vcc_lo, s9, v10, vcc_lo
	global_load_b32 v0, v[9:10], off
	s_waitcnt vmcnt(0)
	v_cmp_le_f32_e32 vcc_lo, 0, v0
	v_cmp_ge_f32_e64 s0, 1.0, v0
	s_delay_alu instid0(VALU_DEP_1) | instskip(SKIP_2) | instid1(SALU_CYCLE_1)
	s_and_b32 s38, vcc_lo, s0
	s_mov_b32 s0, 0
	s_and_saveexec_b32 s40, s38
	s_xor_b32 s38, exec_lo, s40
	s_cbranch_execz .LBB85_65
; %bb.64:                               ;   in Loop: Header=BB85_3 Depth=1
	v_cvt_f32_u32_e32 v10, v15
	v_mov_b32_e32 v9, v4
	s_mov_b32 s0, exec_lo
	s_delay_alu instid0(VALU_DEP_2) | instskip(NEXT) | instid1(VALU_DEP_2)
	v_fmaak_f32 v10, 0x2f800000, v10, 0x2f800000
	v_lshlrev_b64 v[8:9], 2, v[8:9]
	s_delay_alu instid0(VALU_DEP_1) | instskip(NEXT) | instid1(VALU_DEP_2)
	v_add_co_u32 v8, vcc_lo, s10, v8
	v_add_co_ci_u32_e32 v9, vcc_lo, s11, v9, vcc_lo
	s_delay_alu instid0(VALU_DEP_4)
	v_cmp_le_f32_e32 vcc_lo, v10, v0
	v_cndmask_b32_e64 v0, 0, 1.0, vcc_lo
	global_store_b32 v[8:9], v0, off
.LBB85_65:                              ;   in Loop: Header=BB85_3 Depth=1
	s_or_b32 exec_lo, exec_lo, s38
	s_delay_alu instid0(SALU_CYCLE_1)
	s_and_not1_b32 s38, s18, exec_lo
	s_or_b32 s18, s18, exec_lo
	s_and_not1_b32 s19, s19, exec_lo
	s_and_b32 s40, s0, exec_lo
.LBB85_66:                              ;   in Loop: Header=BB85_3 Depth=1
	s_or_b32 exec_lo, exec_lo, s37
	s_delay_alu instid0(SALU_CYCLE_1)
	s_and_b32 s38, s38, exec_lo
	s_and_b32 s37, s18, exec_lo
	s_and_b32 s19, s19, exec_lo
	s_and_b32 s18, s41, exec_lo
	s_and_b32 s41, s40, exec_lo
.LBB85_67:                              ;   in Loop: Header=BB85_3 Depth=1
	s_and_not1_saveexec_b32 s0, s39
; %bb.68:                               ;   in Loop: Header=BB85_3 Depth=1
	v_cmp_lt_i32_e32 vcc_lo, 1, v16
	s_and_not1_b32 s39, s41, exec_lo
	s_mov_b32 s1, exec_lo
	s_and_not1_b32 s38, s38, exec_lo
	s_and_not1_b32 s37, s37, exec_lo
	s_and_b32 s40, vcc_lo, exec_lo
	s_and_not1_b32 s19, s19, exec_lo
	s_or_b32 s41, s39, s40
; %bb.69:                               ;   in Loop: Header=BB85_3 Depth=1
	s_or_b32 exec_lo, exec_lo, s0
	s_mov_b32 s0, 0
	s_mov_b32 s39, s38
	s_and_saveexec_b32 s40, s41
	s_cbranch_execnz .LBB85_72
; %bb.70:                               ;   in Loop: Header=BB85_3 Depth=1
	s_or_b32 exec_lo, exec_lo, s40
	s_and_saveexec_b32 s40, s1
	s_cbranch_execnz .LBB85_75
.LBB85_71:                              ;   in Loop: Header=BB85_3 Depth=1
	s_or_b32 exec_lo, exec_lo, s40
	s_and_saveexec_b32 s1, s0
	s_cbranch_execnz .LBB85_76
	s_branch .LBB85_79
.LBB85_72:                              ;   in Loop: Header=BB85_3 Depth=1
	v_lshlrev_b64 v[8:9], 2, v[3:4]
	s_mov_b32 s41, 0
	s_delay_alu instid0(VALU_DEP_1) | instskip(NEXT) | instid1(VALU_DEP_2)
	v_add_co_u32 v8, vcc_lo, s8, v8
	v_add_co_ci_u32_e32 v9, vcc_lo, s9, v9, vcc_lo
	global_load_b32 v0, v[8:9], off
	s_waitcnt vmcnt(0)
	v_cmp_le_f32_e32 vcc_lo, 0, v0
	v_cmp_ge_f32_e64 s0, 1.0, v0
	s_delay_alu instid0(VALU_DEP_1) | instskip(NEXT) | instid1(SALU_CYCLE_1)
	s_and_b32 s0, vcc_lo, s0
	s_and_saveexec_b32 s39, s0
	s_delay_alu instid0(SALU_CYCLE_1)
	s_xor_b32 s0, exec_lo, s39
	s_cbranch_execz .LBB85_74
; %bb.73:                               ;   in Loop: Header=BB85_3 Depth=1
	v_cvt_f32_u32_e32 v3, v14
	v_mov_b32_e32 v8, v4
	s_mov_b32 s41, exec_lo
	s_delay_alu instid0(VALU_DEP_2) | instskip(NEXT) | instid1(VALU_DEP_2)
	v_fmaak_f32 v3, 0x2f800000, v3, 0x2f800000
	v_lshlrev_b64 v[7:8], 2, v[7:8]
	s_delay_alu instid0(VALU_DEP_1) | instskip(NEXT) | instid1(VALU_DEP_2)
	v_add_co_u32 v7, vcc_lo, s10, v7
	v_add_co_ci_u32_e32 v8, vcc_lo, s11, v8, vcc_lo
	s_delay_alu instid0(VALU_DEP_4)
	v_cmp_le_f32_e32 vcc_lo, v3, v0
	v_cndmask_b32_e64 v0, 0, 1.0, vcc_lo
	global_store_b32 v[7:8], v0, off
.LBB85_74:                              ;   in Loop: Header=BB85_3 Depth=1
	s_or_b32 exec_lo, exec_lo, s0
	s_delay_alu instid0(SALU_CYCLE_1)
	s_and_not1_b32 s39, s38, exec_lo
	s_or_b32 s38, s38, exec_lo
	s_and_not1_b32 s37, s37, exec_lo
	s_and_not1_b32 s19, s19, exec_lo
	s_and_b32 s0, s41, exec_lo
	s_and_not1_b32 s1, s1, exec_lo
	s_or_b32 exec_lo, exec_lo, s40
	s_and_saveexec_b32 s40, s1
	s_cbranch_execz .LBB85_71
.LBB85_75:                              ;   in Loop: Header=BB85_3 Depth=1
	v_cmp_eq_u32_e32 vcc_lo, 1, v16
	s_and_not1_b32 s0, s0, exec_lo
	s_and_not1_b32 s39, s39, exec_lo
	;; [unrolled: 1-line block ×4, first 2 shown]
	s_and_b32 s1, vcc_lo, exec_lo
	s_and_not1_b32 s19, s19, exec_lo
	s_or_b32 s18, s18, exec_lo
	s_or_b32 s0, s0, s1
	s_or_b32 exec_lo, exec_lo, s40
	s_and_saveexec_b32 s1, s0
	s_cbranch_execz .LBB85_79
.LBB85_76:                              ;   in Loop: Header=BB85_3 Depth=1
	v_mov_b32_e32 v7, v4
	s_mov_b32 s40, 0
	s_delay_alu instid0(VALU_DEP_1) | instskip(NEXT) | instid1(VALU_DEP_1)
	v_lshlrev_b64 v[6:7], 2, v[6:7]
	v_add_co_u32 v6, vcc_lo, s8, v6
	s_delay_alu instid0(VALU_DEP_2) | instskip(SKIP_4) | instid1(VALU_DEP_1)
	v_add_co_ci_u32_e32 v7, vcc_lo, s9, v7, vcc_lo
	global_load_b32 v0, v[6:7], off
	s_waitcnt vmcnt(0)
	v_cmp_le_f32_e32 vcc_lo, 0, v0
	v_cmp_ge_f32_e64 s0, 1.0, v0
	s_and_b32 s41, vcc_lo, s0
	s_delay_alu instid0(SALU_CYCLE_1)
	s_and_saveexec_b32 s0, s41
	s_cbranch_execz .LBB85_78
; %bb.77:                               ;   in Loop: Header=BB85_3 Depth=1
	v_cvt_f32_u32_e32 v3, v13
	v_mov_b32_e32 v6, v4
	s_mov_b32 s40, exec_lo
	s_delay_alu instid0(VALU_DEP_2) | instskip(NEXT) | instid1(VALU_DEP_2)
	v_fmaak_f32 v3, 0x2f800000, v3, 0x2f800000
	v_lshlrev_b64 v[5:6], 2, v[5:6]
	s_delay_alu instid0(VALU_DEP_1) | instskip(NEXT) | instid1(VALU_DEP_2)
	v_add_co_u32 v5, vcc_lo, s10, v5
	v_add_co_ci_u32_e32 v6, vcc_lo, s11, v6, vcc_lo
	s_delay_alu instid0(VALU_DEP_4)
	v_cmp_le_f32_e32 vcc_lo, v3, v0
	v_cndmask_b32_e64 v0, 0, 1.0, vcc_lo
	global_store_b32 v[5:6], v0, off
.LBB85_78:                              ;   in Loop: Header=BB85_3 Depth=1
	s_or_b32 exec_lo, exec_lo, s0
	s_delay_alu instid0(SALU_CYCLE_1)
	s_and_not1_b32 s0, s18, exec_lo
	s_and_b32 s18, s40, exec_lo
	s_or_b32 s39, s39, exec_lo
	s_and_not1_b32 s38, s38, exec_lo
	s_and_not1_b32 s37, s37, exec_lo
	;; [unrolled: 1-line block ×3, first 2 shown]
	s_or_b32 s18, s0, s18
.LBB85_79:                              ;   in Loop: Header=BB85_3 Depth=1
	s_or_b32 exec_lo, exec_lo, s1
	s_delay_alu instid0(SALU_CYCLE_1)
	s_and_not1_b32 s1, s36, exec_lo
	s_and_b32 s36, s39, exec_lo
	s_and_not1_b32 s34, s34, exec_lo
	s_and_b32 s38, s38, exec_lo
	s_or_b32 s36, s1, s36
	s_and_not1_b32 s1, s35, exec_lo
	s_and_b32 s35, s37, exec_lo
	s_and_not1_b32 s33, s33, exec_lo
	s_and_b32 s19, s19, exec_lo
	s_mov_b32 s0, -1
	s_or_b32 s34, s34, s38
	s_or_b32 s35, s1, s35
	;; [unrolled: 1-line block ×3, first 2 shown]
	s_and_saveexec_b32 s1, s18
	s_cbranch_execz .LBB85_2
; %bb.80:                               ;   in Loop: Header=BB85_3 Depth=1
	v_add_nc_u32_e32 v30, s26, v30
	s_and_not1_b32 s36, s36, exec_lo
	s_and_not1_b32 s34, s34, exec_lo
	;; [unrolled: 1-line block ×4, first 2 shown]
	v_cmp_le_u32_e32 vcc_lo, s20, v30
	s_or_not1_b32 s0, vcc_lo, exec_lo
	s_branch .LBB85_2
.LBB85_81:
	s_or_b32 exec_lo, exec_lo, s13
	s_xor_b32 s3, s30, -1
	s_xor_b32 s4, s31, -1
	;; [unrolled: 1-line block ×3, first 2 shown]
	s_mov_b32 s1, 0
	s_and_saveexec_b32 s2, s0
	s_delay_alu instid0(SALU_CYCLE_1)
	s_xor_b32 s0, exec_lo, s2
	s_cbranch_execz .LBB85_90
; %bb.82:
	s_mov_b32 s2, 0
	s_and_saveexec_b32 s1, s4
	s_delay_alu instid0(SALU_CYCLE_1)
	s_xor_b32 s1, exec_lo, s1
	s_cbranch_execz .LBB85_88
; %bb.83:
	s_and_saveexec_b32 s4, s3
	s_delay_alu instid0(SALU_CYCLE_1)
	s_xor_b32 s3, exec_lo, s4
	s_cbranch_execz .LBB85_86
; %bb.84:
	s_and_saveexec_b32 s4, s12
	s_delay_alu instid0(SALU_CYCLE_1)
	s_xor_b32 s4, exec_lo, s4
	s_cbranch_execnz .LBB85_104
.LBB85_85:
	s_or_b32 exec_lo, exec_lo, s4
	s_delay_alu instid0(SALU_CYCLE_1)
	s_and_b32 s2, s2, exec_lo
.LBB85_86:
	s_and_not1_saveexec_b32 s3, s3
	s_cbranch_execnz .LBB85_100
.LBB85_87:
	s_or_b32 exec_lo, exec_lo, s3
	s_delay_alu instid0(SALU_CYCLE_1)
	s_and_b32 s2, s2, exec_lo
.LBB85_88:
	s_and_not1_saveexec_b32 s1, s1
	s_cbranch_execnz .LBB85_96
.LBB85_89:
	s_or_b32 exec_lo, exec_lo, s1
	s_delay_alu instid0(SALU_CYCLE_1)
	s_and_b32 s1, s2, exec_lo
.LBB85_90:
	s_and_not1_saveexec_b32 s0, s0
	s_cbranch_execnz .LBB85_94
; %bb.91:
	s_or_b32 exec_lo, exec_lo, s0
	s_delay_alu instid0(SALU_CYCLE_1)
	s_and_b32 exec_lo, exec_lo, s1
.LBB85_92:
	; divergent unreachable
.LBB85_93:
	s_nop 0
	s_sendmsg sendmsg(MSG_DEALLOC_VGPRS)
	s_endpgm
.LBB85_94:
	s_cbranch_execnz .LBB85_98
; %bb.95:
	s_or_b32 s1, s1, exec_lo
	s_or_b32 exec_lo, exec_lo, s0
	s_delay_alu instid0(SALU_CYCLE_1)
	s_and_b32 exec_lo, exec_lo, s1
	s_cbranch_execnz .LBB85_92
	s_branch .LBB85_93
.LBB85_96:
	s_cbranch_execnz .LBB85_102
; %bb.97:
	s_or_b32 s2, s2, exec_lo
	s_branch .LBB85_89
.LBB85_98:
	s_trap 2
	s_sendmsg_rtn_b32 s0, sendmsg(MSG_RTN_GET_DOORBELL)
	s_mov_b32 ttmp2, m0
	s_waitcnt lgkmcnt(0)
	s_and_b32 s0, s0, 0x3ff
	s_delay_alu instid0(SALU_CYCLE_1) | instskip(NEXT) | instid1(SALU_CYCLE_1)
	s_bitset1_b32 s0, 10
	s_mov_b32 m0, s0
	s_sendmsg sendmsg(MSG_INTERRUPT)
	s_mov_b32 m0, ttmp2
.LBB85_99:                              ; =>This Inner Loop Header: Depth=1
	s_sethalt 5
	s_branch .LBB85_99
.LBB85_100:
	s_cbranch_execnz .LBB85_106
; %bb.101:
	s_or_b32 s2, s2, exec_lo
	s_branch .LBB85_87
.LBB85_102:
	s_trap 2
	s_sendmsg_rtn_b32 s0, sendmsg(MSG_RTN_GET_DOORBELL)
	s_mov_b32 ttmp2, m0
	s_waitcnt lgkmcnt(0)
	s_and_b32 s0, s0, 0x3ff
	s_delay_alu instid0(SALU_CYCLE_1) | instskip(NEXT) | instid1(SALU_CYCLE_1)
	s_bitset1_b32 s0, 10
	s_mov_b32 m0, s0
	s_sendmsg sendmsg(MSG_INTERRUPT)
	s_mov_b32 m0, ttmp2
.LBB85_103:                             ; =>This Inner Loop Header: Depth=1
	s_sethalt 5
	s_branch .LBB85_103
.LBB85_104:
	s_cbranch_execnz .LBB85_108
; %bb.105:
	s_mov_b32 s2, exec_lo
	s_branch .LBB85_85
.LBB85_106:
	s_trap 2
	s_sendmsg_rtn_b32 s0, sendmsg(MSG_RTN_GET_DOORBELL)
	s_mov_b32 ttmp2, m0
	s_waitcnt lgkmcnt(0)
	s_and_b32 s0, s0, 0x3ff
	s_delay_alu instid0(SALU_CYCLE_1) | instskip(NEXT) | instid1(SALU_CYCLE_1)
	s_bitset1_b32 s0, 10
	s_mov_b32 m0, s0
	s_sendmsg sendmsg(MSG_INTERRUPT)
	s_mov_b32 m0, ttmp2
.LBB85_107:                             ; =>This Inner Loop Header: Depth=1
	s_sethalt 5
	s_branch .LBB85_107
.LBB85_108:
	s_trap 2
	s_sendmsg_rtn_b32 s0, sendmsg(MSG_RTN_GET_DOORBELL)
	s_mov_b32 ttmp2, m0
	s_waitcnt lgkmcnt(0)
	s_and_b32 s0, s0, 0x3ff
	s_delay_alu instid0(SALU_CYCLE_1) | instskip(NEXT) | instid1(SALU_CYCLE_1)
	s_bitset1_b32 s0, 10
	s_mov_b32 m0, s0
	s_sendmsg sendmsg(MSG_INTERRUPT)
	s_mov_b32 m0, ttmp2
.LBB85_109:                             ; =>This Inner Loop Header: Depth=1
	s_sethalt 5
	s_branch .LBB85_109
	.section	.rodata,"a",@progbits
	.p2align	6, 0x0
	.amdhsa_kernel _ZN2at4cuda12_GLOBAL__N_121kernelPointwiseApply2IZNS_6native9templates4cuda28bernoulli_tensor_cuda_kernelIffEEvRKNS_10TensorBaseES9_NS_15PhiloxCudaStateEEUliRfSB_SB_SB_RKfSD_SD_SD_E_fSC_jLin1ELin1ELi4ELi512ELi2EEEvNS0_6detail10TensorInfoIT0_T2_EENSG_IT1_SI_EESI_T_
		.amdhsa_group_segment_fixed_size 0
		.amdhsa_private_segment_fixed_size 0
		.amdhsa_kernarg_size 728
		.amdhsa_user_sgpr_count 15
		.amdhsa_user_sgpr_dispatch_ptr 0
		.amdhsa_user_sgpr_queue_ptr 0
		.amdhsa_user_sgpr_kernarg_segment_ptr 1
		.amdhsa_user_sgpr_dispatch_id 0
		.amdhsa_user_sgpr_private_segment_size 0
		.amdhsa_wavefront_size32 1
		.amdhsa_uses_dynamic_stack 0
		.amdhsa_enable_private_segment 0
		.amdhsa_system_sgpr_workgroup_id_x 1
		.amdhsa_system_sgpr_workgroup_id_y 0
		.amdhsa_system_sgpr_workgroup_id_z 0
		.amdhsa_system_sgpr_workgroup_info 0
		.amdhsa_system_vgpr_workitem_id 0
		.amdhsa_next_free_vgpr 41
		.amdhsa_next_free_sgpr 42
		.amdhsa_reserve_vcc 1
		.amdhsa_float_round_mode_32 0
		.amdhsa_float_round_mode_16_64 0
		.amdhsa_float_denorm_mode_32 3
		.amdhsa_float_denorm_mode_16_64 3
		.amdhsa_dx10_clamp 1
		.amdhsa_ieee_mode 1
		.amdhsa_fp16_overflow 0
		.amdhsa_workgroup_processor_mode 1
		.amdhsa_memory_ordered 1
		.amdhsa_forward_progress 0
		.amdhsa_shared_vgpr_count 0
		.amdhsa_exception_fp_ieee_invalid_op 0
		.amdhsa_exception_fp_denorm_src 0
		.amdhsa_exception_fp_ieee_div_zero 0
		.amdhsa_exception_fp_ieee_overflow 0
		.amdhsa_exception_fp_ieee_underflow 0
		.amdhsa_exception_fp_ieee_inexact 0
		.amdhsa_exception_int_div_zero 0
	.end_amdhsa_kernel
	.section	.text._ZN2at4cuda12_GLOBAL__N_121kernelPointwiseApply2IZNS_6native9templates4cuda28bernoulli_tensor_cuda_kernelIffEEvRKNS_10TensorBaseES9_NS_15PhiloxCudaStateEEUliRfSB_SB_SB_RKfSD_SD_SD_E_fSC_jLin1ELin1ELi4ELi512ELi2EEEvNS0_6detail10TensorInfoIT0_T2_EENSG_IT1_SI_EESI_T_,"axG",@progbits,_ZN2at4cuda12_GLOBAL__N_121kernelPointwiseApply2IZNS_6native9templates4cuda28bernoulli_tensor_cuda_kernelIffEEvRKNS_10TensorBaseES9_NS_15PhiloxCudaStateEEUliRfSB_SB_SB_RKfSD_SD_SD_E_fSC_jLin1ELin1ELi4ELi512ELi2EEEvNS0_6detail10TensorInfoIT0_T2_EENSG_IT1_SI_EESI_T_,comdat
.Lfunc_end85:
	.size	_ZN2at4cuda12_GLOBAL__N_121kernelPointwiseApply2IZNS_6native9templates4cuda28bernoulli_tensor_cuda_kernelIffEEvRKNS_10TensorBaseES9_NS_15PhiloxCudaStateEEUliRfSB_SB_SB_RKfSD_SD_SD_E_fSC_jLin1ELin1ELi4ELi512ELi2EEEvNS0_6detail10TensorInfoIT0_T2_EENSG_IT1_SI_EESI_T_, .Lfunc_end85-_ZN2at4cuda12_GLOBAL__N_121kernelPointwiseApply2IZNS_6native9templates4cuda28bernoulli_tensor_cuda_kernelIffEEvRKNS_10TensorBaseES9_NS_15PhiloxCudaStateEEUliRfSB_SB_SB_RKfSD_SD_SD_E_fSC_jLin1ELin1ELi4ELi512ELi2EEEvNS0_6detail10TensorInfoIT0_T2_EENSG_IT1_SI_EESI_T_
                                        ; -- End function
	.section	.AMDGPU.csdata,"",@progbits
; Kernel info:
; codeLenInByte = 5420
; NumSgprs: 44
; NumVgprs: 41
; ScratchSize: 0
; MemoryBound: 0
; FloatMode: 240
; IeeeMode: 1
; LDSByteSize: 0 bytes/workgroup (compile time only)
; SGPRBlocks: 5
; VGPRBlocks: 5
; NumSGPRsForWavesPerEU: 44
; NumVGPRsForWavesPerEU: 41
; Occupancy: 16
; WaveLimiterHint : 1
; COMPUTE_PGM_RSRC2:SCRATCH_EN: 0
; COMPUTE_PGM_RSRC2:USER_SGPR: 15
; COMPUTE_PGM_RSRC2:TRAP_HANDLER: 0
; COMPUTE_PGM_RSRC2:TGID_X_EN: 1
; COMPUTE_PGM_RSRC2:TGID_Y_EN: 0
; COMPUTE_PGM_RSRC2:TGID_Z_EN: 0
; COMPUTE_PGM_RSRC2:TIDIG_COMP_CNT: 0
	.section	.text._ZN2at4cuda12_GLOBAL__N_121kernelPointwiseApply2IZNS_6native9templates4cuda28bernoulli_tensor_cuda_kernelIffEEvRKNS_10TensorBaseES9_NS_15PhiloxCudaStateEEUliRfSB_SB_SB_RKfSD_SD_SD_E_fSC_mLi1ELi1ELi4ELi512ELi2EEEvNS0_6detail10TensorInfoIT0_T2_EENSG_IT1_SI_EESI_T_,"axG",@progbits,_ZN2at4cuda12_GLOBAL__N_121kernelPointwiseApply2IZNS_6native9templates4cuda28bernoulli_tensor_cuda_kernelIffEEvRKNS_10TensorBaseES9_NS_15PhiloxCudaStateEEUliRfSB_SB_SB_RKfSD_SD_SD_E_fSC_mLi1ELi1ELi4ELi512ELi2EEEvNS0_6detail10TensorInfoIT0_T2_EENSG_IT1_SI_EESI_T_,comdat
	.globl	_ZN2at4cuda12_GLOBAL__N_121kernelPointwiseApply2IZNS_6native9templates4cuda28bernoulli_tensor_cuda_kernelIffEEvRKNS_10TensorBaseES9_NS_15PhiloxCudaStateEEUliRfSB_SB_SB_RKfSD_SD_SD_E_fSC_mLi1ELi1ELi4ELi512ELi2EEEvNS0_6detail10TensorInfoIT0_T2_EENSG_IT1_SI_EESI_T_ ; -- Begin function _ZN2at4cuda12_GLOBAL__N_121kernelPointwiseApply2IZNS_6native9templates4cuda28bernoulli_tensor_cuda_kernelIffEEvRKNS_10TensorBaseES9_NS_15PhiloxCudaStateEEUliRfSB_SB_SB_RKfSD_SD_SD_E_fSC_mLi1ELi1ELi4ELi512ELi2EEEvNS0_6detail10TensorInfoIT0_T2_EENSG_IT1_SI_EESI_T_
	.p2align	8
	.type	_ZN2at4cuda12_GLOBAL__N_121kernelPointwiseApply2IZNS_6native9templates4cuda28bernoulli_tensor_cuda_kernelIffEEvRKNS_10TensorBaseES9_NS_15PhiloxCudaStateEEUliRfSB_SB_SB_RKfSD_SD_SD_E_fSC_mLi1ELi1ELi4ELi512ELi2EEEvNS0_6detail10TensorInfoIT0_T2_EENSG_IT1_SI_EESI_T_,@function
_ZN2at4cuda12_GLOBAL__N_121kernelPointwiseApply2IZNS_6native9templates4cuda28bernoulli_tensor_cuda_kernelIffEEvRKNS_10TensorBaseES9_NS_15PhiloxCudaStateEEUliRfSB_SB_SB_RKfSD_SD_SD_E_fSC_mLi1ELi1ELi4ELi512ELi2EEEvNS0_6detail10TensorInfoIT0_T2_EENSG_IT1_SI_EESI_T_: ; @_ZN2at4cuda12_GLOBAL__N_121kernelPointwiseApply2IZNS_6native9templates4cuda28bernoulli_tensor_cuda_kernelIffEEvRKNS_10TensorBaseES9_NS_15PhiloxCudaStateEEUliRfSB_SB_SB_RKfSD_SD_SD_E_fSC_mLi1ELi1ELi4ELi512ELi2EEEvNS0_6detail10TensorInfoIT0_T2_EENSG_IT1_SI_EESI_T_
; %bb.0:
	s_clause 0x1
	s_load_b32 s12, s[0:1], 0x374
	s_load_b256 s[4:11], s[0:1], 0x340
	s_add_u32 s2, s0, 0x368
	s_addc_u32 s3, s1, 0
	v_mov_b32_e32 v3, 0
	s_waitcnt lgkmcnt(0)
	s_and_b32 s14, s12, 0xffff
	s_mov_b32 s12, exec_lo
	v_mad_u64_u32 v[1:2], null, s15, s14, v[0:1]
	s_delay_alu instid0(VALU_DEP_1) | instskip(NEXT) | instid1(VALU_DEP_1)
	v_lshlrev_b32_e32 v2, 2, v1
	v_cmpx_gt_u64_e64 s[4:5], v[2:3]
	s_cbranch_execz .LBB86_51
; %bb.1:
	s_load_b64 s[16:17], s[0:1], 0xd0
	s_load_b32 s15, s[2:3], 0x0
	s_clause 0x3
	s_load_b32 s19, s[0:1], 0x360
	s_load_b64 s[2:3], s[0:1], 0x0
	s_load_b64 s[12:13], s[0:1], 0x1a0
	;; [unrolled: 1-line block ×3, first 2 shown]
	v_mad_u64_u32 v[4:5], null, 0xcd9e8d57, v1, 0
	v_add_co_u32 v15, s20, v2, 2
	s_delay_alu instid0(VALU_DEP_1) | instskip(SKIP_1) | instid1(VALU_DEP_4)
	v_add_co_ci_u32_e64 v16, null, 0, 0, s20
	v_add_co_u32 v17, s20, v2, 3
	v_mov_b32_e32 v34, v5
	v_add_co_ci_u32_e64 v18, null, 0, 0, s20
	v_sub_nc_u32_e32 v0, s4, v2
	s_mov_b32 s18, 0
                                        ; implicit-def: $sgpr26
                                        ; implicit-def: $sgpr28
                                        ; implicit-def: $sgpr27
                                        ; implicit-def: $sgpr23
                                        ; implicit-def: $sgpr29
                                        ; implicit-def: $sgpr31
                                        ; implicit-def: $sgpr30
                                        ; implicit-def: $sgpr33
	s_waitcnt lgkmcnt(0)
	v_mad_u64_u32 v[5:6], null, s16, v2, 0
	v_mad_u64_u32 v[7:8], null, s16, v15, 0
	v_mad_u64_u32 v[11:12], null, s16, v17, 0
	v_mad_u64_u32 v[9:10], null, s0, v2, 0
	v_mul_lo_u32 v19, s17, v15
	v_mul_lo_u32 v20, s16, v16
	v_mad_u64_u32 v[13:14], null, s17, v2, v[6:7]
	v_mul_lo_u32 v21, s17, v17
	v_mul_lo_u32 v22, s16, v18
	v_mul_lo_u32 v18, s0, v18
	s_mul_i32 s15, s15, s14
	s_bitcmp1_b32 s19, 0
	v_add3_u32 v8, v8, v20, v19
	v_mov_b32_e32 v6, v13
	v_mad_u64_u32 v[13:14], null, s1, v2, v[10:11]
	v_add3_u32 v12, v12, v22, v21
	v_mul_lo_u32 v19, s1, v15
	v_mul_lo_u32 v20, s0, v16
	;; [unrolled: 1-line block ×3, first 2 shown]
	v_add_co_u32 v10, vcc_lo, v5, s16
	v_mov_b32_e32 v36, v13
	v_mad_u64_u32 v[13:14], null, s0, v15, 0
	v_mad_u64_u32 v[15:16], null, s0, v17, 0
	s_cselect_b32 s19, -1, 0
	s_lshl_b32 s20, s15, 2
	v_add_co_ci_u32_e32 v35, vcc_lo, s17, v6, vcc_lo
	v_add_co_u32 v37, vcc_lo, v9, s0
	s_mul_i32 s14, s17, s20
	s_mul_hi_u32 s15, s16, s20
	v_add_co_ci_u32_e32 v38, vcc_lo, s1, v36, vcc_lo
	v_add3_u32 v14, v14, v20, v19
	v_add3_u32 v16, v16, v18, v21
	s_add_i32 s21, s15, s14
	s_mul_i32 s14, s1, s20
	s_mul_hi_u32 s15, s0, s20
	s_mul_i32 s22, s16, s20
	s_add_i32 s24, s15, s14
	s_mul_i32 s25, s0, s20
	s_mov_b64 s[14:15], 0
	s_mov_b64 s[16:17], 0
	s_branch .LBB86_3
.LBB86_2:                               ;   in Loop: Header=BB86_3 Depth=1
	s_or_b32 exec_lo, exec_lo, s1
	s_delay_alu instid0(SALU_CYCLE_1) | instskip(NEXT) | instid1(SALU_CYCLE_1)
	s_and_b32 s0, exec_lo, s0
	s_or_b32 s18, s0, s18
	s_and_not1_b32 s0, s23, exec_lo
	s_and_b32 s1, s33, exec_lo
	s_and_not1_b32 s27, s27, exec_lo
	s_and_b32 s34, s30, exec_lo
	s_or_b32 s23, s0, s1
	s_or_b32 s27, s27, s34
	s_and_not1_b32 s0, s28, exec_lo
	s_and_b32 s1, s31, exec_lo
	s_and_not1_b32 s26, s26, exec_lo
	s_and_b32 s34, s29, exec_lo
	s_or_b32 s28, s0, s1
	s_or_b32 s26, s26, s34
	s_and_not1_b32 exec_lo, exec_lo, s18
	s_cbranch_execz .LBB86_39
.LBB86_3:                               ; =>This Inner Loop Header: Depth=1
	v_add_co_u32 v17, vcc_lo, v15, s14
	v_add_co_ci_u32_e32 v18, vcc_lo, s15, v16, vcc_lo
	v_cmp_lt_i32_e64 s0, 3, v0
	v_dual_mov_b32 v22, s9 :: v_dual_mov_b32 v21, s8
	v_dual_mov_b32 v24, s7 :: v_dual_mov_b32 v23, s6
	s_delay_alu instid0(VALU_DEP_3) | instskip(SKIP_1) | instid1(VALU_DEP_1)
	v_cndmask_b32_e64 v18, 0, v18, s0
	v_cndmask_b32_e64 v17, 0, v17, s0
	v_lshlrev_b64 v[17:18], 2, v[17:18]
	s_delay_alu instid0(VALU_DEP_1) | instskip(NEXT) | instid1(VALU_DEP_2)
	v_add_co_u32 v17, vcc_lo, s12, v17
	v_add_co_ci_u32_e32 v18, vcc_lo, s13, v18, vcc_lo
	s_and_not1_b32 vcc_lo, exec_lo, s19
	global_load_b32 v39, v[17:18], off
	s_cbranch_vccnz .LBB86_5
; %bb.4:                                ;   in Loop: Header=BB86_3 Depth=1
	v_dual_mov_b32 v18, s9 :: v_dual_mov_b32 v17, s8
	v_dual_mov_b32 v20, s7 :: v_dual_mov_b32 v19, s6
	flat_load_b64 v[17:18], v[17:18]
	flat_load_b64 v[23:24], v[19:20]
	s_waitcnt vmcnt(1) lgkmcnt(1)
	v_add_co_u32 v21, vcc_lo, v17, s10
	v_add_co_ci_u32_e32 v22, vcc_lo, s11, v18, vcc_lo
.LBB86_5:                               ;   in Loop: Header=BB86_3 Depth=1
	s_delay_alu instid0(VALU_DEP_1)
	v_alignbit_b32 v20, v22, v21, 2
	v_lshrrev_b32_e32 v19, 2, v22
	s_waitcnt vmcnt(0) lgkmcnt(0)
	v_add_nc_u32_e32 v41, 0xbb67ae85, v24
	v_add_nc_u32_e32 v42, 0x76cf5d0a, v24
	;; [unrolled: 1-line block ×3, first 2 shown]
	v_add_co_u32 v22, vcc_lo, v20, 1
	s_delay_alu instid0(VALU_DEP_1) | instskip(SKIP_4) | instid1(VALU_DEP_4)
	v_cndmask_b32_e64 v17, 0, 1, vcc_lo
	v_add_co_ci_u32_e32 v31, vcc_lo, 0, v19, vcc_lo
	v_xor3_b32 v27, v34, v23, v19
	v_add_nc_u32_e32 v44, 0x32370b8f, v24
	v_add_nc_u32_e32 v45, 0xed9eba14, v24
	v_cmp_eq_u32_e32 vcc_lo, 0, v31
	v_add_nc_u32_e32 v46, 0x1715609d, v23
	v_add_nc_u32_e32 v47, 0xa9066899, v24
	s_mov_b32 s1, exec_lo
	v_dual_cndmask_b32 v25, 0, v17 :: v_dual_add_nc_u32 v40, 0x9e3779b9, v23
	v_mad_u64_u32 v[17:18], null, 0xd2511f53, v22, 0
	s_delay_alu instid0(VALU_DEP_2) | instskip(NEXT) | instid1(VALU_DEP_2)
	v_add_nc_u32_e32 v22, v25, v1
	v_xor_b32_e32 v26, v18, v24
	s_delay_alu instid0(VALU_DEP_2) | instskip(SKIP_2) | instid1(VALU_DEP_1)
	v_cmp_eq_u32_e32 vcc_lo, 0, v22
	v_mad_u64_u32 v[18:19], null, 0xd2511f53, v20, 0
	v_cndmask_b32_e32 v25, 0, v25, vcc_lo
	v_xor_b32_e32 v20, v25, v26
	v_mad_u64_u32 v[25:26], null, 0xd2511f53, v27, 0
	v_mad_u64_u32 v[27:28], null, 0xcd9e8d57, v22, 0
	v_add_nc_u32_e32 v22, 0x3c6ef372, v23
	s_delay_alu instid0(VALU_DEP_4) | instskip(SKIP_2) | instid1(VALU_DEP_2)
	v_mad_u64_u32 v[29:30], null, 0xcd9e8d57, v20, 0
	v_xor_b32_e32 v20, v19, v24
	v_xor3_b32 v32, v41, v26, v18
	v_mad_u64_u32 v[18:19], null, 0xcd9e8d57, v20, 0
	v_xor3_b32 v20, v28, v23, v31
	v_xor3_b32 v28, v40, v30, v27
	s_delay_alu instid0(VALU_DEP_4) | instskip(NEXT) | instid1(VALU_DEP_3)
	v_mad_u64_u32 v[26:27], null, 0xcd9e8d57, v32, 0
	v_mad_u64_u32 v[30:31], null, 0xd2511f53, v20, 0
	s_delay_alu instid0(VALU_DEP_3) | instskip(SKIP_1) | instid1(VALU_DEP_4)
	v_mad_u64_u32 v[32:33], null, 0xd2511f53, v28, 0
	v_xor3_b32 v20, v4, v19, v40
	v_xor3_b32 v40, v22, v27, v18
	s_delay_alu instid0(VALU_DEP_4) | instskip(NEXT) | instid1(VALU_DEP_3)
	v_xor3_b32 v17, v41, v31, v17
	v_mad_u64_u32 v[18:19], null, 0xd2511f53, v20, 0
	v_xor3_b32 v20, v42, v33, v30
	s_delay_alu instid0(VALU_DEP_4) | instskip(NEXT) | instid1(VALU_DEP_4)
	v_mad_u64_u32 v[27:28], null, 0xd2511f53, v40, 0
	v_mad_u64_u32 v[30:31], null, 0xcd9e8d57, v17, 0
	s_delay_alu instid0(VALU_DEP_3) | instskip(SKIP_4) | instid1(VALU_DEP_4)
	v_mad_u64_u32 v[40:41], null, 0xcd9e8d57, v20, 0
	v_xor3_b32 v19, v42, v19, v25
	v_add_nc_u32_e32 v33, 0x78dde6e4, v23
	v_xor3_b32 v25, v44, v28, v18
	v_xor3_b32 v22, v22, v31, v29
	v_mad_u64_u32 v[17:18], null, 0xcd9e8d57, v19, 0
	v_xor3_b32 v41, v43, v41, v30
	s_delay_alu instid0(VALU_DEP_4) | instskip(NEXT) | instid1(VALU_DEP_4)
	v_mad_u64_u32 v[19:20], null, 0xcd9e8d57, v25, 0
	v_mad_u64_u32 v[28:29], null, 0xd2511f53, v22, 0
	s_delay_alu instid0(VALU_DEP_3) | instskip(SKIP_1) | instid1(VALU_DEP_4)
	v_mad_u64_u32 v[30:31], null, 0xd2511f53, v41, 0
	v_xor3_b32 v22, v43, v18, v26
	v_xor3_b32 v20, v33, v20, v17
	s_delay_alu instid0(VALU_DEP_2) | instskip(SKIP_2) | instid1(VALU_DEP_4)
	v_mad_u64_u32 v[17:18], null, 0xd2511f53, v22, 0
	v_xor3_b32 v22, v44, v29, v32
	v_xor3_b32 v28, v45, v31, v28
	v_mad_u64_u32 v[31:32], null, 0xd2511f53, v20, 0
	s_delay_alu instid0(VALU_DEP_3) | instskip(NEXT) | instid1(VALU_DEP_3)
	v_mad_u64_u32 v[25:26], null, 0xcd9e8d57, v22, 0
	v_mad_u64_u32 v[41:42], null, 0xcd9e8d57, v28, 0
	v_xor3_b32 v20, v45, v18, v27
	s_delay_alu instid0(VALU_DEP_4) | instskip(SKIP_2) | instid1(VALU_DEP_4)
	v_xor3_b32 v28, v47, v32, v17
	v_add_nc_u32_e32 v22, 0xb54cda56, v23
	v_add_nc_u32_e32 v27, 0x646e171e, v24
	v_mad_u64_u32 v[17:18], null, 0xcd9e8d57, v20, 0
	v_xor3_b32 v20, v33, v26, v40
	v_xor3_b32 v29, v46, v42, v25
	v_mad_u64_u32 v[42:43], null, 0xcd9e8d57, v28, 0
	v_add_nc_u32_e32 v33, 0x5384540f, v23
	s_delay_alu instid0(VALU_DEP_4) | instskip(NEXT) | instid1(VALU_DEP_4)
	v_mad_u64_u32 v[25:26], null, 0xd2511f53, v20, 0
	v_mad_u64_u32 v[44:45], null, 0xd2511f53, v29, 0
	v_xor3_b32 v19, v46, v18, v19
	v_xor3_b32 v20, v22, v43, v17
	v_add_nc_u32_e32 v46, 0x1fd5c5a3, v24
	v_add_co_u32 v40, null, 0xf1bbcdc8, v23
	v_xor3_b32 v28, v47, v26, v30
	v_xor3_b32 v30, v27, v45, v25
	v_mad_u64_u32 v[17:18], null, 0xd2511f53, v19, 0
	v_mad_u64_u32 v[25:26], null, 0xd2511f53, v20, 0
	s_delay_alu instid0(VALU_DEP_4) | instskip(NEXT) | instid1(VALU_DEP_4)
	v_mad_u64_u32 v[19:20], null, 0xcd9e8d57, v28, 0
	v_mad_u64_u32 v[28:29], null, 0xcd9e8d57, v30, 0
	s_delay_alu instid0(VALU_DEP_4) | instskip(NEXT) | instid1(VALU_DEP_4)
	v_xor3_b32 v27, v27, v18, v31
	v_xor3_b32 v30, v46, v26, v17
	s_delay_alu instid0(VALU_DEP_4) | instskip(NEXT) | instid1(VALU_DEP_3)
	v_xor3_b32 v22, v22, v20, v41
	v_mad_u64_u32 v[17:18], null, 0xcd9e8d57, v27, 0
	v_xor3_b32 v29, v33, v29, v19
	s_delay_alu instid0(VALU_DEP_4) | instskip(NEXT) | instid1(VALU_DEP_4)
	v_mad_u64_u32 v[26:27], null, 0xcd9e8d57, v30, 0
	v_mad_u64_u32 v[19:20], null, 0xd2511f53, v22, 0
	s_delay_alu instid0(VALU_DEP_3)
	v_mad_u64_u32 v[31:32], null, 0xd2511f53, v29, 0
	v_add_nc_u32_e32 v41, 0xdb3d7428, v24
	v_xor3_b32 v18, v33, v18, v42
	v_xor3_b32 v22, v40, v27, v17
	v_add_nc_u32_e32 v42, 0x96a522ad, v24
	v_xor3_b32 v20, v46, v20, v44
	v_and_b32_e32 v24, 3, v21
	v_xor3_b32 v27, v41, v32, v19
	v_mad_u64_u32 v[29:30], null, 0xd2511f53, v18, 0
	v_mad_u64_u32 v[17:18], null, 0xd2511f53, v22, 0
	;; [unrolled: 1-line block ×3, first 2 shown]
	s_delay_alu instid0(VALU_DEP_4) | instskip(SKIP_1) | instid1(VALU_DEP_4)
	v_mad_u64_u32 v[19:20], null, 0xcd9e8d57, v27, 0
	v_add_nc_u32_e32 v27, 0x8ff34781, v23
                                        ; implicit-def: $vgpr22
	v_xor3_b32 v23, v18, v29, v42
	s_delay_alu instid0(VALU_DEP_2)
	v_xor3_b32 v18, v20, v32, v27
	v_cmpx_lt_i32_e32 1, v24
	s_xor_b32 s1, exec_lo, s1
	s_cbranch_execz .LBB86_11
; %bb.6:                                ;   in Loop: Header=BB86_3 Depth=1
	s_mov_b32 s34, exec_lo
                                        ; implicit-def: $vgpr22
	v_cmpx_lt_i32_e32 2, v24
	s_xor_b32 s34, exec_lo, s34
; %bb.7:                                ;   in Loop: Header=BB86_3 Depth=1
	v_xor3_b32 v20, v40, v33, v28
                                        ; implicit-def: $vgpr23
	s_delay_alu instid0(VALU_DEP_1) | instskip(NEXT) | instid1(VALU_DEP_1)
	v_mul_hi_u32 v20, 0xd2511f53, v20
	v_xor3_b32 v22, v20, v31, v42
; %bb.8:                                ;   in Loop: Header=BB86_3 Depth=1
	s_and_not1_saveexec_b32 s34, s34
; %bb.9:                                ;   in Loop: Header=BB86_3 Depth=1
	v_dual_mov_b32 v22, v19 :: v_dual_mov_b32 v19, v18
	v_dual_mov_b32 v18, v17 :: v_dual_mov_b32 v17, v23
; %bb.10:                               ;   in Loop: Header=BB86_3 Depth=1
	s_or_b32 exec_lo, exec_lo, s34
                                        ; implicit-def: $vgpr25_vgpr26
                                        ; implicit-def: $vgpr24
                                        ; implicit-def: $vgpr23
                                        ; implicit-def: $vgpr41
                                        ; implicit-def: $vgpr29_vgpr30
                                        ; implicit-def: $vgpr26_vgpr27
                                        ; implicit-def: $vgpr27
.LBB86_11:                              ;   in Loop: Header=BB86_3 Depth=1
	s_and_not1_saveexec_b32 s1, s1
	s_cbranch_execz .LBB86_15
; %bb.12:                               ;   in Loop: Header=BB86_3 Depth=1
	v_xor3_b32 v19, v41, v30, v25
	v_cmp_eq_u32_e32 vcc_lo, 1, v24
	v_mov_b32_e32 v22, v17
	s_delay_alu instid0(VALU_DEP_3) | instskip(SKIP_1) | instid1(VALU_DEP_2)
	v_mad_u64_u32 v[20:21], null, 0xcd9e8d57, v19, 0
	v_mov_b32_e32 v19, v23
	v_xor3_b32 v24, v21, v26, v27
	s_delay_alu instid0(VALU_DEP_3)
	v_mov_b32_e32 v21, v20
	s_and_saveexec_b32 s34, vcc_lo
; %bb.13:                               ;   in Loop: Header=BB86_3 Depth=1
	v_dual_mov_b32 v22, v18 :: v_dual_mov_b32 v19, v17
	v_dual_mov_b32 v21, v23 :: v_dual_mov_b32 v24, v20
; %bb.14:                               ;   in Loop: Header=BB86_3 Depth=1
	s_or_b32 exec_lo, exec_lo, s34
	s_delay_alu instid0(VALU_DEP_1)
	v_dual_mov_b32 v17, v24 :: v_dual_mov_b32 v18, v21
.LBB86_15:                              ;   in Loop: Header=BB86_3 Depth=1
	s_or_b32 exec_lo, exec_lo, s1
	v_min_i32_e32 v20, 4, v0
	s_mov_b32 s34, 0
	s_mov_b32 s1, 0
	s_mov_b32 s38, exec_lo
                                        ; implicit-def: $sgpr35
                                        ; implicit-def: $sgpr36
                                        ; implicit-def: $sgpr37
	s_delay_alu instid0(VALU_DEP_1)
	v_cmpx_lt_i32_e32 2, v20
	s_xor_b32 s38, exec_lo, s38
	s_cbranch_execz .LBB86_25
; %bb.16:                               ;   in Loop: Header=BB86_3 Depth=1
	s_mov_b32 s1, -1
	s_mov_b32 s36, exec_lo
                                        ; implicit-def: $sgpr35
                                        ; implicit-def: $sgpr39
	v_cmpx_lt_i32_e32 3, v20
	s_cbranch_execz .LBB86_20
; %bb.17:                               ;   in Loop: Header=BB86_3 Depth=1
	v_cmp_le_f32_e32 vcc_lo, 0, v39
	v_cmp_ge_f32_e64 s1, 1.0, v39
	s_mov_b32 s35, 0
	s_delay_alu instid0(VALU_DEP_1)
	s_and_b32 s39, vcc_lo, s1
	s_mov_b32 s1, 0
	s_and_saveexec_b32 s37, s39
	s_cbranch_execz .LBB86_19
; %bb.18:                               ;   in Loop: Header=BB86_3 Depth=1
	v_add_co_u32 v21, vcc_lo, v11, s16
	v_add_co_ci_u32_e32 v23, vcc_lo, s17, v12, vcc_lo
	v_cvt_f32_u32_e32 v25, v22
	s_mov_b32 s1, exec_lo
	s_delay_alu instid0(VALU_DEP_2) | instskip(SKIP_1) | instid1(VALU_DEP_1)
	v_cndmask_b32_e64 v24, 0, v23, s0
	v_cndmask_b32_e64 v23, 0, v21, s0
	v_lshlrev_b64 v[21:22], 2, v[23:24]
	v_fmaak_f32 v23, 0x2f800000, v25, 0x2f800000
	s_delay_alu instid0(VALU_DEP_2) | instskip(NEXT) | instid1(VALU_DEP_3)
	v_add_co_u32 v21, vcc_lo, s2, v21
	v_add_co_ci_u32_e32 v22, vcc_lo, s3, v22, vcc_lo
	s_delay_alu instid0(VALU_DEP_3)
	v_cmp_le_f32_e32 vcc_lo, v23, v39
	v_cndmask_b32_e64 v23, 0, 1.0, vcc_lo
	global_store_b32 v[21:22], v23, off
.LBB86_19:                              ;   in Loop: Header=BB86_3 Depth=1
	s_or_b32 exec_lo, exec_lo, s37
	s_mov_b32 s39, -1
	s_or_not1_b32 s1, s1, exec_lo
.LBB86_20:                              ;   in Loop: Header=BB86_3 Depth=1
	s_or_b32 exec_lo, exec_lo, s36
	s_mov_b32 s0, 0
	s_mov_b32 s37, s35
	s_and_saveexec_b32 s36, s1
	s_cbranch_execz .LBB86_24
; %bb.21:                               ;   in Loop: Header=BB86_3 Depth=1
	v_add_co_u32 v21, vcc_lo, v13, s14
	v_add_co_ci_u32_e32 v22, vcc_lo, s15, v14, vcc_lo
	v_cmp_lt_i32_e32 vcc_lo, 2, v0
	s_delay_alu instid0(VALU_DEP_2) | instskip(NEXT) | instid1(VALU_DEP_1)
	v_dual_cndmask_b32 v22, 0, v22 :: v_dual_cndmask_b32 v21, 0, v21
	v_lshlrev_b64 v[21:22], 2, v[21:22]
	s_delay_alu instid0(VALU_DEP_1) | instskip(NEXT) | instid1(VALU_DEP_1)
	v_add_co_u32 v21, s0, s12, v21
	v_add_co_ci_u32_e64 v22, s0, s13, v22, s0
	global_load_b32 v21, v[21:22], off
	s_waitcnt vmcnt(0)
	v_cmp_le_f32_e64 s0, 0, v21
	v_cmp_ge_f32_e64 s1, 1.0, v21
	s_delay_alu instid0(VALU_DEP_1) | instskip(SKIP_2) | instid1(SALU_CYCLE_1)
	s_and_b32 s0, s0, s1
	s_mov_b32 s1, 0
	s_and_saveexec_b32 s37, s0
	s_xor_b32 s37, exec_lo, s37
	s_cbranch_execz .LBB86_23
; %bb.22:                               ;   in Loop: Header=BB86_3 Depth=1
	v_add_co_u32 v22, s0, v7, s16
	s_delay_alu instid0(VALU_DEP_1) | instskip(SKIP_2) | instid1(VALU_DEP_2)
	v_add_co_ci_u32_e64 v23, s0, s17, v8, s0
	v_cvt_f32_u32_e32 v19, v19
	s_mov_b32 s1, exec_lo
	v_dual_cndmask_b32 v22, 0, v22 :: v_dual_cndmask_b32 v23, 0, v23
	s_delay_alu instid0(VALU_DEP_2) | instskip(NEXT) | instid1(VALU_DEP_2)
	v_fmaak_f32 v19, 0x2f800000, v19, 0x2f800000
	v_lshlrev_b64 v[22:23], 2, v[22:23]
	s_delay_alu instid0(VALU_DEP_1) | instskip(NEXT) | instid1(VALU_DEP_2)
	v_add_co_u32 v22, vcc_lo, s2, v22
	v_add_co_ci_u32_e32 v23, vcc_lo, s3, v23, vcc_lo
	s_delay_alu instid0(VALU_DEP_4)
	v_cmp_le_f32_e32 vcc_lo, v19, v21
	v_cndmask_b32_e64 v19, 0, 1.0, vcc_lo
	global_store_b32 v[22:23], v19, off
.LBB86_23:                              ;   in Loop: Header=BB86_3 Depth=1
	s_or_b32 exec_lo, exec_lo, s37
	s_delay_alu instid0(SALU_CYCLE_1)
	s_and_not1_b32 s37, s35, exec_lo
	s_or_b32 s35, s35, exec_lo
	s_and_not1_b32 s39, s39, exec_lo
	s_and_b32 s0, s1, exec_lo
.LBB86_24:                              ;   in Loop: Header=BB86_3 Depth=1
	s_or_b32 exec_lo, exec_lo, s36
	s_delay_alu instid0(SALU_CYCLE_1)
	s_and_b32 s37, s37, exec_lo
	s_and_b32 s36, s35, exec_lo
	;; [unrolled: 1-line block ×4, first 2 shown]
.LBB86_25:                              ;   in Loop: Header=BB86_3 Depth=1
	s_and_not1_saveexec_b32 s0, s38
; %bb.26:                               ;   in Loop: Header=BB86_3 Depth=1
	v_cmp_lt_i32_e32 vcc_lo, 1, v20
	s_and_not1_b32 s1, s1, exec_lo
	s_mov_b32 s34, exec_lo
	s_and_not1_b32 s37, s37, exec_lo
	s_and_not1_b32 s36, s36, exec_lo
	s_and_b32 s38, vcc_lo, exec_lo
	s_and_not1_b32 s35, s35, exec_lo
	s_or_b32 s1, s1, s38
; %bb.27:                               ;   in Loop: Header=BB86_3 Depth=1
	s_or_b32 exec_lo, exec_lo, s0
	s_mov_b32 s38, 0
	s_mov_b32 s0, 0
	s_mov_b32 s39, s37
	s_and_saveexec_b32 s40, s1
	s_cbranch_execnz .LBB86_30
; %bb.28:                               ;   in Loop: Header=BB86_3 Depth=1
	s_or_b32 exec_lo, exec_lo, s40
	s_and_saveexec_b32 s1, s34
	s_cbranch_execnz .LBB86_33
.LBB86_29:                              ;   in Loop: Header=BB86_3 Depth=1
	s_or_b32 exec_lo, exec_lo, s1
	s_and_saveexec_b32 s34, s0
	s_cbranch_execnz .LBB86_34
	s_branch .LBB86_37
.LBB86_30:                              ;   in Loop: Header=BB86_3 Depth=1
	v_add_co_u32 v19, vcc_lo, v37, s14
	v_add_co_ci_u32_e32 v21, vcc_lo, s15, v38, vcc_lo
	v_cmp_lt_i32_e32 vcc_lo, 1, v0
	s_delay_alu instid0(VALU_DEP_2) | instskip(NEXT) | instid1(VALU_DEP_1)
	v_dual_cndmask_b32 v22, 0, v21 :: v_dual_cndmask_b32 v21, 0, v19
	v_lshlrev_b64 v[21:22], 2, v[21:22]
	s_delay_alu instid0(VALU_DEP_1) | instskip(NEXT) | instid1(VALU_DEP_1)
	v_add_co_u32 v21, s0, s12, v21
	v_add_co_ci_u32_e64 v22, s0, s13, v22, s0
	global_load_b32 v19, v[21:22], off
	s_waitcnt vmcnt(0)
	v_cmp_le_f32_e64 s0, 0, v19
	v_cmp_ge_f32_e64 s1, 1.0, v19
	s_delay_alu instid0(VALU_DEP_1) | instskip(SKIP_2) | instid1(SALU_CYCLE_1)
	s_and_b32 s0, s0, s1
	s_mov_b32 s1, 0
	s_and_saveexec_b32 s39, s0
	s_xor_b32 s39, exec_lo, s39
	s_cbranch_execz .LBB86_32
; %bb.31:                               ;   in Loop: Header=BB86_3 Depth=1
	v_add_co_u32 v21, s0, v10, s16
	s_delay_alu instid0(VALU_DEP_1) | instskip(SKIP_2) | instid1(VALU_DEP_2)
	v_add_co_ci_u32_e64 v22, s0, s17, v35, s0
	v_cvt_f32_u32_e32 v18, v18
	s_mov_b32 s1, exec_lo
	v_dual_cndmask_b32 v21, 0, v21 :: v_dual_cndmask_b32 v22, 0, v22
	s_delay_alu instid0(VALU_DEP_2) | instskip(NEXT) | instid1(VALU_DEP_2)
	v_fmaak_f32 v18, 0x2f800000, v18, 0x2f800000
	v_lshlrev_b64 v[21:22], 2, v[21:22]
	s_delay_alu instid0(VALU_DEP_1) | instskip(NEXT) | instid1(VALU_DEP_2)
	v_add_co_u32 v21, vcc_lo, s2, v21
	v_add_co_ci_u32_e32 v22, vcc_lo, s3, v22, vcc_lo
	s_delay_alu instid0(VALU_DEP_4)
	v_cmp_le_f32_e32 vcc_lo, v18, v19
	v_cndmask_b32_e64 v18, 0, 1.0, vcc_lo
	global_store_b32 v[21:22], v18, off
.LBB86_32:                              ;   in Loop: Header=BB86_3 Depth=1
	s_or_b32 exec_lo, exec_lo, s39
	s_delay_alu instid0(SALU_CYCLE_1)
	s_and_not1_b32 s39, s37, exec_lo
	s_or_b32 s37, s37, exec_lo
	s_and_not1_b32 s36, s36, exec_lo
	s_and_not1_b32 s35, s35, exec_lo
	s_and_b32 s0, s1, exec_lo
	s_and_not1_b32 s34, s34, exec_lo
	s_or_b32 exec_lo, exec_lo, s40
	s_and_saveexec_b32 s1, s34
	s_cbranch_execz .LBB86_29
.LBB86_33:                              ;   in Loop: Header=BB86_3 Depth=1
	v_cmp_eq_u32_e32 vcc_lo, 1, v20
	s_and_not1_b32 s0, s0, exec_lo
	s_mov_b32 s38, exec_lo
	s_and_not1_b32 s39, s39, exec_lo
	s_and_not1_b32 s37, s37, exec_lo
	s_and_b32 s34, vcc_lo, exec_lo
	s_and_not1_b32 s36, s36, exec_lo
	s_and_not1_b32 s35, s35, exec_lo
	s_or_b32 s0, s0, s34
	s_or_b32 exec_lo, exec_lo, s1
	s_and_saveexec_b32 s34, s0
	s_cbranch_execz .LBB86_37
.LBB86_34:                              ;   in Loop: Header=BB86_3 Depth=1
	v_add_co_u32 v18, vcc_lo, v9, s14
	v_add_co_ci_u32_e32 v19, vcc_lo, s15, v36, vcc_lo
	v_cmp_lt_i32_e32 vcc_lo, 0, v0
	s_delay_alu instid0(VALU_DEP_2) | instskip(NEXT) | instid1(VALU_DEP_1)
	v_dual_cndmask_b32 v19, 0, v19 :: v_dual_cndmask_b32 v18, 0, v18
	v_lshlrev_b64 v[18:19], 2, v[18:19]
	s_delay_alu instid0(VALU_DEP_1) | instskip(NEXT) | instid1(VALU_DEP_1)
	v_add_co_u32 v18, s0, s12, v18
	v_add_co_ci_u32_e64 v19, s0, s13, v19, s0
	global_load_b32 v18, v[18:19], off
	s_waitcnt vmcnt(0)
	v_cmp_le_f32_e64 s0, 0, v18
	v_cmp_ge_f32_e64 s1, 1.0, v18
	s_delay_alu instid0(VALU_DEP_1)
	s_and_b32 s0, s0, s1
	s_mov_b32 s1, 0
	s_and_saveexec_b32 s40, s0
	s_cbranch_execz .LBB86_36
; %bb.35:                               ;   in Loop: Header=BB86_3 Depth=1
	v_add_co_u32 v19, s0, v5, s16
	s_delay_alu instid0(VALU_DEP_1) | instskip(SKIP_2) | instid1(VALU_DEP_2)
	v_add_co_ci_u32_e64 v20, s0, s17, v6, s0
	v_cvt_f32_u32_e32 v17, v17
	s_mov_b32 s1, exec_lo
	v_dual_cndmask_b32 v19, 0, v19 :: v_dual_cndmask_b32 v20, 0, v20
	s_delay_alu instid0(VALU_DEP_2) | instskip(NEXT) | instid1(VALU_DEP_2)
	v_fmaak_f32 v17, 0x2f800000, v17, 0x2f800000
	v_lshlrev_b64 v[19:20], 2, v[19:20]
	s_delay_alu instid0(VALU_DEP_1) | instskip(NEXT) | instid1(VALU_DEP_2)
	v_add_co_u32 v19, vcc_lo, s2, v19
	v_add_co_ci_u32_e32 v20, vcc_lo, s3, v20, vcc_lo
	s_delay_alu instid0(VALU_DEP_4)
	v_cmp_le_f32_e32 vcc_lo, v17, v18
	v_cndmask_b32_e64 v17, 0, 1.0, vcc_lo
	global_store_b32 v[19:20], v17, off
.LBB86_36:                              ;   in Loop: Header=BB86_3 Depth=1
	s_or_b32 exec_lo, exec_lo, s40
	s_delay_alu instid0(SALU_CYCLE_1)
	s_and_not1_b32 s0, s38, exec_lo
	s_and_b32 s1, s1, exec_lo
	s_or_b32 s39, s39, exec_lo
	s_and_not1_b32 s37, s37, exec_lo
	s_and_not1_b32 s36, s36, exec_lo
	;; [unrolled: 1-line block ×3, first 2 shown]
	s_or_b32 s38, s0, s1
.LBB86_37:                              ;   in Loop: Header=BB86_3 Depth=1
	s_or_b32 exec_lo, exec_lo, s34
	s_delay_alu instid0(SALU_CYCLE_1)
	s_and_not1_b32 s1, s33, exec_lo
	s_and_b32 s33, s39, exec_lo
	s_and_not1_b32 s30, s30, exec_lo
	s_and_b32 s34, s37, exec_lo
	s_or_b32 s33, s1, s33
	s_or_b32 s30, s30, s34
	s_and_not1_b32 s1, s31, exec_lo
	s_and_b32 s31, s36, exec_lo
	s_and_not1_b32 s29, s29, exec_lo
	s_and_b32 s34, s35, exec_lo
	s_mov_b32 s0, -1
	s_or_b32 s31, s1, s31
	s_or_b32 s29, s29, s34
	s_and_saveexec_b32 s1, s38
	s_cbranch_execz .LBB86_2
; %bb.38:                               ;   in Loop: Header=BB86_3 Depth=1
	v_add_co_u32 v2, vcc_lo, v2, s20
	v_add_co_ci_u32_e32 v3, vcc_lo, 0, v3, vcc_lo
	v_subrev_nc_u32_e32 v0, s20, v0
	s_add_u32 s16, s16, s22
	s_addc_u32 s17, s17, s21
	s_delay_alu instid0(VALU_DEP_2)
	v_cmp_le_u64_e32 vcc_lo, s[4:5], v[2:3]
	s_add_u32 s14, s14, s25
	s_addc_u32 s15, s15, s24
	s_and_not1_b32 s33, s33, exec_lo
	s_and_not1_b32 s30, s30, exec_lo
	;; [unrolled: 1-line block ×4, first 2 shown]
	s_or_not1_b32 s0, vcc_lo, exec_lo
	s_branch .LBB86_2
.LBB86_39:
	s_or_b32 exec_lo, exec_lo, s18
	s_xor_b32 s3, s27, -1
	s_xor_b32 s4, s28, -1
	s_xor_b32 s0, s26, -1
	s_mov_b32 s1, 0
	s_and_saveexec_b32 s2, s0
	s_delay_alu instid0(SALU_CYCLE_1)
	s_xor_b32 s0, exec_lo, s2
	s_cbranch_execz .LBB86_48
; %bb.40:
	s_mov_b32 s2, 0
	s_and_saveexec_b32 s1, s4
	s_delay_alu instid0(SALU_CYCLE_1)
	s_xor_b32 s1, exec_lo, s1
	s_cbranch_execz .LBB86_46
; %bb.41:
	s_and_saveexec_b32 s4, s3
	s_delay_alu instid0(SALU_CYCLE_1)
	s_xor_b32 s3, exec_lo, s4
	s_cbranch_execz .LBB86_44
; %bb.42:
	s_and_saveexec_b32 s4, s23
	s_delay_alu instid0(SALU_CYCLE_1)
	s_xor_b32 s4, exec_lo, s4
	s_cbranch_execnz .LBB86_62
.LBB86_43:
	s_or_b32 exec_lo, exec_lo, s4
	s_delay_alu instid0(SALU_CYCLE_1)
	s_and_b32 s2, s2, exec_lo
.LBB86_44:
	s_and_not1_saveexec_b32 s3, s3
	s_cbranch_execnz .LBB86_58
.LBB86_45:
	s_or_b32 exec_lo, exec_lo, s3
	s_delay_alu instid0(SALU_CYCLE_1)
	s_and_b32 s2, s2, exec_lo
.LBB86_46:
	s_and_not1_saveexec_b32 s1, s1
	s_cbranch_execnz .LBB86_54
.LBB86_47:
	s_or_b32 exec_lo, exec_lo, s1
	s_delay_alu instid0(SALU_CYCLE_1)
	s_and_b32 s1, s2, exec_lo
.LBB86_48:
	s_and_not1_saveexec_b32 s0, s0
	s_cbranch_execnz .LBB86_52
; %bb.49:
	s_or_b32 exec_lo, exec_lo, s0
	s_delay_alu instid0(SALU_CYCLE_1)
	s_and_b32 exec_lo, exec_lo, s1
.LBB86_50:
	; divergent unreachable
.LBB86_51:
	s_nop 0
	s_sendmsg sendmsg(MSG_DEALLOC_VGPRS)
	s_endpgm
.LBB86_52:
	s_cbranch_execnz .LBB86_56
; %bb.53:
	s_or_b32 s1, s1, exec_lo
	s_or_b32 exec_lo, exec_lo, s0
	s_delay_alu instid0(SALU_CYCLE_1)
	s_and_b32 exec_lo, exec_lo, s1
	s_cbranch_execnz .LBB86_50
	s_branch .LBB86_51
.LBB86_54:
	s_cbranch_execnz .LBB86_60
; %bb.55:
	s_or_b32 s2, s2, exec_lo
	s_branch .LBB86_47
.LBB86_56:
	s_trap 2
	s_sendmsg_rtn_b32 s0, sendmsg(MSG_RTN_GET_DOORBELL)
	s_mov_b32 ttmp2, m0
	s_waitcnt lgkmcnt(0)
	s_and_b32 s0, s0, 0x3ff
	s_delay_alu instid0(SALU_CYCLE_1) | instskip(NEXT) | instid1(SALU_CYCLE_1)
	s_bitset1_b32 s0, 10
	s_mov_b32 m0, s0
	s_sendmsg sendmsg(MSG_INTERRUPT)
	s_mov_b32 m0, ttmp2
.LBB86_57:                              ; =>This Inner Loop Header: Depth=1
	s_sethalt 5
	s_branch .LBB86_57
.LBB86_58:
	s_cbranch_execnz .LBB86_64
; %bb.59:
	s_or_b32 s2, s2, exec_lo
	s_branch .LBB86_45
.LBB86_60:
	s_trap 2
	s_sendmsg_rtn_b32 s0, sendmsg(MSG_RTN_GET_DOORBELL)
	s_mov_b32 ttmp2, m0
	s_waitcnt lgkmcnt(0)
	s_and_b32 s0, s0, 0x3ff
	s_delay_alu instid0(SALU_CYCLE_1) | instskip(NEXT) | instid1(SALU_CYCLE_1)
	s_bitset1_b32 s0, 10
	s_mov_b32 m0, s0
	s_sendmsg sendmsg(MSG_INTERRUPT)
	s_mov_b32 m0, ttmp2
.LBB86_61:                              ; =>This Inner Loop Header: Depth=1
	s_sethalt 5
	s_branch .LBB86_61
.LBB86_62:
	s_cbranch_execnz .LBB86_66
; %bb.63:
	s_mov_b32 s2, exec_lo
	s_branch .LBB86_43
.LBB86_64:
	s_trap 2
	s_sendmsg_rtn_b32 s0, sendmsg(MSG_RTN_GET_DOORBELL)
	s_mov_b32 ttmp2, m0
	s_waitcnt lgkmcnt(0)
	s_and_b32 s0, s0, 0x3ff
	s_delay_alu instid0(SALU_CYCLE_1) | instskip(NEXT) | instid1(SALU_CYCLE_1)
	s_bitset1_b32 s0, 10
	s_mov_b32 m0, s0
	s_sendmsg sendmsg(MSG_INTERRUPT)
	s_mov_b32 m0, ttmp2
.LBB86_65:                              ; =>This Inner Loop Header: Depth=1
	s_sethalt 5
	s_branch .LBB86_65
.LBB86_66:
	s_trap 2
	s_sendmsg_rtn_b32 s0, sendmsg(MSG_RTN_GET_DOORBELL)
	s_mov_b32 ttmp2, m0
	s_waitcnt lgkmcnt(0)
	s_and_b32 s0, s0, 0x3ff
	s_delay_alu instid0(SALU_CYCLE_1) | instskip(NEXT) | instid1(SALU_CYCLE_1)
	s_bitset1_b32 s0, 10
	s_mov_b32 m0, s0
	s_sendmsg sendmsg(MSG_INTERRUPT)
	s_mov_b32 m0, ttmp2
.LBB86_67:                              ; =>This Inner Loop Header: Depth=1
	s_sethalt 5
	s_branch .LBB86_67
	.section	.rodata,"a",@progbits
	.p2align	6, 0x0
	.amdhsa_kernel _ZN2at4cuda12_GLOBAL__N_121kernelPointwiseApply2IZNS_6native9templates4cuda28bernoulli_tensor_cuda_kernelIffEEvRKNS_10TensorBaseES9_NS_15PhiloxCudaStateEEUliRfSB_SB_SB_RKfSD_SD_SD_E_fSC_mLi1ELi1ELi4ELi512ELi2EEEvNS0_6detail10TensorInfoIT0_T2_EENSG_IT1_SI_EESI_T_
		.amdhsa_group_segment_fixed_size 0
		.amdhsa_private_segment_fixed_size 0
		.amdhsa_kernarg_size 1128
		.amdhsa_user_sgpr_count 15
		.amdhsa_user_sgpr_dispatch_ptr 0
		.amdhsa_user_sgpr_queue_ptr 0
		.amdhsa_user_sgpr_kernarg_segment_ptr 1
		.amdhsa_user_sgpr_dispatch_id 0
		.amdhsa_user_sgpr_private_segment_size 0
		.amdhsa_wavefront_size32 1
		.amdhsa_uses_dynamic_stack 0
		.amdhsa_enable_private_segment 0
		.amdhsa_system_sgpr_workgroup_id_x 1
		.amdhsa_system_sgpr_workgroup_id_y 0
		.amdhsa_system_sgpr_workgroup_id_z 0
		.amdhsa_system_sgpr_workgroup_info 0
		.amdhsa_system_vgpr_workitem_id 0
		.amdhsa_next_free_vgpr 48
		.amdhsa_next_free_sgpr 41
		.amdhsa_reserve_vcc 1
		.amdhsa_float_round_mode_32 0
		.amdhsa_float_round_mode_16_64 0
		.amdhsa_float_denorm_mode_32 3
		.amdhsa_float_denorm_mode_16_64 3
		.amdhsa_dx10_clamp 1
		.amdhsa_ieee_mode 1
		.amdhsa_fp16_overflow 0
		.amdhsa_workgroup_processor_mode 1
		.amdhsa_memory_ordered 1
		.amdhsa_forward_progress 0
		.amdhsa_shared_vgpr_count 0
		.amdhsa_exception_fp_ieee_invalid_op 0
		.amdhsa_exception_fp_denorm_src 0
		.amdhsa_exception_fp_ieee_div_zero 0
		.amdhsa_exception_fp_ieee_overflow 0
		.amdhsa_exception_fp_ieee_underflow 0
		.amdhsa_exception_fp_ieee_inexact 0
		.amdhsa_exception_int_div_zero 0
	.end_amdhsa_kernel
	.section	.text._ZN2at4cuda12_GLOBAL__N_121kernelPointwiseApply2IZNS_6native9templates4cuda28bernoulli_tensor_cuda_kernelIffEEvRKNS_10TensorBaseES9_NS_15PhiloxCudaStateEEUliRfSB_SB_SB_RKfSD_SD_SD_E_fSC_mLi1ELi1ELi4ELi512ELi2EEEvNS0_6detail10TensorInfoIT0_T2_EENSG_IT1_SI_EESI_T_,"axG",@progbits,_ZN2at4cuda12_GLOBAL__N_121kernelPointwiseApply2IZNS_6native9templates4cuda28bernoulli_tensor_cuda_kernelIffEEvRKNS_10TensorBaseES9_NS_15PhiloxCudaStateEEUliRfSB_SB_SB_RKfSD_SD_SD_E_fSC_mLi1ELi1ELi4ELi512ELi2EEEvNS0_6detail10TensorInfoIT0_T2_EENSG_IT1_SI_EESI_T_,comdat
.Lfunc_end86:
	.size	_ZN2at4cuda12_GLOBAL__N_121kernelPointwiseApply2IZNS_6native9templates4cuda28bernoulli_tensor_cuda_kernelIffEEvRKNS_10TensorBaseES9_NS_15PhiloxCudaStateEEUliRfSB_SB_SB_RKfSD_SD_SD_E_fSC_mLi1ELi1ELi4ELi512ELi2EEEvNS0_6detail10TensorInfoIT0_T2_EENSG_IT1_SI_EESI_T_, .Lfunc_end86-_ZN2at4cuda12_GLOBAL__N_121kernelPointwiseApply2IZNS_6native9templates4cuda28bernoulli_tensor_cuda_kernelIffEEvRKNS_10TensorBaseES9_NS_15PhiloxCudaStateEEUliRfSB_SB_SB_RKfSD_SD_SD_E_fSC_mLi1ELi1ELi4ELi512ELi2EEEvNS0_6detail10TensorInfoIT0_T2_EENSG_IT1_SI_EESI_T_
                                        ; -- End function
	.section	.AMDGPU.csdata,"",@progbits
; Kernel info:
; codeLenInByte = 3536
; NumSgprs: 43
; NumVgprs: 48
; ScratchSize: 0
; MemoryBound: 0
; FloatMode: 240
; IeeeMode: 1
; LDSByteSize: 0 bytes/workgroup (compile time only)
; SGPRBlocks: 5
; VGPRBlocks: 5
; NumSGPRsForWavesPerEU: 43
; NumVGPRsForWavesPerEU: 48
; Occupancy: 16
; WaveLimiterHint : 1
; COMPUTE_PGM_RSRC2:SCRATCH_EN: 0
; COMPUTE_PGM_RSRC2:USER_SGPR: 15
; COMPUTE_PGM_RSRC2:TRAP_HANDLER: 0
; COMPUTE_PGM_RSRC2:TGID_X_EN: 1
; COMPUTE_PGM_RSRC2:TGID_Y_EN: 0
; COMPUTE_PGM_RSRC2:TGID_Z_EN: 0
; COMPUTE_PGM_RSRC2:TIDIG_COMP_CNT: 0
	.section	.text._ZN2at4cuda12_GLOBAL__N_121kernelPointwiseApply2IZNS_6native9templates4cuda28bernoulli_tensor_cuda_kernelIffEEvRKNS_10TensorBaseES9_NS_15PhiloxCudaStateEEUliRfSB_SB_SB_RKfSD_SD_SD_E_fSC_mLin1ELin1ELi4ELi512ELi2EEEvNS0_6detail10TensorInfoIT0_T2_EENSG_IT1_SI_EESI_T_,"axG",@progbits,_ZN2at4cuda12_GLOBAL__N_121kernelPointwiseApply2IZNS_6native9templates4cuda28bernoulli_tensor_cuda_kernelIffEEvRKNS_10TensorBaseES9_NS_15PhiloxCudaStateEEUliRfSB_SB_SB_RKfSD_SD_SD_E_fSC_mLin1ELin1ELi4ELi512ELi2EEEvNS0_6detail10TensorInfoIT0_T2_EENSG_IT1_SI_EESI_T_,comdat
	.globl	_ZN2at4cuda12_GLOBAL__N_121kernelPointwiseApply2IZNS_6native9templates4cuda28bernoulli_tensor_cuda_kernelIffEEvRKNS_10TensorBaseES9_NS_15PhiloxCudaStateEEUliRfSB_SB_SB_RKfSD_SD_SD_E_fSC_mLin1ELin1ELi4ELi512ELi2EEEvNS0_6detail10TensorInfoIT0_T2_EENSG_IT1_SI_EESI_T_ ; -- Begin function _ZN2at4cuda12_GLOBAL__N_121kernelPointwiseApply2IZNS_6native9templates4cuda28bernoulli_tensor_cuda_kernelIffEEvRKNS_10TensorBaseES9_NS_15PhiloxCudaStateEEUliRfSB_SB_SB_RKfSD_SD_SD_E_fSC_mLin1ELin1ELi4ELi512ELi2EEEvNS0_6detail10TensorInfoIT0_T2_EENSG_IT1_SI_EESI_T_
	.p2align	8
	.type	_ZN2at4cuda12_GLOBAL__N_121kernelPointwiseApply2IZNS_6native9templates4cuda28bernoulli_tensor_cuda_kernelIffEEvRKNS_10TensorBaseES9_NS_15PhiloxCudaStateEEUliRfSB_SB_SB_RKfSD_SD_SD_E_fSC_mLin1ELin1ELi4ELi512ELi2EEEvNS0_6detail10TensorInfoIT0_T2_EENSG_IT1_SI_EESI_T_,@function
_ZN2at4cuda12_GLOBAL__N_121kernelPointwiseApply2IZNS_6native9templates4cuda28bernoulli_tensor_cuda_kernelIffEEvRKNS_10TensorBaseES9_NS_15PhiloxCudaStateEEUliRfSB_SB_SB_RKfSD_SD_SD_E_fSC_mLin1ELin1ELi4ELi512ELi2EEEvNS0_6detail10TensorInfoIT0_T2_EENSG_IT1_SI_EESI_T_: ; @_ZN2at4cuda12_GLOBAL__N_121kernelPointwiseApply2IZNS_6native9templates4cuda28bernoulli_tensor_cuda_kernelIffEEvRKNS_10TensorBaseES9_NS_15PhiloxCudaStateEEUliRfSB_SB_SB_RKfSD_SD_SD_E_fSC_mLin1ELin1ELi4ELi512ELi2EEEvNS0_6detail10TensorInfoIT0_T2_EENSG_IT1_SI_EESI_T_
; %bb.0:
	s_clause 0x1
	s_load_b32 s12, s[0:1], 0x374
	s_load_b256 s[4:11], s[0:1], 0x340
	s_add_u32 s2, s0, 0x368
	s_addc_u32 s3, s1, 0
	s_waitcnt lgkmcnt(0)
	s_and_b32 s18, s12, 0xffff
	s_mov_b32 s12, exec_lo
	v_mad_u64_u32 v[1:2], null, s15, s18, v[0:1]
	v_mov_b32_e32 v2, 0
	s_delay_alu instid0(VALU_DEP_1) | instskip(NEXT) | instid1(VALU_DEP_1)
	v_dual_mov_b32 v5, v2 :: v_dual_lshlrev_b32 v4, 2, v1
	v_cmpx_gt_u64_e64 s[4:5], v[4:5]
	s_cbranch_execz .LBB87_122
; %bb.1:
	s_clause 0x2
	s_load_b32 s22, s[0:1], 0x198
	s_load_b32 s23, s[0:1], 0x338
	;; [unrolled: 1-line block ×4, first 2 shown]
	s_add_u32 s24, s0, 0x1a0
	s_addc_u32 s25, s1, 0
	s_clause 0x3
	s_load_b64 s[2:3], s[0:1], 0x270
	s_load_b64 s[12:13], s[0:1], 0x1a0
	;; [unrolled: 1-line block ×4, first 2 shown]
	s_mov_b32 s19, 0
	v_mad_u64_u32 v[6:7], null, 0xcd9e8d57, v1, 0
                                        ; implicit-def: $sgpr35
                                        ; implicit-def: $sgpr37
                                        ; implicit-def: $sgpr36
                                        ; implicit-def: $sgpr38
                                        ; implicit-def: $sgpr40
                                        ; implicit-def: $sgpr39
                                        ; implicit-def: $sgpr41
	s_delay_alu instid0(VALU_DEP_1)
	v_mov_b32_e32 v0, v7
	s_waitcnt lgkmcnt(0)
	s_cmp_gt_i32 s22, 1
	s_cselect_b32 s28, -1, 0
	s_cmp_gt_i32 s23, 1
	s_mul_i32 s21, s21, s18
	s_cselect_b32 s29, -1, 0
	s_bitcmp1_b32 s20, 0
	s_cselect_b32 s30, -1, 0
	s_add_i32 s18, s22, -1
	s_lshl_b32 s31, s21, 2
	s_lshl_b64 s[20:21], s[18:19], 3
	s_add_i32 s33, s22, 1
	s_add_u32 s0, s20, s0
	s_addc_u32 s1, s21, s1
	s_add_u32 s20, s0, 8
	s_addc_u32 s21, s1, 0
	s_add_i32 s18, s23, -1
	s_add_i32 s34, s23, 1
	s_lshl_b64 s[0:1], s[18:19], 3
                                        ; implicit-def: $sgpr18
	s_delay_alu instid0(SALU_CYCLE_1)
	s_add_u32 s0, s0, s24
	s_addc_u32 s1, s1, s25
	s_add_u32 s22, s0, 8
	s_addc_u32 s23, s1, 0
	s_branch .LBB87_3
.LBB87_2:                               ;   in Loop: Header=BB87_3 Depth=1
	s_or_b32 exec_lo, exec_lo, s1
	s_delay_alu instid0(SALU_CYCLE_1) | instskip(NEXT) | instid1(SALU_CYCLE_1)
	s_and_b32 s0, exec_lo, s0
	s_or_b32 s19, s0, s19
	s_and_not1_b32 s0, s18, exec_lo
	s_and_b32 s1, s41, exec_lo
	s_and_not1_b32 s24, s36, exec_lo
	s_and_b32 s25, s39, exec_lo
	s_or_b32 s18, s0, s1
	s_or_b32 s36, s24, s25
	s_and_not1_b32 s0, s37, exec_lo
	s_and_b32 s1, s40, exec_lo
	s_and_not1_b32 s24, s35, exec_lo
	s_and_b32 s25, s38, exec_lo
	s_or_b32 s37, s0, s1
	s_or_b32 s35, s24, s25
	s_and_not1_b32 exec_lo, exec_lo, s19
	s_cbranch_execz .LBB87_110
.LBB87_3:                               ; =>This Loop Header: Depth=1
                                        ;     Child Loop BB87_5 Depth 2
                                        ;     Child Loop BB87_14 Depth 2
	;; [unrolled: 1-line block ×8, first 2 shown]
	v_sub_nc_u32_e32 v38, s4, v4
	v_mov_b32_e32 v7, 0
	v_mov_b32_e32 v8, 0
	s_delay_alu instid0(VALU_DEP_3) | instskip(NEXT) | instid1(VALU_DEP_1)
	v_cmp_lt_i32_e64 s0, 0, v38
	s_and_saveexec_b32 s42, s0
	s_cbranch_execz .LBB87_12
; %bb.4:                                ;   in Loop: Header=BB87_3 Depth=1
	v_dual_mov_b32 v9, 0 :: v_dual_mov_b32 v8, v5
	v_dual_mov_b32 v10, 0 :: v_dual_mov_b32 v7, v4
	;; [unrolled: 1-line block ×3, first 2 shown]
	s_and_not1_b32 vcc_lo, exec_lo, s28
	s_mov_b64 s[24:25], s[20:21]
	s_mov_b32 s43, s33
	s_cbranch_vccnz .LBB87_11
.LBB87_5:                               ;   Parent Loop BB87_3 Depth=1
                                        ; =>  This Inner Loop Header: Depth=2
	s_load_b64 s[26:27], s[24:25], 0x0
                                        ; implicit-def: $vgpr11_vgpr12
	s_mov_b32 s1, exec_lo
	s_waitcnt lgkmcnt(0)
	v_or_b32_e32 v3, s27, v8
	s_delay_alu instid0(VALU_DEP_1)
	v_cmpx_ne_u64_e32 0, v[2:3]
	s_xor_b32 s44, exec_lo, s1
	s_cbranch_execz .LBB87_7
; %bb.6:                                ;   in Loop: Header=BB87_5 Depth=2
	v_cvt_f32_u32_e32 v3, s26
	v_cvt_f32_u32_e32 v11, s27
	s_sub_u32 s1, 0, s26
	s_subb_u32 s45, 0, s27
	s_delay_alu instid0(VALU_DEP_1) | instskip(NEXT) | instid1(VALU_DEP_1)
	v_fmac_f32_e32 v3, 0x4f800000, v11
	v_rcp_f32_e32 v3, v3
	s_waitcnt_depctr 0xfff
	v_mul_f32_e32 v3, 0x5f7ffffc, v3
	s_delay_alu instid0(VALU_DEP_1) | instskip(NEXT) | instid1(VALU_DEP_1)
	v_mul_f32_e32 v11, 0x2f800000, v3
	v_trunc_f32_e32 v11, v11
	s_delay_alu instid0(VALU_DEP_1) | instskip(SKIP_1) | instid1(VALU_DEP_2)
	v_fmac_f32_e32 v3, 0xcf800000, v11
	v_cvt_u32_f32_e32 v11, v11
	v_cvt_u32_f32_e32 v3, v3
	s_delay_alu instid0(VALU_DEP_2) | instskip(NEXT) | instid1(VALU_DEP_2)
	v_mul_lo_u32 v12, s1, v11
	v_mul_hi_u32 v13, s1, v3
	v_mul_lo_u32 v14, s45, v3
	s_delay_alu instid0(VALU_DEP_2) | instskip(SKIP_1) | instid1(VALU_DEP_2)
	v_add_nc_u32_e32 v12, v13, v12
	v_mul_lo_u32 v13, s1, v3
	v_add_nc_u32_e32 v12, v12, v14
	s_delay_alu instid0(VALU_DEP_2) | instskip(NEXT) | instid1(VALU_DEP_2)
	v_mul_hi_u32 v14, v3, v13
	v_mul_lo_u32 v15, v3, v12
	v_mul_hi_u32 v16, v3, v12
	v_mul_hi_u32 v17, v11, v13
	v_mul_lo_u32 v13, v11, v13
	v_mul_hi_u32 v18, v11, v12
	v_mul_lo_u32 v12, v11, v12
	v_add_co_u32 v14, vcc_lo, v14, v15
	v_add_co_ci_u32_e32 v15, vcc_lo, 0, v16, vcc_lo
	s_delay_alu instid0(VALU_DEP_2) | instskip(NEXT) | instid1(VALU_DEP_2)
	v_add_co_u32 v13, vcc_lo, v14, v13
	v_add_co_ci_u32_e32 v13, vcc_lo, v15, v17, vcc_lo
	v_add_co_ci_u32_e32 v14, vcc_lo, 0, v18, vcc_lo
	s_delay_alu instid0(VALU_DEP_2) | instskip(NEXT) | instid1(VALU_DEP_2)
	v_add_co_u32 v12, vcc_lo, v13, v12
	v_add_co_ci_u32_e32 v13, vcc_lo, 0, v14, vcc_lo
	s_delay_alu instid0(VALU_DEP_2) | instskip(NEXT) | instid1(VALU_DEP_2)
	v_add_co_u32 v3, vcc_lo, v3, v12
	v_add_co_ci_u32_e32 v11, vcc_lo, v11, v13, vcc_lo
	s_delay_alu instid0(VALU_DEP_2) | instskip(SKIP_1) | instid1(VALU_DEP_3)
	v_mul_hi_u32 v12, s1, v3
	v_mul_lo_u32 v14, s45, v3
	v_mul_lo_u32 v13, s1, v11
	s_delay_alu instid0(VALU_DEP_1) | instskip(SKIP_1) | instid1(VALU_DEP_2)
	v_add_nc_u32_e32 v12, v12, v13
	v_mul_lo_u32 v13, s1, v3
	v_add_nc_u32_e32 v12, v12, v14
	s_delay_alu instid0(VALU_DEP_2) | instskip(NEXT) | instid1(VALU_DEP_2)
	v_mul_hi_u32 v14, v3, v13
	v_mul_lo_u32 v15, v3, v12
	v_mul_hi_u32 v16, v3, v12
	v_mul_hi_u32 v17, v11, v13
	v_mul_lo_u32 v13, v11, v13
	v_mul_hi_u32 v18, v11, v12
	v_mul_lo_u32 v12, v11, v12
	v_add_co_u32 v14, vcc_lo, v14, v15
	v_add_co_ci_u32_e32 v15, vcc_lo, 0, v16, vcc_lo
	s_delay_alu instid0(VALU_DEP_2) | instskip(NEXT) | instid1(VALU_DEP_2)
	v_add_co_u32 v13, vcc_lo, v14, v13
	v_add_co_ci_u32_e32 v13, vcc_lo, v15, v17, vcc_lo
	v_add_co_ci_u32_e32 v14, vcc_lo, 0, v18, vcc_lo
	s_delay_alu instid0(VALU_DEP_2) | instskip(NEXT) | instid1(VALU_DEP_2)
	v_add_co_u32 v12, vcc_lo, v13, v12
	v_add_co_ci_u32_e32 v13, vcc_lo, 0, v14, vcc_lo
	s_delay_alu instid0(VALU_DEP_2) | instskip(NEXT) | instid1(VALU_DEP_2)
	v_add_co_u32 v3, vcc_lo, v3, v12
	v_add_co_ci_u32_e32 v17, vcc_lo, v11, v13, vcc_lo
	s_delay_alu instid0(VALU_DEP_2) | instskip(SKIP_1) | instid1(VALU_DEP_3)
	v_mul_hi_u32 v18, v7, v3
	v_mad_u64_u32 v[13:14], null, v8, v3, 0
	v_mad_u64_u32 v[11:12], null, v7, v17, 0
	;; [unrolled: 1-line block ×3, first 2 shown]
	s_delay_alu instid0(VALU_DEP_2) | instskip(NEXT) | instid1(VALU_DEP_3)
	v_add_co_u32 v3, vcc_lo, v18, v11
	v_add_co_ci_u32_e32 v11, vcc_lo, 0, v12, vcc_lo
	s_delay_alu instid0(VALU_DEP_2) | instskip(NEXT) | instid1(VALU_DEP_2)
	v_add_co_u32 v3, vcc_lo, v3, v13
	v_add_co_ci_u32_e32 v3, vcc_lo, v11, v14, vcc_lo
	v_add_co_ci_u32_e32 v11, vcc_lo, 0, v16, vcc_lo
	s_delay_alu instid0(VALU_DEP_2) | instskip(NEXT) | instid1(VALU_DEP_2)
	v_add_co_u32 v3, vcc_lo, v3, v15
	v_add_co_ci_u32_e32 v13, vcc_lo, 0, v11, vcc_lo
	s_delay_alu instid0(VALU_DEP_2) | instskip(SKIP_1) | instid1(VALU_DEP_3)
	v_mul_lo_u32 v14, s27, v3
	v_mad_u64_u32 v[11:12], null, s26, v3, 0
	v_mul_lo_u32 v15, s26, v13
	s_delay_alu instid0(VALU_DEP_2) | instskip(NEXT) | instid1(VALU_DEP_2)
	v_sub_co_u32 v11, vcc_lo, v7, v11
	v_add3_u32 v12, v12, v15, v14
	s_delay_alu instid0(VALU_DEP_1) | instskip(NEXT) | instid1(VALU_DEP_1)
	v_sub_nc_u32_e32 v14, v8, v12
	v_subrev_co_ci_u32_e64 v14, s1, s27, v14, vcc_lo
	v_add_co_u32 v15, s1, v3, 2
	s_delay_alu instid0(VALU_DEP_1) | instskip(SKIP_3) | instid1(VALU_DEP_3)
	v_add_co_ci_u32_e64 v16, s1, 0, v13, s1
	v_sub_co_u32 v17, s1, v11, s26
	v_sub_co_ci_u32_e32 v12, vcc_lo, v8, v12, vcc_lo
	v_subrev_co_ci_u32_e64 v14, s1, 0, v14, s1
	v_cmp_le_u32_e32 vcc_lo, s26, v17
	s_delay_alu instid0(VALU_DEP_3) | instskip(SKIP_1) | instid1(VALU_DEP_4)
	v_cmp_eq_u32_e64 s1, s27, v12
	v_cndmask_b32_e64 v17, 0, -1, vcc_lo
	v_cmp_le_u32_e32 vcc_lo, s27, v14
	v_cndmask_b32_e64 v18, 0, -1, vcc_lo
	v_cmp_le_u32_e32 vcc_lo, s26, v11
	;; [unrolled: 2-line block ×3, first 2 shown]
	v_cndmask_b32_e64 v19, 0, -1, vcc_lo
	v_cmp_eq_u32_e32 vcc_lo, s27, v14
	s_delay_alu instid0(VALU_DEP_2) | instskip(SKIP_3) | instid1(VALU_DEP_3)
	v_cndmask_b32_e64 v11, v19, v11, s1
	v_cndmask_b32_e32 v14, v18, v17, vcc_lo
	v_add_co_u32 v17, vcc_lo, v3, 1
	v_add_co_ci_u32_e32 v18, vcc_lo, 0, v13, vcc_lo
	v_cmp_ne_u32_e32 vcc_lo, 0, v14
	s_delay_alu instid0(VALU_DEP_3) | instskip(NEXT) | instid1(VALU_DEP_3)
	v_cndmask_b32_e32 v14, v17, v15, vcc_lo
	v_cndmask_b32_e32 v12, v18, v16, vcc_lo
	v_cmp_ne_u32_e32 vcc_lo, 0, v11
	s_delay_alu instid0(VALU_DEP_2)
	v_dual_cndmask_b32 v11, v3, v14 :: v_dual_cndmask_b32 v12, v13, v12
.LBB87_7:                               ;   in Loop: Header=BB87_5 Depth=2
	s_and_not1_saveexec_b32 s1, s44
	s_cbranch_execz .LBB87_9
; %bb.8:                                ;   in Loop: Header=BB87_5 Depth=2
	v_cvt_f32_u32_e32 v3, s26
	s_sub_i32 s44, 0, s26
	s_delay_alu instid0(VALU_DEP_1) | instskip(SKIP_2) | instid1(VALU_DEP_1)
	v_rcp_iflag_f32_e32 v3, v3
	s_waitcnt_depctr 0xfff
	v_mul_f32_e32 v3, 0x4f7ffffe, v3
	v_cvt_u32_f32_e32 v3, v3
	s_delay_alu instid0(VALU_DEP_1) | instskip(NEXT) | instid1(VALU_DEP_1)
	v_mul_lo_u32 v11, s44, v3
	v_mul_hi_u32 v11, v3, v11
	s_delay_alu instid0(VALU_DEP_1) | instskip(NEXT) | instid1(VALU_DEP_1)
	v_add_nc_u32_e32 v3, v3, v11
	v_mul_hi_u32 v3, v7, v3
	s_delay_alu instid0(VALU_DEP_1) | instskip(NEXT) | instid1(VALU_DEP_1)
	v_mul_lo_u32 v11, v3, s26
	v_sub_nc_u32_e32 v11, v7, v11
	s_delay_alu instid0(VALU_DEP_1) | instskip(SKIP_1) | instid1(VALU_DEP_2)
	v_subrev_nc_u32_e32 v13, s26, v11
	v_cmp_le_u32_e32 vcc_lo, s26, v11
	v_dual_cndmask_b32 v11, v11, v13 :: v_dual_add_nc_u32 v12, 1, v3
	s_delay_alu instid0(VALU_DEP_1) | instskip(NEXT) | instid1(VALU_DEP_2)
	v_cndmask_b32_e32 v3, v3, v12, vcc_lo
	v_cmp_le_u32_e32 vcc_lo, s26, v11
	s_delay_alu instid0(VALU_DEP_2) | instskip(NEXT) | instid1(VALU_DEP_1)
	v_add_nc_u32_e32 v12, 1, v3
	v_dual_cndmask_b32 v11, v3, v12 :: v_dual_mov_b32 v12, v2
.LBB87_9:                               ;   in Loop: Header=BB87_5 Depth=2
	s_or_b32 exec_lo, exec_lo, s1
	s_load_b64 s[44:45], s[24:25], 0xc8
	s_delay_alu instid0(VALU_DEP_1) | instskip(NEXT) | instid1(VALU_DEP_2)
	v_mul_lo_u32 v3, v12, s26
	v_mul_lo_u32 v15, v11, s27
	v_mad_u64_u32 v[13:14], null, v11, s26, 0
	s_add_i32 s43, s43, -1
	s_add_u32 s24, s24, -8
	s_addc_u32 s25, s25, -1
	s_cmp_gt_u32 s43, 2
	s_delay_alu instid0(VALU_DEP_1) | instskip(NEXT) | instid1(VALU_DEP_2)
	v_add3_u32 v3, v14, v15, v3
	v_sub_co_u32 v13, vcc_lo, v7, v13
	s_delay_alu instid0(VALU_DEP_2) | instskip(SKIP_1) | instid1(VALU_DEP_2)
	v_sub_co_ci_u32_e32 v3, vcc_lo, v8, v3, vcc_lo
	s_waitcnt lgkmcnt(0)
	v_mul_lo_u32 v14, s45, v13
	s_delay_alu instid0(VALU_DEP_2) | instskip(SKIP_1) | instid1(VALU_DEP_1)
	v_mul_lo_u32 v3, s44, v3
	v_mad_u64_u32 v[7:8], null, s44, v13, v[9:10]
	v_add3_u32 v10, v14, v8, v3
	s_delay_alu instid0(VALU_DEP_2)
	v_mov_b32_e32 v9, v7
	s_cbranch_scc0 .LBB87_11
; %bb.10:                               ;   in Loop: Header=BB87_5 Depth=2
	v_dual_mov_b32 v7, v11 :: v_dual_mov_b32 v8, v12
	s_branch .LBB87_5
.LBB87_11:                              ;   in Loop: Header=BB87_3 Depth=1
	s_delay_alu instid0(VALU_DEP_1) | instskip(SKIP_2) | instid1(VALU_DEP_1)
	v_mad_u64_u32 v[7:8], null, s14, v11, v[9:10]
	v_mul_lo_u32 v3, s14, v12
	v_mul_lo_u32 v9, s15, v11
	v_add3_u32 v8, v9, v8, v3
.LBB87_12:                              ;   in Loop: Header=BB87_3 Depth=1
	s_or_b32 exec_lo, exec_lo, s42
	v_mov_b32_e32 v9, 0
	v_mov_b32_e32 v10, 0
	s_and_saveexec_b32 s1, s0
	s_cbranch_execz .LBB87_21
; %bb.13:                               ;   in Loop: Header=BB87_3 Depth=1
	v_dual_mov_b32 v11, 0 :: v_dual_mov_b32 v10, v5
	v_dual_mov_b32 v12, 0 :: v_dual_mov_b32 v9, v4
	;; [unrolled: 1-line block ×3, first 2 shown]
	s_and_not1_b32 vcc_lo, exec_lo, s29
	s_mov_b64 s[24:25], s[22:23]
	s_mov_b32 s42, s34
	s_cbranch_vccnz .LBB87_20
.LBB87_14:                              ;   Parent Loop BB87_3 Depth=1
                                        ; =>  This Inner Loop Header: Depth=2
	s_load_b64 s[26:27], s[24:25], 0x0
                                        ; implicit-def: $vgpr13_vgpr14
	s_mov_b32 s0, exec_lo
	s_waitcnt lgkmcnt(0)
	v_or_b32_e32 v3, s27, v10
	s_delay_alu instid0(VALU_DEP_1)
	v_cmpx_ne_u64_e32 0, v[2:3]
	s_xor_b32 s43, exec_lo, s0
	s_cbranch_execz .LBB87_16
; %bb.15:                               ;   in Loop: Header=BB87_14 Depth=2
	v_cvt_f32_u32_e32 v3, s26
	v_cvt_f32_u32_e32 v13, s27
	s_sub_u32 s0, 0, s26
	s_subb_u32 s44, 0, s27
	s_delay_alu instid0(VALU_DEP_1) | instskip(NEXT) | instid1(VALU_DEP_1)
	v_fmac_f32_e32 v3, 0x4f800000, v13
	v_rcp_f32_e32 v3, v3
	s_waitcnt_depctr 0xfff
	v_mul_f32_e32 v3, 0x5f7ffffc, v3
	s_delay_alu instid0(VALU_DEP_1) | instskip(NEXT) | instid1(VALU_DEP_1)
	v_mul_f32_e32 v13, 0x2f800000, v3
	v_trunc_f32_e32 v13, v13
	s_delay_alu instid0(VALU_DEP_1) | instskip(SKIP_1) | instid1(VALU_DEP_2)
	v_fmac_f32_e32 v3, 0xcf800000, v13
	v_cvt_u32_f32_e32 v13, v13
	v_cvt_u32_f32_e32 v3, v3
	s_delay_alu instid0(VALU_DEP_2) | instskip(NEXT) | instid1(VALU_DEP_2)
	v_mul_lo_u32 v14, s0, v13
	v_mul_hi_u32 v15, s0, v3
	v_mul_lo_u32 v16, s44, v3
	s_delay_alu instid0(VALU_DEP_2) | instskip(SKIP_1) | instid1(VALU_DEP_2)
	v_add_nc_u32_e32 v14, v15, v14
	v_mul_lo_u32 v15, s0, v3
	v_add_nc_u32_e32 v14, v14, v16
	s_delay_alu instid0(VALU_DEP_2) | instskip(NEXT) | instid1(VALU_DEP_2)
	v_mul_hi_u32 v16, v3, v15
	v_mul_lo_u32 v17, v3, v14
	v_mul_hi_u32 v18, v3, v14
	v_mul_hi_u32 v19, v13, v15
	v_mul_lo_u32 v15, v13, v15
	v_mul_hi_u32 v20, v13, v14
	v_mul_lo_u32 v14, v13, v14
	v_add_co_u32 v16, vcc_lo, v16, v17
	v_add_co_ci_u32_e32 v17, vcc_lo, 0, v18, vcc_lo
	s_delay_alu instid0(VALU_DEP_2) | instskip(NEXT) | instid1(VALU_DEP_2)
	v_add_co_u32 v15, vcc_lo, v16, v15
	v_add_co_ci_u32_e32 v15, vcc_lo, v17, v19, vcc_lo
	v_add_co_ci_u32_e32 v16, vcc_lo, 0, v20, vcc_lo
	s_delay_alu instid0(VALU_DEP_2) | instskip(NEXT) | instid1(VALU_DEP_2)
	v_add_co_u32 v14, vcc_lo, v15, v14
	v_add_co_ci_u32_e32 v15, vcc_lo, 0, v16, vcc_lo
	s_delay_alu instid0(VALU_DEP_2) | instskip(NEXT) | instid1(VALU_DEP_2)
	v_add_co_u32 v3, vcc_lo, v3, v14
	v_add_co_ci_u32_e32 v13, vcc_lo, v13, v15, vcc_lo
	s_delay_alu instid0(VALU_DEP_2) | instskip(SKIP_1) | instid1(VALU_DEP_3)
	v_mul_hi_u32 v14, s0, v3
	v_mul_lo_u32 v16, s44, v3
	v_mul_lo_u32 v15, s0, v13
	s_delay_alu instid0(VALU_DEP_1) | instskip(SKIP_1) | instid1(VALU_DEP_2)
	v_add_nc_u32_e32 v14, v14, v15
	v_mul_lo_u32 v15, s0, v3
	v_add_nc_u32_e32 v14, v14, v16
	s_delay_alu instid0(VALU_DEP_2) | instskip(NEXT) | instid1(VALU_DEP_2)
	v_mul_hi_u32 v16, v3, v15
	v_mul_lo_u32 v17, v3, v14
	v_mul_hi_u32 v18, v3, v14
	v_mul_hi_u32 v19, v13, v15
	v_mul_lo_u32 v15, v13, v15
	v_mul_hi_u32 v20, v13, v14
	v_mul_lo_u32 v14, v13, v14
	v_add_co_u32 v16, vcc_lo, v16, v17
	v_add_co_ci_u32_e32 v17, vcc_lo, 0, v18, vcc_lo
	s_delay_alu instid0(VALU_DEP_2) | instskip(NEXT) | instid1(VALU_DEP_2)
	v_add_co_u32 v15, vcc_lo, v16, v15
	v_add_co_ci_u32_e32 v15, vcc_lo, v17, v19, vcc_lo
	v_add_co_ci_u32_e32 v16, vcc_lo, 0, v20, vcc_lo
	s_delay_alu instid0(VALU_DEP_2) | instskip(NEXT) | instid1(VALU_DEP_2)
	v_add_co_u32 v14, vcc_lo, v15, v14
	v_add_co_ci_u32_e32 v15, vcc_lo, 0, v16, vcc_lo
	s_delay_alu instid0(VALU_DEP_2) | instskip(NEXT) | instid1(VALU_DEP_2)
	v_add_co_u32 v3, vcc_lo, v3, v14
	v_add_co_ci_u32_e32 v19, vcc_lo, v13, v15, vcc_lo
	s_delay_alu instid0(VALU_DEP_2) | instskip(SKIP_1) | instid1(VALU_DEP_3)
	v_mul_hi_u32 v20, v9, v3
	v_mad_u64_u32 v[15:16], null, v10, v3, 0
	v_mad_u64_u32 v[13:14], null, v9, v19, 0
	;; [unrolled: 1-line block ×3, first 2 shown]
	s_delay_alu instid0(VALU_DEP_2) | instskip(NEXT) | instid1(VALU_DEP_3)
	v_add_co_u32 v3, vcc_lo, v20, v13
	v_add_co_ci_u32_e32 v13, vcc_lo, 0, v14, vcc_lo
	s_delay_alu instid0(VALU_DEP_2) | instskip(NEXT) | instid1(VALU_DEP_2)
	v_add_co_u32 v3, vcc_lo, v3, v15
	v_add_co_ci_u32_e32 v3, vcc_lo, v13, v16, vcc_lo
	v_add_co_ci_u32_e32 v13, vcc_lo, 0, v18, vcc_lo
	s_delay_alu instid0(VALU_DEP_2) | instskip(NEXT) | instid1(VALU_DEP_2)
	v_add_co_u32 v3, vcc_lo, v3, v17
	v_add_co_ci_u32_e32 v15, vcc_lo, 0, v13, vcc_lo
	s_delay_alu instid0(VALU_DEP_2) | instskip(SKIP_1) | instid1(VALU_DEP_3)
	v_mul_lo_u32 v16, s27, v3
	v_mad_u64_u32 v[13:14], null, s26, v3, 0
	v_mul_lo_u32 v17, s26, v15
	s_delay_alu instid0(VALU_DEP_2) | instskip(NEXT) | instid1(VALU_DEP_2)
	v_sub_co_u32 v13, vcc_lo, v9, v13
	v_add3_u32 v14, v14, v17, v16
	s_delay_alu instid0(VALU_DEP_1) | instskip(NEXT) | instid1(VALU_DEP_1)
	v_sub_nc_u32_e32 v16, v10, v14
	v_subrev_co_ci_u32_e64 v16, s0, s27, v16, vcc_lo
	v_add_co_u32 v17, s0, v3, 2
	s_delay_alu instid0(VALU_DEP_1) | instskip(SKIP_3) | instid1(VALU_DEP_3)
	v_add_co_ci_u32_e64 v18, s0, 0, v15, s0
	v_sub_co_u32 v19, s0, v13, s26
	v_sub_co_ci_u32_e32 v14, vcc_lo, v10, v14, vcc_lo
	v_subrev_co_ci_u32_e64 v16, s0, 0, v16, s0
	v_cmp_le_u32_e32 vcc_lo, s26, v19
	s_delay_alu instid0(VALU_DEP_3) | instskip(SKIP_1) | instid1(VALU_DEP_4)
	v_cmp_eq_u32_e64 s0, s27, v14
	v_cndmask_b32_e64 v19, 0, -1, vcc_lo
	v_cmp_le_u32_e32 vcc_lo, s27, v16
	v_cndmask_b32_e64 v20, 0, -1, vcc_lo
	v_cmp_le_u32_e32 vcc_lo, s26, v13
	;; [unrolled: 2-line block ×3, first 2 shown]
	v_cndmask_b32_e64 v21, 0, -1, vcc_lo
	v_cmp_eq_u32_e32 vcc_lo, s27, v16
	s_delay_alu instid0(VALU_DEP_2) | instskip(SKIP_3) | instid1(VALU_DEP_3)
	v_cndmask_b32_e64 v13, v21, v13, s0
	v_cndmask_b32_e32 v16, v20, v19, vcc_lo
	v_add_co_u32 v19, vcc_lo, v3, 1
	v_add_co_ci_u32_e32 v20, vcc_lo, 0, v15, vcc_lo
	v_cmp_ne_u32_e32 vcc_lo, 0, v16
	s_delay_alu instid0(VALU_DEP_3) | instskip(NEXT) | instid1(VALU_DEP_3)
	v_cndmask_b32_e32 v16, v19, v17, vcc_lo
	v_cndmask_b32_e32 v14, v20, v18, vcc_lo
	v_cmp_ne_u32_e32 vcc_lo, 0, v13
	s_delay_alu instid0(VALU_DEP_3) | instskip(NEXT) | instid1(VALU_DEP_3)
	v_cndmask_b32_e32 v13, v3, v16, vcc_lo
	v_cndmask_b32_e32 v14, v15, v14, vcc_lo
.LBB87_16:                              ;   in Loop: Header=BB87_14 Depth=2
	s_and_not1_saveexec_b32 s0, s43
	s_cbranch_execz .LBB87_18
; %bb.17:                               ;   in Loop: Header=BB87_14 Depth=2
	v_cvt_f32_u32_e32 v3, s26
	s_sub_i32 s43, 0, s26
	s_delay_alu instid0(VALU_DEP_1) | instskip(SKIP_2) | instid1(VALU_DEP_1)
	v_rcp_iflag_f32_e32 v3, v3
	s_waitcnt_depctr 0xfff
	v_mul_f32_e32 v3, 0x4f7ffffe, v3
	v_cvt_u32_f32_e32 v3, v3
	s_delay_alu instid0(VALU_DEP_1) | instskip(NEXT) | instid1(VALU_DEP_1)
	v_mul_lo_u32 v13, s43, v3
	v_mul_hi_u32 v13, v3, v13
	s_delay_alu instid0(VALU_DEP_1) | instskip(NEXT) | instid1(VALU_DEP_1)
	v_add_nc_u32_e32 v3, v3, v13
	v_mul_hi_u32 v3, v9, v3
	s_delay_alu instid0(VALU_DEP_1) | instskip(SKIP_1) | instid1(VALU_DEP_2)
	v_mul_lo_u32 v13, v3, s26
	v_add_nc_u32_e32 v14, 1, v3
	v_sub_nc_u32_e32 v13, v9, v13
	s_delay_alu instid0(VALU_DEP_1) | instskip(SKIP_1) | instid1(VALU_DEP_2)
	v_subrev_nc_u32_e32 v15, s26, v13
	v_cmp_le_u32_e32 vcc_lo, s26, v13
	v_cndmask_b32_e32 v13, v13, v15, vcc_lo
	v_cndmask_b32_e32 v3, v3, v14, vcc_lo
	s_delay_alu instid0(VALU_DEP_2) | instskip(NEXT) | instid1(VALU_DEP_2)
	v_cmp_le_u32_e32 vcc_lo, s26, v13
	v_add_nc_u32_e32 v14, 1, v3
	s_delay_alu instid0(VALU_DEP_1)
	v_dual_cndmask_b32 v13, v3, v14 :: v_dual_mov_b32 v14, v2
.LBB87_18:                              ;   in Loop: Header=BB87_14 Depth=2
	s_or_b32 exec_lo, exec_lo, s0
	s_load_b64 s[44:45], s[24:25], 0xc8
	s_delay_alu instid0(VALU_DEP_1) | instskip(NEXT) | instid1(VALU_DEP_2)
	v_mul_lo_u32 v3, v14, s26
	v_mul_lo_u32 v17, v13, s27
	v_mad_u64_u32 v[15:16], null, v13, s26, 0
	s_add_i32 s42, s42, -1
	s_add_u32 s24, s24, -8
	s_addc_u32 s25, s25, -1
	s_cmp_gt_u32 s42, 2
	s_delay_alu instid0(VALU_DEP_1) | instskip(NEXT) | instid1(VALU_DEP_2)
	v_add3_u32 v3, v16, v17, v3
	v_sub_co_u32 v15, vcc_lo, v9, v15
	s_delay_alu instid0(VALU_DEP_2) | instskip(SKIP_1) | instid1(VALU_DEP_2)
	v_sub_co_ci_u32_e32 v3, vcc_lo, v10, v3, vcc_lo
	s_waitcnt lgkmcnt(0)
	v_mul_lo_u32 v16, s45, v15
	s_delay_alu instid0(VALU_DEP_2) | instskip(SKIP_1) | instid1(VALU_DEP_1)
	v_mul_lo_u32 v3, s44, v3
	v_mad_u64_u32 v[9:10], null, s44, v15, v[11:12]
	v_add3_u32 v12, v16, v10, v3
	s_delay_alu instid0(VALU_DEP_2)
	v_mov_b32_e32 v11, v9
	s_cbranch_scc0 .LBB87_20
; %bb.19:                               ;   in Loop: Header=BB87_14 Depth=2
	v_dual_mov_b32 v9, v13 :: v_dual_mov_b32 v10, v14
	s_branch .LBB87_14
.LBB87_20:                              ;   in Loop: Header=BB87_3 Depth=1
	s_delay_alu instid0(VALU_DEP_1) | instskip(SKIP_2) | instid1(VALU_DEP_1)
	v_mad_u64_u32 v[9:10], null, s2, v13, v[11:12]
	v_mul_lo_u32 v3, s2, v14
	v_mul_lo_u32 v11, s3, v13
	v_add3_u32 v10, v11, v10, v3
.LBB87_21:                              ;   in Loop: Header=BB87_3 Depth=1
	s_or_b32 exec_lo, exec_lo, s1
	v_dual_mov_b32 v16, v5 :: v_dual_mov_b32 v11, 0
	v_or_b32_e32 v15, 1, v4
	v_mov_b32_e32 v12, 0
	v_cmp_lt_i32_e64 s0, 1, v38
	s_delay_alu instid0(VALU_DEP_1)
	s_and_saveexec_b32 s42, s0
	s_cbranch_execz .LBB87_30
; %bb.22:                               ;   in Loop: Header=BB87_3 Depth=1
	v_mov_b32_e32 v13, 0
	v_dual_mov_b32 v14, 0 :: v_dual_mov_b32 v11, v15
	v_mov_b32_e32 v12, v16
	v_dual_mov_b32 v18, v16 :: v_dual_mov_b32 v17, v15
	s_and_not1_b32 vcc_lo, exec_lo, s28
	s_mov_b64 s[24:25], s[20:21]
	s_mov_b32 s43, s33
	s_cbranch_vccnz .LBB87_29
.LBB87_23:                              ;   Parent Loop BB87_3 Depth=1
                                        ; =>  This Inner Loop Header: Depth=2
	s_load_b64 s[26:27], s[24:25], 0x0
                                        ; implicit-def: $vgpr17_vgpr18
	s_mov_b32 s1, exec_lo
	s_waitcnt lgkmcnt(0)
	v_or_b32_e32 v3, s27, v12
	s_delay_alu instid0(VALU_DEP_1)
	v_cmpx_ne_u64_e32 0, v[2:3]
	s_xor_b32 s44, exec_lo, s1
	s_cbranch_execz .LBB87_25
; %bb.24:                               ;   in Loop: Header=BB87_23 Depth=2
	v_cvt_f32_u32_e32 v3, s26
	v_cvt_f32_u32_e32 v17, s27
	s_sub_u32 s1, 0, s26
	s_subb_u32 s45, 0, s27
	s_delay_alu instid0(VALU_DEP_1) | instskip(NEXT) | instid1(VALU_DEP_1)
	v_fmac_f32_e32 v3, 0x4f800000, v17
	v_rcp_f32_e32 v3, v3
	s_waitcnt_depctr 0xfff
	v_mul_f32_e32 v3, 0x5f7ffffc, v3
	s_delay_alu instid0(VALU_DEP_1) | instskip(NEXT) | instid1(VALU_DEP_1)
	v_mul_f32_e32 v17, 0x2f800000, v3
	v_trunc_f32_e32 v17, v17
	s_delay_alu instid0(VALU_DEP_1) | instskip(SKIP_1) | instid1(VALU_DEP_2)
	v_fmac_f32_e32 v3, 0xcf800000, v17
	v_cvt_u32_f32_e32 v17, v17
	v_cvt_u32_f32_e32 v3, v3
	s_delay_alu instid0(VALU_DEP_2) | instskip(NEXT) | instid1(VALU_DEP_2)
	v_mul_lo_u32 v18, s1, v17
	v_mul_hi_u32 v19, s1, v3
	v_mul_lo_u32 v20, s45, v3
	s_delay_alu instid0(VALU_DEP_2) | instskip(SKIP_1) | instid1(VALU_DEP_2)
	v_add_nc_u32_e32 v18, v19, v18
	v_mul_lo_u32 v19, s1, v3
	v_add_nc_u32_e32 v18, v18, v20
	s_delay_alu instid0(VALU_DEP_2) | instskip(NEXT) | instid1(VALU_DEP_2)
	v_mul_hi_u32 v20, v3, v19
	v_mul_lo_u32 v21, v3, v18
	v_mul_hi_u32 v22, v3, v18
	v_mul_hi_u32 v23, v17, v19
	v_mul_lo_u32 v19, v17, v19
	v_mul_hi_u32 v24, v17, v18
	v_mul_lo_u32 v18, v17, v18
	v_add_co_u32 v20, vcc_lo, v20, v21
	v_add_co_ci_u32_e32 v21, vcc_lo, 0, v22, vcc_lo
	s_delay_alu instid0(VALU_DEP_2) | instskip(NEXT) | instid1(VALU_DEP_2)
	v_add_co_u32 v19, vcc_lo, v20, v19
	v_add_co_ci_u32_e32 v19, vcc_lo, v21, v23, vcc_lo
	v_add_co_ci_u32_e32 v20, vcc_lo, 0, v24, vcc_lo
	s_delay_alu instid0(VALU_DEP_2) | instskip(NEXT) | instid1(VALU_DEP_2)
	v_add_co_u32 v18, vcc_lo, v19, v18
	v_add_co_ci_u32_e32 v19, vcc_lo, 0, v20, vcc_lo
	s_delay_alu instid0(VALU_DEP_2) | instskip(NEXT) | instid1(VALU_DEP_2)
	v_add_co_u32 v3, vcc_lo, v3, v18
	v_add_co_ci_u32_e32 v17, vcc_lo, v17, v19, vcc_lo
	s_delay_alu instid0(VALU_DEP_2) | instskip(SKIP_1) | instid1(VALU_DEP_3)
	v_mul_hi_u32 v18, s1, v3
	v_mul_lo_u32 v20, s45, v3
	v_mul_lo_u32 v19, s1, v17
	s_delay_alu instid0(VALU_DEP_1) | instskip(SKIP_1) | instid1(VALU_DEP_2)
	v_add_nc_u32_e32 v18, v18, v19
	v_mul_lo_u32 v19, s1, v3
	v_add_nc_u32_e32 v18, v18, v20
	s_delay_alu instid0(VALU_DEP_2) | instskip(NEXT) | instid1(VALU_DEP_2)
	v_mul_hi_u32 v20, v3, v19
	v_mul_lo_u32 v21, v3, v18
	v_mul_hi_u32 v22, v3, v18
	v_mul_hi_u32 v23, v17, v19
	v_mul_lo_u32 v19, v17, v19
	v_mul_hi_u32 v24, v17, v18
	v_mul_lo_u32 v18, v17, v18
	v_add_co_u32 v20, vcc_lo, v20, v21
	v_add_co_ci_u32_e32 v21, vcc_lo, 0, v22, vcc_lo
	s_delay_alu instid0(VALU_DEP_2) | instskip(NEXT) | instid1(VALU_DEP_2)
	v_add_co_u32 v19, vcc_lo, v20, v19
	v_add_co_ci_u32_e32 v19, vcc_lo, v21, v23, vcc_lo
	v_add_co_ci_u32_e32 v20, vcc_lo, 0, v24, vcc_lo
	s_delay_alu instid0(VALU_DEP_2) | instskip(NEXT) | instid1(VALU_DEP_2)
	v_add_co_u32 v18, vcc_lo, v19, v18
	v_add_co_ci_u32_e32 v19, vcc_lo, 0, v20, vcc_lo
	s_delay_alu instid0(VALU_DEP_2) | instskip(NEXT) | instid1(VALU_DEP_2)
	v_add_co_u32 v3, vcc_lo, v3, v18
	v_add_co_ci_u32_e32 v23, vcc_lo, v17, v19, vcc_lo
	s_delay_alu instid0(VALU_DEP_2) | instskip(SKIP_1) | instid1(VALU_DEP_3)
	v_mul_hi_u32 v24, v11, v3
	v_mad_u64_u32 v[19:20], null, v12, v3, 0
	v_mad_u64_u32 v[17:18], null, v11, v23, 0
	;; [unrolled: 1-line block ×3, first 2 shown]
	s_delay_alu instid0(VALU_DEP_2) | instskip(NEXT) | instid1(VALU_DEP_3)
	v_add_co_u32 v3, vcc_lo, v24, v17
	v_add_co_ci_u32_e32 v17, vcc_lo, 0, v18, vcc_lo
	s_delay_alu instid0(VALU_DEP_2) | instskip(NEXT) | instid1(VALU_DEP_2)
	v_add_co_u32 v3, vcc_lo, v3, v19
	v_add_co_ci_u32_e32 v3, vcc_lo, v17, v20, vcc_lo
	v_add_co_ci_u32_e32 v17, vcc_lo, 0, v22, vcc_lo
	s_delay_alu instid0(VALU_DEP_2) | instskip(NEXT) | instid1(VALU_DEP_2)
	v_add_co_u32 v3, vcc_lo, v3, v21
	v_add_co_ci_u32_e32 v19, vcc_lo, 0, v17, vcc_lo
	s_delay_alu instid0(VALU_DEP_2) | instskip(SKIP_1) | instid1(VALU_DEP_3)
	v_mul_lo_u32 v20, s27, v3
	v_mad_u64_u32 v[17:18], null, s26, v3, 0
	v_mul_lo_u32 v21, s26, v19
	s_delay_alu instid0(VALU_DEP_2) | instskip(NEXT) | instid1(VALU_DEP_2)
	v_sub_co_u32 v17, vcc_lo, v11, v17
	v_add3_u32 v18, v18, v21, v20
	s_delay_alu instid0(VALU_DEP_1) | instskip(NEXT) | instid1(VALU_DEP_1)
	v_sub_nc_u32_e32 v20, v12, v18
	v_subrev_co_ci_u32_e64 v20, s1, s27, v20, vcc_lo
	v_add_co_u32 v21, s1, v3, 2
	s_delay_alu instid0(VALU_DEP_1) | instskip(SKIP_3) | instid1(VALU_DEP_3)
	v_add_co_ci_u32_e64 v22, s1, 0, v19, s1
	v_sub_co_u32 v23, s1, v17, s26
	v_sub_co_ci_u32_e32 v18, vcc_lo, v12, v18, vcc_lo
	v_subrev_co_ci_u32_e64 v20, s1, 0, v20, s1
	v_cmp_le_u32_e32 vcc_lo, s26, v23
	s_delay_alu instid0(VALU_DEP_3) | instskip(SKIP_1) | instid1(VALU_DEP_4)
	v_cmp_eq_u32_e64 s1, s27, v18
	v_cndmask_b32_e64 v23, 0, -1, vcc_lo
	v_cmp_le_u32_e32 vcc_lo, s27, v20
	v_cndmask_b32_e64 v24, 0, -1, vcc_lo
	v_cmp_le_u32_e32 vcc_lo, s26, v17
	;; [unrolled: 2-line block ×3, first 2 shown]
	v_cndmask_b32_e64 v25, 0, -1, vcc_lo
	v_cmp_eq_u32_e32 vcc_lo, s27, v20
	s_delay_alu instid0(VALU_DEP_2) | instskip(SKIP_3) | instid1(VALU_DEP_3)
	v_cndmask_b32_e64 v17, v25, v17, s1
	v_cndmask_b32_e32 v20, v24, v23, vcc_lo
	v_add_co_u32 v23, vcc_lo, v3, 1
	v_add_co_ci_u32_e32 v24, vcc_lo, 0, v19, vcc_lo
	v_cmp_ne_u32_e32 vcc_lo, 0, v20
	s_delay_alu instid0(VALU_DEP_3) | instskip(NEXT) | instid1(VALU_DEP_3)
	v_cndmask_b32_e32 v20, v23, v21, vcc_lo
	v_cndmask_b32_e32 v18, v24, v22, vcc_lo
	v_cmp_ne_u32_e32 vcc_lo, 0, v17
	s_delay_alu instid0(VALU_DEP_3) | instskip(NEXT) | instid1(VALU_DEP_3)
	v_cndmask_b32_e32 v17, v3, v20, vcc_lo
	v_cndmask_b32_e32 v18, v19, v18, vcc_lo
.LBB87_25:                              ;   in Loop: Header=BB87_23 Depth=2
	s_and_not1_saveexec_b32 s1, s44
	s_cbranch_execz .LBB87_27
; %bb.26:                               ;   in Loop: Header=BB87_23 Depth=2
	v_cvt_f32_u32_e32 v3, s26
	s_sub_i32 s44, 0, s26
	s_delay_alu instid0(VALU_DEP_1) | instskip(SKIP_2) | instid1(VALU_DEP_1)
	v_rcp_iflag_f32_e32 v3, v3
	s_waitcnt_depctr 0xfff
	v_mul_f32_e32 v3, 0x4f7ffffe, v3
	v_cvt_u32_f32_e32 v3, v3
	s_delay_alu instid0(VALU_DEP_1) | instskip(NEXT) | instid1(VALU_DEP_1)
	v_mul_lo_u32 v17, s44, v3
	v_mul_hi_u32 v17, v3, v17
	s_delay_alu instid0(VALU_DEP_1) | instskip(NEXT) | instid1(VALU_DEP_1)
	v_add_nc_u32_e32 v3, v3, v17
	v_mul_hi_u32 v3, v11, v3
	s_delay_alu instid0(VALU_DEP_1) | instskip(SKIP_1) | instid1(VALU_DEP_2)
	v_mul_lo_u32 v17, v3, s26
	v_add_nc_u32_e32 v18, 1, v3
	v_sub_nc_u32_e32 v17, v11, v17
	s_delay_alu instid0(VALU_DEP_1) | instskip(SKIP_1) | instid1(VALU_DEP_2)
	v_subrev_nc_u32_e32 v19, s26, v17
	v_cmp_le_u32_e32 vcc_lo, s26, v17
	v_cndmask_b32_e32 v17, v17, v19, vcc_lo
	v_cndmask_b32_e32 v3, v3, v18, vcc_lo
	s_delay_alu instid0(VALU_DEP_2) | instskip(NEXT) | instid1(VALU_DEP_2)
	v_cmp_le_u32_e32 vcc_lo, s26, v17
	v_add_nc_u32_e32 v18, 1, v3
	s_delay_alu instid0(VALU_DEP_1)
	v_dual_cndmask_b32 v17, v3, v18 :: v_dual_mov_b32 v18, v2
.LBB87_27:                              ;   in Loop: Header=BB87_23 Depth=2
	s_or_b32 exec_lo, exec_lo, s1
	s_load_b64 s[44:45], s[24:25], 0xc8
	s_delay_alu instid0(VALU_DEP_1) | instskip(NEXT) | instid1(VALU_DEP_2)
	v_mul_lo_u32 v3, v18, s26
	v_mul_lo_u32 v21, v17, s27
	v_mad_u64_u32 v[19:20], null, v17, s26, 0
	s_add_i32 s43, s43, -1
	s_add_u32 s24, s24, -8
	s_addc_u32 s25, s25, -1
	s_cmp_gt_u32 s43, 2
	s_delay_alu instid0(VALU_DEP_1) | instskip(NEXT) | instid1(VALU_DEP_2)
	v_add3_u32 v3, v20, v21, v3
	v_sub_co_u32 v19, vcc_lo, v11, v19
	s_delay_alu instid0(VALU_DEP_2) | instskip(SKIP_1) | instid1(VALU_DEP_2)
	v_sub_co_ci_u32_e32 v3, vcc_lo, v12, v3, vcc_lo
	s_waitcnt lgkmcnt(0)
	v_mul_lo_u32 v20, s45, v19
	s_delay_alu instid0(VALU_DEP_2) | instskip(SKIP_1) | instid1(VALU_DEP_1)
	v_mul_lo_u32 v3, s44, v3
	v_mad_u64_u32 v[11:12], null, s44, v19, v[13:14]
	v_add3_u32 v14, v20, v12, v3
	s_delay_alu instid0(VALU_DEP_2)
	v_mov_b32_e32 v13, v11
	s_cbranch_scc0 .LBB87_29
; %bb.28:                               ;   in Loop: Header=BB87_23 Depth=2
	v_dual_mov_b32 v11, v17 :: v_dual_mov_b32 v12, v18
	s_branch .LBB87_23
.LBB87_29:                              ;   in Loop: Header=BB87_3 Depth=1
	s_delay_alu instid0(VALU_DEP_1) | instskip(SKIP_2) | instid1(VALU_DEP_1)
	v_mad_u64_u32 v[11:12], null, s14, v17, v[13:14]
	v_mul_lo_u32 v3, s14, v18
	v_mul_lo_u32 v13, s15, v17
	v_add3_u32 v12, v13, v12, v3
.LBB87_30:                              ;   in Loop: Header=BB87_3 Depth=1
	s_or_b32 exec_lo, exec_lo, s42
	v_mov_b32_e32 v13, 0
	v_mov_b32_e32 v14, 0
	s_and_saveexec_b32 s1, s0
	s_cbranch_execz .LBB87_33
; %bb.31:                               ;   in Loop: Header=BB87_3 Depth=1
	v_mov_b32_e32 v17, 0
	v_mov_b32_e32 v18, 0
	s_and_not1_b32 vcc_lo, exec_lo, s29
	s_mov_b64 s[24:25], s[22:23]
	s_mov_b32 s42, s34
	s_cbranch_vccz .LBB87_42
.LBB87_32:                              ;   in Loop: Header=BB87_3 Depth=1
	s_delay_alu instid0(VALU_DEP_1) | instskip(NEXT) | instid1(VALU_DEP_3)
	v_mad_u64_u32 v[13:14], null, s2, v15, v[17:18]
	v_mul_lo_u32 v3, s2, v16
	v_mul_lo_u32 v15, s3, v15
	s_delay_alu instid0(VALU_DEP_1)
	v_add3_u32 v14, v15, v14, v3
.LBB87_33:                              ;   in Loop: Header=BB87_3 Depth=1
	s_or_b32 exec_lo, exec_lo, s1
	v_dual_mov_b32 v20, v5 :: v_dual_mov_b32 v15, 0
	v_or_b32_e32 v19, 2, v4
	v_mov_b32_e32 v16, 0
	v_cmp_lt_i32_e64 s0, 2, v38
	s_delay_alu instid0(VALU_DEP_1)
	s_and_saveexec_b32 s42, s0
	s_cbranch_execz .LBB87_47
; %bb.34:                               ;   in Loop: Header=BB87_3 Depth=1
	v_mov_b32_e32 v17, 0
	v_dual_mov_b32 v18, 0 :: v_dual_mov_b32 v15, v19
	v_mov_b32_e32 v16, v20
	v_dual_mov_b32 v22, v20 :: v_dual_mov_b32 v21, v19
	s_and_not1_b32 vcc_lo, exec_lo, s28
	s_mov_b64 s[24:25], s[20:21]
	s_mov_b32 s43, s33
	s_cbranch_vccnz .LBB87_46
.LBB87_35:                              ;   Parent Loop BB87_3 Depth=1
                                        ; =>  This Inner Loop Header: Depth=2
	s_load_b64 s[26:27], s[24:25], 0x0
                                        ; implicit-def: $vgpr21_vgpr22
	s_mov_b32 s1, exec_lo
	s_waitcnt lgkmcnt(0)
	v_or_b32_e32 v3, s27, v16
	s_delay_alu instid0(VALU_DEP_1)
	v_cmpx_ne_u64_e32 0, v[2:3]
	s_xor_b32 s44, exec_lo, s1
	s_cbranch_execz .LBB87_37
; %bb.36:                               ;   in Loop: Header=BB87_35 Depth=2
	v_cvt_f32_u32_e32 v3, s26
	v_cvt_f32_u32_e32 v21, s27
	s_sub_u32 s1, 0, s26
	s_subb_u32 s45, 0, s27
	s_delay_alu instid0(VALU_DEP_1) | instskip(NEXT) | instid1(VALU_DEP_1)
	v_fmac_f32_e32 v3, 0x4f800000, v21
	v_rcp_f32_e32 v3, v3
	s_waitcnt_depctr 0xfff
	v_mul_f32_e32 v3, 0x5f7ffffc, v3
	s_delay_alu instid0(VALU_DEP_1) | instskip(NEXT) | instid1(VALU_DEP_1)
	v_mul_f32_e32 v21, 0x2f800000, v3
	v_trunc_f32_e32 v21, v21
	s_delay_alu instid0(VALU_DEP_1) | instskip(SKIP_1) | instid1(VALU_DEP_2)
	v_fmac_f32_e32 v3, 0xcf800000, v21
	v_cvt_u32_f32_e32 v21, v21
	v_cvt_u32_f32_e32 v3, v3
	s_delay_alu instid0(VALU_DEP_2) | instskip(NEXT) | instid1(VALU_DEP_2)
	v_mul_lo_u32 v22, s1, v21
	v_mul_hi_u32 v23, s1, v3
	v_mul_lo_u32 v24, s45, v3
	s_delay_alu instid0(VALU_DEP_2) | instskip(SKIP_1) | instid1(VALU_DEP_2)
	v_add_nc_u32_e32 v22, v23, v22
	v_mul_lo_u32 v23, s1, v3
	v_add_nc_u32_e32 v22, v22, v24
	s_delay_alu instid0(VALU_DEP_2) | instskip(NEXT) | instid1(VALU_DEP_2)
	v_mul_hi_u32 v24, v3, v23
	v_mul_lo_u32 v25, v3, v22
	v_mul_hi_u32 v26, v3, v22
	v_mul_hi_u32 v27, v21, v23
	v_mul_lo_u32 v23, v21, v23
	v_mul_hi_u32 v28, v21, v22
	v_mul_lo_u32 v22, v21, v22
	v_add_co_u32 v24, vcc_lo, v24, v25
	v_add_co_ci_u32_e32 v25, vcc_lo, 0, v26, vcc_lo
	s_delay_alu instid0(VALU_DEP_2) | instskip(NEXT) | instid1(VALU_DEP_2)
	v_add_co_u32 v23, vcc_lo, v24, v23
	v_add_co_ci_u32_e32 v23, vcc_lo, v25, v27, vcc_lo
	v_add_co_ci_u32_e32 v24, vcc_lo, 0, v28, vcc_lo
	s_delay_alu instid0(VALU_DEP_2) | instskip(NEXT) | instid1(VALU_DEP_2)
	v_add_co_u32 v22, vcc_lo, v23, v22
	v_add_co_ci_u32_e32 v23, vcc_lo, 0, v24, vcc_lo
	s_delay_alu instid0(VALU_DEP_2) | instskip(NEXT) | instid1(VALU_DEP_2)
	v_add_co_u32 v3, vcc_lo, v3, v22
	v_add_co_ci_u32_e32 v21, vcc_lo, v21, v23, vcc_lo
	s_delay_alu instid0(VALU_DEP_2) | instskip(SKIP_1) | instid1(VALU_DEP_3)
	v_mul_hi_u32 v22, s1, v3
	v_mul_lo_u32 v24, s45, v3
	v_mul_lo_u32 v23, s1, v21
	s_delay_alu instid0(VALU_DEP_1) | instskip(SKIP_1) | instid1(VALU_DEP_2)
	v_add_nc_u32_e32 v22, v22, v23
	v_mul_lo_u32 v23, s1, v3
	v_add_nc_u32_e32 v22, v22, v24
	s_delay_alu instid0(VALU_DEP_2) | instskip(NEXT) | instid1(VALU_DEP_2)
	v_mul_hi_u32 v24, v3, v23
	v_mul_lo_u32 v25, v3, v22
	v_mul_hi_u32 v26, v3, v22
	v_mul_hi_u32 v27, v21, v23
	v_mul_lo_u32 v23, v21, v23
	v_mul_hi_u32 v28, v21, v22
	v_mul_lo_u32 v22, v21, v22
	v_add_co_u32 v24, vcc_lo, v24, v25
	v_add_co_ci_u32_e32 v25, vcc_lo, 0, v26, vcc_lo
	s_delay_alu instid0(VALU_DEP_2) | instskip(NEXT) | instid1(VALU_DEP_2)
	v_add_co_u32 v23, vcc_lo, v24, v23
	v_add_co_ci_u32_e32 v23, vcc_lo, v25, v27, vcc_lo
	v_add_co_ci_u32_e32 v24, vcc_lo, 0, v28, vcc_lo
	s_delay_alu instid0(VALU_DEP_2) | instskip(NEXT) | instid1(VALU_DEP_2)
	v_add_co_u32 v22, vcc_lo, v23, v22
	v_add_co_ci_u32_e32 v23, vcc_lo, 0, v24, vcc_lo
	s_delay_alu instid0(VALU_DEP_2) | instskip(NEXT) | instid1(VALU_DEP_2)
	v_add_co_u32 v3, vcc_lo, v3, v22
	v_add_co_ci_u32_e32 v27, vcc_lo, v21, v23, vcc_lo
	s_delay_alu instid0(VALU_DEP_2) | instskip(SKIP_1) | instid1(VALU_DEP_3)
	v_mul_hi_u32 v28, v15, v3
	v_mad_u64_u32 v[23:24], null, v16, v3, 0
	v_mad_u64_u32 v[21:22], null, v15, v27, 0
	;; [unrolled: 1-line block ×3, first 2 shown]
	s_delay_alu instid0(VALU_DEP_2) | instskip(NEXT) | instid1(VALU_DEP_3)
	v_add_co_u32 v3, vcc_lo, v28, v21
	v_add_co_ci_u32_e32 v21, vcc_lo, 0, v22, vcc_lo
	s_delay_alu instid0(VALU_DEP_2) | instskip(NEXT) | instid1(VALU_DEP_2)
	v_add_co_u32 v3, vcc_lo, v3, v23
	v_add_co_ci_u32_e32 v3, vcc_lo, v21, v24, vcc_lo
	v_add_co_ci_u32_e32 v21, vcc_lo, 0, v26, vcc_lo
	s_delay_alu instid0(VALU_DEP_2) | instskip(NEXT) | instid1(VALU_DEP_2)
	v_add_co_u32 v3, vcc_lo, v3, v25
	v_add_co_ci_u32_e32 v23, vcc_lo, 0, v21, vcc_lo
	s_delay_alu instid0(VALU_DEP_2) | instskip(SKIP_1) | instid1(VALU_DEP_3)
	v_mul_lo_u32 v24, s27, v3
	v_mad_u64_u32 v[21:22], null, s26, v3, 0
	v_mul_lo_u32 v25, s26, v23
	s_delay_alu instid0(VALU_DEP_2) | instskip(NEXT) | instid1(VALU_DEP_2)
	v_sub_co_u32 v21, vcc_lo, v15, v21
	v_add3_u32 v22, v22, v25, v24
	s_delay_alu instid0(VALU_DEP_1) | instskip(NEXT) | instid1(VALU_DEP_1)
	v_sub_nc_u32_e32 v24, v16, v22
	v_subrev_co_ci_u32_e64 v24, s1, s27, v24, vcc_lo
	v_add_co_u32 v25, s1, v3, 2
	s_delay_alu instid0(VALU_DEP_1) | instskip(SKIP_3) | instid1(VALU_DEP_3)
	v_add_co_ci_u32_e64 v26, s1, 0, v23, s1
	v_sub_co_u32 v27, s1, v21, s26
	v_sub_co_ci_u32_e32 v22, vcc_lo, v16, v22, vcc_lo
	v_subrev_co_ci_u32_e64 v24, s1, 0, v24, s1
	v_cmp_le_u32_e32 vcc_lo, s26, v27
	s_delay_alu instid0(VALU_DEP_3) | instskip(SKIP_1) | instid1(VALU_DEP_4)
	v_cmp_eq_u32_e64 s1, s27, v22
	v_cndmask_b32_e64 v27, 0, -1, vcc_lo
	v_cmp_le_u32_e32 vcc_lo, s27, v24
	v_cndmask_b32_e64 v28, 0, -1, vcc_lo
	v_cmp_le_u32_e32 vcc_lo, s26, v21
	;; [unrolled: 2-line block ×3, first 2 shown]
	v_cndmask_b32_e64 v29, 0, -1, vcc_lo
	v_cmp_eq_u32_e32 vcc_lo, s27, v24
	s_delay_alu instid0(VALU_DEP_2) | instskip(SKIP_3) | instid1(VALU_DEP_3)
	v_cndmask_b32_e64 v21, v29, v21, s1
	v_cndmask_b32_e32 v24, v28, v27, vcc_lo
	v_add_co_u32 v27, vcc_lo, v3, 1
	v_add_co_ci_u32_e32 v28, vcc_lo, 0, v23, vcc_lo
	v_cmp_ne_u32_e32 vcc_lo, 0, v24
	s_delay_alu instid0(VALU_DEP_3) | instskip(NEXT) | instid1(VALU_DEP_3)
	v_cndmask_b32_e32 v24, v27, v25, vcc_lo
	v_cndmask_b32_e32 v22, v28, v26, vcc_lo
	v_cmp_ne_u32_e32 vcc_lo, 0, v21
	s_delay_alu instid0(VALU_DEP_3) | instskip(NEXT) | instid1(VALU_DEP_3)
	v_cndmask_b32_e32 v21, v3, v24, vcc_lo
	v_cndmask_b32_e32 v22, v23, v22, vcc_lo
.LBB87_37:                              ;   in Loop: Header=BB87_35 Depth=2
	s_and_not1_saveexec_b32 s1, s44
	s_cbranch_execz .LBB87_39
; %bb.38:                               ;   in Loop: Header=BB87_35 Depth=2
	v_cvt_f32_u32_e32 v3, s26
	s_sub_i32 s44, 0, s26
	s_delay_alu instid0(VALU_DEP_1) | instskip(SKIP_2) | instid1(VALU_DEP_1)
	v_rcp_iflag_f32_e32 v3, v3
	s_waitcnt_depctr 0xfff
	v_mul_f32_e32 v3, 0x4f7ffffe, v3
	v_cvt_u32_f32_e32 v3, v3
	s_delay_alu instid0(VALU_DEP_1) | instskip(NEXT) | instid1(VALU_DEP_1)
	v_mul_lo_u32 v21, s44, v3
	v_mul_hi_u32 v21, v3, v21
	s_delay_alu instid0(VALU_DEP_1) | instskip(NEXT) | instid1(VALU_DEP_1)
	v_add_nc_u32_e32 v3, v3, v21
	v_mul_hi_u32 v3, v15, v3
	s_delay_alu instid0(VALU_DEP_1) | instskip(SKIP_1) | instid1(VALU_DEP_2)
	v_mul_lo_u32 v21, v3, s26
	v_add_nc_u32_e32 v22, 1, v3
	v_sub_nc_u32_e32 v21, v15, v21
	s_delay_alu instid0(VALU_DEP_1) | instskip(SKIP_1) | instid1(VALU_DEP_2)
	v_subrev_nc_u32_e32 v23, s26, v21
	v_cmp_le_u32_e32 vcc_lo, s26, v21
	v_cndmask_b32_e32 v21, v21, v23, vcc_lo
	v_cndmask_b32_e32 v3, v3, v22, vcc_lo
	s_delay_alu instid0(VALU_DEP_2) | instskip(NEXT) | instid1(VALU_DEP_2)
	v_cmp_le_u32_e32 vcc_lo, s26, v21
	v_add_nc_u32_e32 v22, 1, v3
	s_delay_alu instid0(VALU_DEP_1)
	v_dual_cndmask_b32 v21, v3, v22 :: v_dual_mov_b32 v22, v2
.LBB87_39:                              ;   in Loop: Header=BB87_35 Depth=2
	s_or_b32 exec_lo, exec_lo, s1
	s_load_b64 s[44:45], s[24:25], 0xc8
	s_delay_alu instid0(VALU_DEP_1) | instskip(NEXT) | instid1(VALU_DEP_2)
	v_mul_lo_u32 v3, v22, s26
	v_mul_lo_u32 v25, v21, s27
	v_mad_u64_u32 v[23:24], null, v21, s26, 0
	s_add_i32 s43, s43, -1
	s_add_u32 s24, s24, -8
	s_addc_u32 s25, s25, -1
	s_cmp_gt_u32 s43, 2
	s_delay_alu instid0(VALU_DEP_1) | instskip(NEXT) | instid1(VALU_DEP_2)
	v_add3_u32 v3, v24, v25, v3
	v_sub_co_u32 v23, vcc_lo, v15, v23
	s_delay_alu instid0(VALU_DEP_2) | instskip(SKIP_1) | instid1(VALU_DEP_2)
	v_sub_co_ci_u32_e32 v3, vcc_lo, v16, v3, vcc_lo
	s_waitcnt lgkmcnt(0)
	v_mul_lo_u32 v24, s45, v23
	s_delay_alu instid0(VALU_DEP_2) | instskip(SKIP_1) | instid1(VALU_DEP_1)
	v_mul_lo_u32 v3, s44, v3
	v_mad_u64_u32 v[15:16], null, s44, v23, v[17:18]
	v_add3_u32 v18, v24, v16, v3
	s_delay_alu instid0(VALU_DEP_2)
	v_mov_b32_e32 v17, v15
	s_cbranch_scc0 .LBB87_46
; %bb.40:                               ;   in Loop: Header=BB87_35 Depth=2
	v_dual_mov_b32 v15, v21 :: v_dual_mov_b32 v16, v22
	s_branch .LBB87_35
.LBB87_41:                              ;   in Loop: Header=BB87_42 Depth=2
	s_or_b32 exec_lo, exec_lo, s0
	s_load_b64 s[44:45], s[24:25], 0xc8
	s_delay_alu instid0(VALU_DEP_1)
	v_mul_lo_u32 v3, v14, s26
	v_mul_lo_u32 v21, v13, s27
	v_mad_u64_u32 v[19:20], null, v13, s26, 0
	s_add_i32 s42, s42, -1
	s_add_u32 s24, s24, -8
	s_addc_u32 s25, s25, -1
	s_cmp_gt_u32 s42, 2
	s_delay_alu instid0(VALU_DEP_1) | instskip(NEXT) | instid1(VALU_DEP_2)
	v_add3_u32 v3, v20, v21, v3
	v_sub_co_u32 v19, vcc_lo, v15, v19
	s_delay_alu instid0(VALU_DEP_2) | instskip(SKIP_1) | instid1(VALU_DEP_2)
	v_sub_co_ci_u32_e32 v3, vcc_lo, v16, v3, vcc_lo
	s_waitcnt lgkmcnt(0)
	v_mul_lo_u32 v20, s45, v19
	s_delay_alu instid0(VALU_DEP_2) | instskip(SKIP_1) | instid1(VALU_DEP_1)
	v_mul_lo_u32 v3, s44, v3
	v_mad_u64_u32 v[15:16], null, s44, v19, v[17:18]
	v_add3_u32 v18, v20, v16, v3
	s_delay_alu instid0(VALU_DEP_2)
	v_dual_mov_b32 v17, v15 :: v_dual_mov_b32 v16, v14
	v_mov_b32_e32 v15, v13
	s_cbranch_scc0 .LBB87_32
.LBB87_42:                              ;   Parent Loop BB87_3 Depth=1
                                        ; =>  This Inner Loop Header: Depth=2
	s_load_b64 s[26:27], s[24:25], 0x0
                                        ; implicit-def: $vgpr13_vgpr14
	s_mov_b32 s0, exec_lo
	s_waitcnt lgkmcnt(0)
	v_or_b32_e32 v3, s27, v16
	s_delay_alu instid0(VALU_DEP_1)
	v_cmpx_ne_u64_e32 0, v[2:3]
	s_xor_b32 s43, exec_lo, s0
	s_cbranch_execz .LBB87_44
; %bb.43:                               ;   in Loop: Header=BB87_42 Depth=2
	v_cvt_f32_u32_e32 v3, s26
	v_cvt_f32_u32_e32 v13, s27
	s_sub_u32 s0, 0, s26
	s_subb_u32 s44, 0, s27
	s_delay_alu instid0(VALU_DEP_1) | instskip(NEXT) | instid1(VALU_DEP_1)
	v_fmac_f32_e32 v3, 0x4f800000, v13
	v_rcp_f32_e32 v3, v3
	s_waitcnt_depctr 0xfff
	v_mul_f32_e32 v3, 0x5f7ffffc, v3
	s_delay_alu instid0(VALU_DEP_1) | instskip(NEXT) | instid1(VALU_DEP_1)
	v_mul_f32_e32 v13, 0x2f800000, v3
	v_trunc_f32_e32 v13, v13
	s_delay_alu instid0(VALU_DEP_1) | instskip(SKIP_1) | instid1(VALU_DEP_2)
	v_fmac_f32_e32 v3, 0xcf800000, v13
	v_cvt_u32_f32_e32 v13, v13
	v_cvt_u32_f32_e32 v3, v3
	s_delay_alu instid0(VALU_DEP_2) | instskip(NEXT) | instid1(VALU_DEP_2)
	v_mul_lo_u32 v14, s0, v13
	v_mul_hi_u32 v19, s0, v3
	v_mul_lo_u32 v20, s44, v3
	s_delay_alu instid0(VALU_DEP_2) | instskip(SKIP_1) | instid1(VALU_DEP_2)
	v_add_nc_u32_e32 v14, v19, v14
	v_mul_lo_u32 v19, s0, v3
	v_add_nc_u32_e32 v14, v14, v20
	s_delay_alu instid0(VALU_DEP_2) | instskip(NEXT) | instid1(VALU_DEP_2)
	v_mul_hi_u32 v20, v3, v19
	v_mul_lo_u32 v21, v3, v14
	v_mul_hi_u32 v22, v3, v14
	v_mul_hi_u32 v23, v13, v19
	v_mul_lo_u32 v19, v13, v19
	v_mul_hi_u32 v24, v13, v14
	v_mul_lo_u32 v14, v13, v14
	v_add_co_u32 v20, vcc_lo, v20, v21
	v_add_co_ci_u32_e32 v21, vcc_lo, 0, v22, vcc_lo
	s_delay_alu instid0(VALU_DEP_2) | instskip(NEXT) | instid1(VALU_DEP_2)
	v_add_co_u32 v19, vcc_lo, v20, v19
	v_add_co_ci_u32_e32 v19, vcc_lo, v21, v23, vcc_lo
	v_add_co_ci_u32_e32 v20, vcc_lo, 0, v24, vcc_lo
	s_delay_alu instid0(VALU_DEP_2) | instskip(NEXT) | instid1(VALU_DEP_2)
	v_add_co_u32 v14, vcc_lo, v19, v14
	v_add_co_ci_u32_e32 v19, vcc_lo, 0, v20, vcc_lo
	s_delay_alu instid0(VALU_DEP_2) | instskip(NEXT) | instid1(VALU_DEP_2)
	v_add_co_u32 v3, vcc_lo, v3, v14
	v_add_co_ci_u32_e32 v13, vcc_lo, v13, v19, vcc_lo
	s_delay_alu instid0(VALU_DEP_2) | instskip(SKIP_1) | instid1(VALU_DEP_3)
	v_mul_hi_u32 v14, s0, v3
	v_mul_lo_u32 v20, s44, v3
	v_mul_lo_u32 v19, s0, v13
	s_delay_alu instid0(VALU_DEP_1) | instskip(SKIP_1) | instid1(VALU_DEP_2)
	v_add_nc_u32_e32 v14, v14, v19
	v_mul_lo_u32 v19, s0, v3
	v_add_nc_u32_e32 v14, v14, v20
	s_delay_alu instid0(VALU_DEP_2) | instskip(NEXT) | instid1(VALU_DEP_2)
	v_mul_hi_u32 v20, v3, v19
	v_mul_lo_u32 v21, v3, v14
	v_mul_hi_u32 v22, v3, v14
	v_mul_hi_u32 v23, v13, v19
	v_mul_lo_u32 v19, v13, v19
	v_mul_hi_u32 v24, v13, v14
	v_mul_lo_u32 v14, v13, v14
	v_add_co_u32 v20, vcc_lo, v20, v21
	v_add_co_ci_u32_e32 v21, vcc_lo, 0, v22, vcc_lo
	s_delay_alu instid0(VALU_DEP_2) | instskip(NEXT) | instid1(VALU_DEP_2)
	v_add_co_u32 v19, vcc_lo, v20, v19
	v_add_co_ci_u32_e32 v19, vcc_lo, v21, v23, vcc_lo
	v_add_co_ci_u32_e32 v20, vcc_lo, 0, v24, vcc_lo
	s_delay_alu instid0(VALU_DEP_2) | instskip(NEXT) | instid1(VALU_DEP_2)
	v_add_co_u32 v14, vcc_lo, v19, v14
	v_add_co_ci_u32_e32 v19, vcc_lo, 0, v20, vcc_lo
	s_delay_alu instid0(VALU_DEP_2) | instskip(NEXT) | instid1(VALU_DEP_2)
	v_add_co_u32 v3, vcc_lo, v3, v14
	v_add_co_ci_u32_e32 v23, vcc_lo, v13, v19, vcc_lo
	s_delay_alu instid0(VALU_DEP_2) | instskip(SKIP_1) | instid1(VALU_DEP_3)
	v_mul_hi_u32 v24, v15, v3
	v_mad_u64_u32 v[19:20], null, v16, v3, 0
	v_mad_u64_u32 v[13:14], null, v15, v23, 0
	;; [unrolled: 1-line block ×3, first 2 shown]
	s_delay_alu instid0(VALU_DEP_2) | instskip(NEXT) | instid1(VALU_DEP_3)
	v_add_co_u32 v3, vcc_lo, v24, v13
	v_add_co_ci_u32_e32 v13, vcc_lo, 0, v14, vcc_lo
	s_delay_alu instid0(VALU_DEP_2) | instskip(NEXT) | instid1(VALU_DEP_2)
	v_add_co_u32 v3, vcc_lo, v3, v19
	v_add_co_ci_u32_e32 v3, vcc_lo, v13, v20, vcc_lo
	v_add_co_ci_u32_e32 v13, vcc_lo, 0, v22, vcc_lo
	s_delay_alu instid0(VALU_DEP_2) | instskip(NEXT) | instid1(VALU_DEP_2)
	v_add_co_u32 v3, vcc_lo, v3, v21
	v_add_co_ci_u32_e32 v19, vcc_lo, 0, v13, vcc_lo
	s_delay_alu instid0(VALU_DEP_2) | instskip(SKIP_1) | instid1(VALU_DEP_3)
	v_mul_lo_u32 v20, s27, v3
	v_mad_u64_u32 v[13:14], null, s26, v3, 0
	v_mul_lo_u32 v21, s26, v19
	s_delay_alu instid0(VALU_DEP_2) | instskip(NEXT) | instid1(VALU_DEP_2)
	v_sub_co_u32 v13, vcc_lo, v15, v13
	v_add3_u32 v14, v14, v21, v20
	s_delay_alu instid0(VALU_DEP_1) | instskip(NEXT) | instid1(VALU_DEP_1)
	v_sub_nc_u32_e32 v20, v16, v14
	v_subrev_co_ci_u32_e64 v20, s0, s27, v20, vcc_lo
	v_add_co_u32 v21, s0, v3, 2
	s_delay_alu instid0(VALU_DEP_1) | instskip(SKIP_3) | instid1(VALU_DEP_3)
	v_add_co_ci_u32_e64 v22, s0, 0, v19, s0
	v_sub_co_u32 v23, s0, v13, s26
	v_sub_co_ci_u32_e32 v14, vcc_lo, v16, v14, vcc_lo
	v_subrev_co_ci_u32_e64 v20, s0, 0, v20, s0
	v_cmp_le_u32_e32 vcc_lo, s26, v23
	s_delay_alu instid0(VALU_DEP_3) | instskip(SKIP_1) | instid1(VALU_DEP_4)
	v_cmp_eq_u32_e64 s0, s27, v14
	v_cndmask_b32_e64 v23, 0, -1, vcc_lo
	v_cmp_le_u32_e32 vcc_lo, s27, v20
	v_cndmask_b32_e64 v24, 0, -1, vcc_lo
	v_cmp_le_u32_e32 vcc_lo, s26, v13
	;; [unrolled: 2-line block ×3, first 2 shown]
	v_cndmask_b32_e64 v25, 0, -1, vcc_lo
	v_cmp_eq_u32_e32 vcc_lo, s27, v20
	s_delay_alu instid0(VALU_DEP_2) | instskip(SKIP_3) | instid1(VALU_DEP_3)
	v_cndmask_b32_e64 v13, v25, v13, s0
	v_cndmask_b32_e32 v20, v24, v23, vcc_lo
	v_add_co_u32 v23, vcc_lo, v3, 1
	v_add_co_ci_u32_e32 v24, vcc_lo, 0, v19, vcc_lo
	v_cmp_ne_u32_e32 vcc_lo, 0, v20
	s_delay_alu instid0(VALU_DEP_3) | instskip(NEXT) | instid1(VALU_DEP_3)
	v_cndmask_b32_e32 v20, v23, v21, vcc_lo
	v_cndmask_b32_e32 v14, v24, v22, vcc_lo
	v_cmp_ne_u32_e32 vcc_lo, 0, v13
	s_delay_alu instid0(VALU_DEP_3) | instskip(NEXT) | instid1(VALU_DEP_3)
	v_cndmask_b32_e32 v13, v3, v20, vcc_lo
	v_cndmask_b32_e32 v14, v19, v14, vcc_lo
.LBB87_44:                              ;   in Loop: Header=BB87_42 Depth=2
	s_and_not1_saveexec_b32 s0, s43
	s_cbranch_execz .LBB87_41
; %bb.45:                               ;   in Loop: Header=BB87_42 Depth=2
	v_cvt_f32_u32_e32 v3, s26
	s_sub_i32 s43, 0, s26
	s_delay_alu instid0(VALU_DEP_1) | instskip(SKIP_2) | instid1(VALU_DEP_1)
	v_rcp_iflag_f32_e32 v3, v3
	s_waitcnt_depctr 0xfff
	v_mul_f32_e32 v3, 0x4f7ffffe, v3
	v_cvt_u32_f32_e32 v3, v3
	s_delay_alu instid0(VALU_DEP_1) | instskip(NEXT) | instid1(VALU_DEP_1)
	v_mul_lo_u32 v13, s43, v3
	v_mul_hi_u32 v13, v3, v13
	s_delay_alu instid0(VALU_DEP_1) | instskip(NEXT) | instid1(VALU_DEP_1)
	v_add_nc_u32_e32 v3, v3, v13
	v_mul_hi_u32 v3, v15, v3
	s_delay_alu instid0(VALU_DEP_1) | instskip(SKIP_1) | instid1(VALU_DEP_2)
	v_mul_lo_u32 v13, v3, s26
	v_add_nc_u32_e32 v14, 1, v3
	v_sub_nc_u32_e32 v13, v15, v13
	s_delay_alu instid0(VALU_DEP_1) | instskip(SKIP_1) | instid1(VALU_DEP_2)
	v_subrev_nc_u32_e32 v19, s26, v13
	v_cmp_le_u32_e32 vcc_lo, s26, v13
	v_cndmask_b32_e32 v13, v13, v19, vcc_lo
	v_cndmask_b32_e32 v3, v3, v14, vcc_lo
	s_delay_alu instid0(VALU_DEP_2) | instskip(NEXT) | instid1(VALU_DEP_2)
	v_cmp_le_u32_e32 vcc_lo, s26, v13
	v_add_nc_u32_e32 v14, 1, v3
	s_delay_alu instid0(VALU_DEP_1)
	v_dual_cndmask_b32 v13, v3, v14 :: v_dual_mov_b32 v14, v2
	s_branch .LBB87_41
.LBB87_46:                              ;   in Loop: Header=BB87_3 Depth=1
	s_delay_alu instid0(VALU_DEP_1) | instskip(SKIP_2) | instid1(VALU_DEP_1)
	v_mad_u64_u32 v[15:16], null, s14, v21, v[17:18]
	v_mul_lo_u32 v3, s14, v22
	v_mul_lo_u32 v17, s15, v21
	v_add3_u32 v16, v17, v16, v3
.LBB87_47:                              ;   in Loop: Header=BB87_3 Depth=1
	s_or_b32 exec_lo, exec_lo, s42
	v_mov_b32_e32 v17, 0
	v_mov_b32_e32 v18, 0
	s_and_saveexec_b32 s1, s0
	s_cbranch_execz .LBB87_50
; %bb.48:                               ;   in Loop: Header=BB87_3 Depth=1
	v_mov_b32_e32 v21, 0
	v_mov_b32_e32 v22, 0
	s_and_not1_b32 vcc_lo, exec_lo, s29
	s_mov_b64 s[24:25], s[22:23]
	s_mov_b32 s42, s34
	s_cbranch_vccz .LBB87_59
.LBB87_49:                              ;   in Loop: Header=BB87_3 Depth=1
	s_delay_alu instid0(VALU_DEP_1) | instskip(NEXT) | instid1(VALU_DEP_3)
	v_mad_u64_u32 v[17:18], null, s2, v19, v[21:22]
	v_mul_lo_u32 v3, s2, v20
	v_mul_lo_u32 v19, s3, v19
	s_delay_alu instid0(VALU_DEP_1)
	v_add3_u32 v18, v19, v18, v3
.LBB87_50:                              ;   in Loop: Header=BB87_3 Depth=1
	s_or_b32 exec_lo, exec_lo, s1
	v_dual_mov_b32 v22, v5 :: v_dual_mov_b32 v19, 0
	v_or_b32_e32 v21, 3, v4
	v_mov_b32_e32 v20, 0
	v_cmp_lt_i32_e64 s0, 3, v38
	s_delay_alu instid0(VALU_DEP_1)
	s_and_saveexec_b32 s42, s0
	s_cbranch_execz .LBB87_64
; %bb.51:                               ;   in Loop: Header=BB87_3 Depth=1
	v_mov_b32_e32 v23, 0
	v_dual_mov_b32 v24, 0 :: v_dual_mov_b32 v19, v21
	v_mov_b32_e32 v20, v22
	v_dual_mov_b32 v26, v22 :: v_dual_mov_b32 v25, v21
	s_and_not1_b32 vcc_lo, exec_lo, s28
	s_mov_b64 s[24:25], s[20:21]
	s_mov_b32 s43, s33
	s_cbranch_vccnz .LBB87_63
.LBB87_52:                              ;   Parent Loop BB87_3 Depth=1
                                        ; =>  This Inner Loop Header: Depth=2
	s_load_b64 s[26:27], s[24:25], 0x0
                                        ; implicit-def: $vgpr25_vgpr26
	s_mov_b32 s1, exec_lo
	s_waitcnt lgkmcnt(0)
	v_or_b32_e32 v3, s27, v20
	s_delay_alu instid0(VALU_DEP_1)
	v_cmpx_ne_u64_e32 0, v[2:3]
	s_xor_b32 s44, exec_lo, s1
	s_cbranch_execz .LBB87_54
; %bb.53:                               ;   in Loop: Header=BB87_52 Depth=2
	v_cvt_f32_u32_e32 v3, s26
	v_cvt_f32_u32_e32 v25, s27
	s_sub_u32 s1, 0, s26
	s_subb_u32 s45, 0, s27
	s_delay_alu instid0(VALU_DEP_1) | instskip(NEXT) | instid1(VALU_DEP_1)
	v_fmac_f32_e32 v3, 0x4f800000, v25
	v_rcp_f32_e32 v3, v3
	s_waitcnt_depctr 0xfff
	v_mul_f32_e32 v3, 0x5f7ffffc, v3
	s_delay_alu instid0(VALU_DEP_1) | instskip(NEXT) | instid1(VALU_DEP_1)
	v_mul_f32_e32 v25, 0x2f800000, v3
	v_trunc_f32_e32 v25, v25
	s_delay_alu instid0(VALU_DEP_1) | instskip(SKIP_1) | instid1(VALU_DEP_2)
	v_fmac_f32_e32 v3, 0xcf800000, v25
	v_cvt_u32_f32_e32 v25, v25
	v_cvt_u32_f32_e32 v3, v3
	s_delay_alu instid0(VALU_DEP_2) | instskip(NEXT) | instid1(VALU_DEP_2)
	v_mul_lo_u32 v26, s1, v25
	v_mul_hi_u32 v27, s1, v3
	v_mul_lo_u32 v28, s45, v3
	s_delay_alu instid0(VALU_DEP_2) | instskip(SKIP_1) | instid1(VALU_DEP_2)
	v_add_nc_u32_e32 v26, v27, v26
	v_mul_lo_u32 v27, s1, v3
	v_add_nc_u32_e32 v26, v26, v28
	s_delay_alu instid0(VALU_DEP_2) | instskip(NEXT) | instid1(VALU_DEP_2)
	v_mul_hi_u32 v28, v3, v27
	v_mul_lo_u32 v29, v3, v26
	v_mul_hi_u32 v30, v3, v26
	v_mul_hi_u32 v31, v25, v27
	v_mul_lo_u32 v27, v25, v27
	v_mul_hi_u32 v32, v25, v26
	v_mul_lo_u32 v26, v25, v26
	v_add_co_u32 v28, vcc_lo, v28, v29
	v_add_co_ci_u32_e32 v29, vcc_lo, 0, v30, vcc_lo
	s_delay_alu instid0(VALU_DEP_2) | instskip(NEXT) | instid1(VALU_DEP_2)
	v_add_co_u32 v27, vcc_lo, v28, v27
	v_add_co_ci_u32_e32 v27, vcc_lo, v29, v31, vcc_lo
	v_add_co_ci_u32_e32 v28, vcc_lo, 0, v32, vcc_lo
	s_delay_alu instid0(VALU_DEP_2) | instskip(NEXT) | instid1(VALU_DEP_2)
	v_add_co_u32 v26, vcc_lo, v27, v26
	v_add_co_ci_u32_e32 v27, vcc_lo, 0, v28, vcc_lo
	s_delay_alu instid0(VALU_DEP_2) | instskip(NEXT) | instid1(VALU_DEP_2)
	v_add_co_u32 v3, vcc_lo, v3, v26
	v_add_co_ci_u32_e32 v25, vcc_lo, v25, v27, vcc_lo
	s_delay_alu instid0(VALU_DEP_2) | instskip(SKIP_1) | instid1(VALU_DEP_3)
	v_mul_hi_u32 v26, s1, v3
	v_mul_lo_u32 v28, s45, v3
	v_mul_lo_u32 v27, s1, v25
	s_delay_alu instid0(VALU_DEP_1) | instskip(SKIP_1) | instid1(VALU_DEP_2)
	v_add_nc_u32_e32 v26, v26, v27
	v_mul_lo_u32 v27, s1, v3
	v_add_nc_u32_e32 v26, v26, v28
	s_delay_alu instid0(VALU_DEP_2) | instskip(NEXT) | instid1(VALU_DEP_2)
	v_mul_hi_u32 v28, v3, v27
	v_mul_lo_u32 v29, v3, v26
	v_mul_hi_u32 v30, v3, v26
	v_mul_hi_u32 v31, v25, v27
	v_mul_lo_u32 v27, v25, v27
	v_mul_hi_u32 v32, v25, v26
	v_mul_lo_u32 v26, v25, v26
	v_add_co_u32 v28, vcc_lo, v28, v29
	v_add_co_ci_u32_e32 v29, vcc_lo, 0, v30, vcc_lo
	s_delay_alu instid0(VALU_DEP_2) | instskip(NEXT) | instid1(VALU_DEP_2)
	v_add_co_u32 v27, vcc_lo, v28, v27
	v_add_co_ci_u32_e32 v27, vcc_lo, v29, v31, vcc_lo
	v_add_co_ci_u32_e32 v28, vcc_lo, 0, v32, vcc_lo
	s_delay_alu instid0(VALU_DEP_2) | instskip(NEXT) | instid1(VALU_DEP_2)
	v_add_co_u32 v26, vcc_lo, v27, v26
	v_add_co_ci_u32_e32 v27, vcc_lo, 0, v28, vcc_lo
	s_delay_alu instid0(VALU_DEP_2) | instskip(NEXT) | instid1(VALU_DEP_2)
	v_add_co_u32 v3, vcc_lo, v3, v26
	v_add_co_ci_u32_e32 v31, vcc_lo, v25, v27, vcc_lo
	s_delay_alu instid0(VALU_DEP_2) | instskip(SKIP_1) | instid1(VALU_DEP_3)
	v_mul_hi_u32 v32, v19, v3
	v_mad_u64_u32 v[27:28], null, v20, v3, 0
	v_mad_u64_u32 v[25:26], null, v19, v31, 0
	;; [unrolled: 1-line block ×3, first 2 shown]
	s_delay_alu instid0(VALU_DEP_2) | instskip(NEXT) | instid1(VALU_DEP_3)
	v_add_co_u32 v3, vcc_lo, v32, v25
	v_add_co_ci_u32_e32 v25, vcc_lo, 0, v26, vcc_lo
	s_delay_alu instid0(VALU_DEP_2) | instskip(NEXT) | instid1(VALU_DEP_2)
	v_add_co_u32 v3, vcc_lo, v3, v27
	v_add_co_ci_u32_e32 v3, vcc_lo, v25, v28, vcc_lo
	v_add_co_ci_u32_e32 v25, vcc_lo, 0, v30, vcc_lo
	s_delay_alu instid0(VALU_DEP_2) | instskip(NEXT) | instid1(VALU_DEP_2)
	v_add_co_u32 v3, vcc_lo, v3, v29
	v_add_co_ci_u32_e32 v27, vcc_lo, 0, v25, vcc_lo
	s_delay_alu instid0(VALU_DEP_2) | instskip(SKIP_1) | instid1(VALU_DEP_3)
	v_mul_lo_u32 v28, s27, v3
	v_mad_u64_u32 v[25:26], null, s26, v3, 0
	v_mul_lo_u32 v29, s26, v27
	s_delay_alu instid0(VALU_DEP_2) | instskip(NEXT) | instid1(VALU_DEP_2)
	v_sub_co_u32 v25, vcc_lo, v19, v25
	v_add3_u32 v26, v26, v29, v28
	s_delay_alu instid0(VALU_DEP_1) | instskip(NEXT) | instid1(VALU_DEP_1)
	v_sub_nc_u32_e32 v28, v20, v26
	v_subrev_co_ci_u32_e64 v28, s1, s27, v28, vcc_lo
	v_add_co_u32 v29, s1, v3, 2
	s_delay_alu instid0(VALU_DEP_1) | instskip(SKIP_3) | instid1(VALU_DEP_3)
	v_add_co_ci_u32_e64 v30, s1, 0, v27, s1
	v_sub_co_u32 v31, s1, v25, s26
	v_sub_co_ci_u32_e32 v26, vcc_lo, v20, v26, vcc_lo
	v_subrev_co_ci_u32_e64 v28, s1, 0, v28, s1
	v_cmp_le_u32_e32 vcc_lo, s26, v31
	s_delay_alu instid0(VALU_DEP_3) | instskip(SKIP_1) | instid1(VALU_DEP_4)
	v_cmp_eq_u32_e64 s1, s27, v26
	v_cndmask_b32_e64 v31, 0, -1, vcc_lo
	v_cmp_le_u32_e32 vcc_lo, s27, v28
	v_cndmask_b32_e64 v32, 0, -1, vcc_lo
	v_cmp_le_u32_e32 vcc_lo, s26, v25
	;; [unrolled: 2-line block ×3, first 2 shown]
	v_cndmask_b32_e64 v33, 0, -1, vcc_lo
	v_cmp_eq_u32_e32 vcc_lo, s27, v28
	s_delay_alu instid0(VALU_DEP_2) | instskip(SKIP_3) | instid1(VALU_DEP_3)
	v_cndmask_b32_e64 v25, v33, v25, s1
	v_cndmask_b32_e32 v28, v32, v31, vcc_lo
	v_add_co_u32 v31, vcc_lo, v3, 1
	v_add_co_ci_u32_e32 v32, vcc_lo, 0, v27, vcc_lo
	v_cmp_ne_u32_e32 vcc_lo, 0, v28
	s_delay_alu instid0(VALU_DEP_3) | instskip(NEXT) | instid1(VALU_DEP_3)
	v_cndmask_b32_e32 v28, v31, v29, vcc_lo
	v_cndmask_b32_e32 v26, v32, v30, vcc_lo
	v_cmp_ne_u32_e32 vcc_lo, 0, v25
	s_delay_alu instid0(VALU_DEP_3) | instskip(NEXT) | instid1(VALU_DEP_3)
	v_cndmask_b32_e32 v25, v3, v28, vcc_lo
	v_cndmask_b32_e32 v26, v27, v26, vcc_lo
.LBB87_54:                              ;   in Loop: Header=BB87_52 Depth=2
	s_and_not1_saveexec_b32 s1, s44
	s_cbranch_execz .LBB87_56
; %bb.55:                               ;   in Loop: Header=BB87_52 Depth=2
	v_cvt_f32_u32_e32 v3, s26
	s_sub_i32 s44, 0, s26
	s_delay_alu instid0(VALU_DEP_1) | instskip(SKIP_2) | instid1(VALU_DEP_1)
	v_rcp_iflag_f32_e32 v3, v3
	s_waitcnt_depctr 0xfff
	v_mul_f32_e32 v3, 0x4f7ffffe, v3
	v_cvt_u32_f32_e32 v3, v3
	s_delay_alu instid0(VALU_DEP_1) | instskip(NEXT) | instid1(VALU_DEP_1)
	v_mul_lo_u32 v25, s44, v3
	v_mul_hi_u32 v25, v3, v25
	s_delay_alu instid0(VALU_DEP_1) | instskip(NEXT) | instid1(VALU_DEP_1)
	v_add_nc_u32_e32 v3, v3, v25
	v_mul_hi_u32 v3, v19, v3
	s_delay_alu instid0(VALU_DEP_1) | instskip(SKIP_1) | instid1(VALU_DEP_2)
	v_mul_lo_u32 v25, v3, s26
	v_add_nc_u32_e32 v26, 1, v3
	v_sub_nc_u32_e32 v25, v19, v25
	s_delay_alu instid0(VALU_DEP_1) | instskip(SKIP_1) | instid1(VALU_DEP_2)
	v_subrev_nc_u32_e32 v27, s26, v25
	v_cmp_le_u32_e32 vcc_lo, s26, v25
	v_cndmask_b32_e32 v25, v25, v27, vcc_lo
	v_cndmask_b32_e32 v3, v3, v26, vcc_lo
	s_delay_alu instid0(VALU_DEP_2) | instskip(NEXT) | instid1(VALU_DEP_2)
	v_cmp_le_u32_e32 vcc_lo, s26, v25
	v_add_nc_u32_e32 v26, 1, v3
	s_delay_alu instid0(VALU_DEP_1)
	v_dual_cndmask_b32 v25, v3, v26 :: v_dual_mov_b32 v26, v2
.LBB87_56:                              ;   in Loop: Header=BB87_52 Depth=2
	s_or_b32 exec_lo, exec_lo, s1
	s_load_b64 s[44:45], s[24:25], 0xc8
	s_delay_alu instid0(VALU_DEP_1) | instskip(NEXT) | instid1(VALU_DEP_2)
	v_mul_lo_u32 v3, v26, s26
	v_mul_lo_u32 v29, v25, s27
	v_mad_u64_u32 v[27:28], null, v25, s26, 0
	s_add_i32 s43, s43, -1
	s_add_u32 s24, s24, -8
	s_addc_u32 s25, s25, -1
	s_cmp_gt_u32 s43, 2
	s_delay_alu instid0(VALU_DEP_1) | instskip(NEXT) | instid1(VALU_DEP_2)
	v_add3_u32 v3, v28, v29, v3
	v_sub_co_u32 v27, vcc_lo, v19, v27
	s_delay_alu instid0(VALU_DEP_2) | instskip(SKIP_1) | instid1(VALU_DEP_2)
	v_sub_co_ci_u32_e32 v3, vcc_lo, v20, v3, vcc_lo
	s_waitcnt lgkmcnt(0)
	v_mul_lo_u32 v28, s45, v27
	s_delay_alu instid0(VALU_DEP_2) | instskip(SKIP_1) | instid1(VALU_DEP_1)
	v_mul_lo_u32 v3, s44, v3
	v_mad_u64_u32 v[19:20], null, s44, v27, v[23:24]
	v_add3_u32 v24, v28, v20, v3
	s_delay_alu instid0(VALU_DEP_2)
	v_mov_b32_e32 v23, v19
	s_cbranch_scc0 .LBB87_63
; %bb.57:                               ;   in Loop: Header=BB87_52 Depth=2
	v_dual_mov_b32 v19, v25 :: v_dual_mov_b32 v20, v26
	s_branch .LBB87_52
.LBB87_58:                              ;   in Loop: Header=BB87_59 Depth=2
	s_or_b32 exec_lo, exec_lo, s0
	s_load_b64 s[44:45], s[24:25], 0xc8
	s_delay_alu instid0(VALU_DEP_1)
	v_mul_lo_u32 v3, v18, s26
	v_mul_lo_u32 v25, v17, s27
	v_mad_u64_u32 v[23:24], null, v17, s26, 0
	s_add_i32 s42, s42, -1
	s_add_u32 s24, s24, -8
	s_addc_u32 s25, s25, -1
	s_cmp_gt_u32 s42, 2
	s_delay_alu instid0(VALU_DEP_1) | instskip(NEXT) | instid1(VALU_DEP_2)
	v_add3_u32 v3, v24, v25, v3
	v_sub_co_u32 v23, vcc_lo, v19, v23
	s_delay_alu instid0(VALU_DEP_2) | instskip(SKIP_1) | instid1(VALU_DEP_2)
	v_sub_co_ci_u32_e32 v3, vcc_lo, v20, v3, vcc_lo
	s_waitcnt lgkmcnt(0)
	v_mul_lo_u32 v24, s45, v23
	s_delay_alu instid0(VALU_DEP_2) | instskip(SKIP_1) | instid1(VALU_DEP_1)
	v_mul_lo_u32 v3, s44, v3
	v_mad_u64_u32 v[19:20], null, s44, v23, v[21:22]
	v_add3_u32 v22, v24, v20, v3
	s_delay_alu instid0(VALU_DEP_2)
	v_dual_mov_b32 v21, v19 :: v_dual_mov_b32 v20, v18
	v_mov_b32_e32 v19, v17
	s_cbranch_scc0 .LBB87_49
.LBB87_59:                              ;   Parent Loop BB87_3 Depth=1
                                        ; =>  This Inner Loop Header: Depth=2
	s_load_b64 s[26:27], s[24:25], 0x0
                                        ; implicit-def: $vgpr17_vgpr18
	s_mov_b32 s0, exec_lo
	s_waitcnt lgkmcnt(0)
	v_or_b32_e32 v3, s27, v20
	s_delay_alu instid0(VALU_DEP_1)
	v_cmpx_ne_u64_e32 0, v[2:3]
	s_xor_b32 s43, exec_lo, s0
	s_cbranch_execz .LBB87_61
; %bb.60:                               ;   in Loop: Header=BB87_59 Depth=2
	v_cvt_f32_u32_e32 v3, s26
	v_cvt_f32_u32_e32 v17, s27
	s_sub_u32 s0, 0, s26
	s_subb_u32 s44, 0, s27
	s_delay_alu instid0(VALU_DEP_1) | instskip(NEXT) | instid1(VALU_DEP_1)
	v_fmac_f32_e32 v3, 0x4f800000, v17
	v_rcp_f32_e32 v3, v3
	s_waitcnt_depctr 0xfff
	v_mul_f32_e32 v3, 0x5f7ffffc, v3
	s_delay_alu instid0(VALU_DEP_1) | instskip(NEXT) | instid1(VALU_DEP_1)
	v_mul_f32_e32 v17, 0x2f800000, v3
	v_trunc_f32_e32 v17, v17
	s_delay_alu instid0(VALU_DEP_1) | instskip(SKIP_1) | instid1(VALU_DEP_2)
	v_fmac_f32_e32 v3, 0xcf800000, v17
	v_cvt_u32_f32_e32 v17, v17
	v_cvt_u32_f32_e32 v3, v3
	s_delay_alu instid0(VALU_DEP_2) | instskip(NEXT) | instid1(VALU_DEP_2)
	v_mul_lo_u32 v18, s0, v17
	v_mul_hi_u32 v23, s0, v3
	v_mul_lo_u32 v24, s44, v3
	s_delay_alu instid0(VALU_DEP_2) | instskip(SKIP_1) | instid1(VALU_DEP_2)
	v_add_nc_u32_e32 v18, v23, v18
	v_mul_lo_u32 v23, s0, v3
	v_add_nc_u32_e32 v18, v18, v24
	s_delay_alu instid0(VALU_DEP_2) | instskip(NEXT) | instid1(VALU_DEP_2)
	v_mul_hi_u32 v24, v3, v23
	v_mul_lo_u32 v25, v3, v18
	v_mul_hi_u32 v26, v3, v18
	v_mul_hi_u32 v27, v17, v23
	v_mul_lo_u32 v23, v17, v23
	v_mul_hi_u32 v28, v17, v18
	v_mul_lo_u32 v18, v17, v18
	v_add_co_u32 v24, vcc_lo, v24, v25
	v_add_co_ci_u32_e32 v25, vcc_lo, 0, v26, vcc_lo
	s_delay_alu instid0(VALU_DEP_2) | instskip(NEXT) | instid1(VALU_DEP_2)
	v_add_co_u32 v23, vcc_lo, v24, v23
	v_add_co_ci_u32_e32 v23, vcc_lo, v25, v27, vcc_lo
	v_add_co_ci_u32_e32 v24, vcc_lo, 0, v28, vcc_lo
	s_delay_alu instid0(VALU_DEP_2) | instskip(NEXT) | instid1(VALU_DEP_2)
	v_add_co_u32 v18, vcc_lo, v23, v18
	v_add_co_ci_u32_e32 v23, vcc_lo, 0, v24, vcc_lo
	s_delay_alu instid0(VALU_DEP_2) | instskip(NEXT) | instid1(VALU_DEP_2)
	v_add_co_u32 v3, vcc_lo, v3, v18
	v_add_co_ci_u32_e32 v17, vcc_lo, v17, v23, vcc_lo
	s_delay_alu instid0(VALU_DEP_2) | instskip(SKIP_1) | instid1(VALU_DEP_3)
	v_mul_hi_u32 v18, s0, v3
	v_mul_lo_u32 v24, s44, v3
	v_mul_lo_u32 v23, s0, v17
	s_delay_alu instid0(VALU_DEP_1) | instskip(SKIP_1) | instid1(VALU_DEP_2)
	v_add_nc_u32_e32 v18, v18, v23
	v_mul_lo_u32 v23, s0, v3
	v_add_nc_u32_e32 v18, v18, v24
	s_delay_alu instid0(VALU_DEP_2) | instskip(NEXT) | instid1(VALU_DEP_2)
	v_mul_hi_u32 v24, v3, v23
	v_mul_lo_u32 v25, v3, v18
	v_mul_hi_u32 v26, v3, v18
	v_mul_hi_u32 v27, v17, v23
	v_mul_lo_u32 v23, v17, v23
	v_mul_hi_u32 v28, v17, v18
	v_mul_lo_u32 v18, v17, v18
	v_add_co_u32 v24, vcc_lo, v24, v25
	v_add_co_ci_u32_e32 v25, vcc_lo, 0, v26, vcc_lo
	s_delay_alu instid0(VALU_DEP_2) | instskip(NEXT) | instid1(VALU_DEP_2)
	v_add_co_u32 v23, vcc_lo, v24, v23
	v_add_co_ci_u32_e32 v23, vcc_lo, v25, v27, vcc_lo
	v_add_co_ci_u32_e32 v24, vcc_lo, 0, v28, vcc_lo
	s_delay_alu instid0(VALU_DEP_2) | instskip(NEXT) | instid1(VALU_DEP_2)
	v_add_co_u32 v18, vcc_lo, v23, v18
	v_add_co_ci_u32_e32 v23, vcc_lo, 0, v24, vcc_lo
	s_delay_alu instid0(VALU_DEP_2) | instskip(NEXT) | instid1(VALU_DEP_2)
	v_add_co_u32 v3, vcc_lo, v3, v18
	v_add_co_ci_u32_e32 v27, vcc_lo, v17, v23, vcc_lo
	s_delay_alu instid0(VALU_DEP_2) | instskip(SKIP_1) | instid1(VALU_DEP_3)
	v_mul_hi_u32 v28, v19, v3
	v_mad_u64_u32 v[23:24], null, v20, v3, 0
	v_mad_u64_u32 v[17:18], null, v19, v27, 0
	;; [unrolled: 1-line block ×3, first 2 shown]
	s_delay_alu instid0(VALU_DEP_2) | instskip(NEXT) | instid1(VALU_DEP_3)
	v_add_co_u32 v3, vcc_lo, v28, v17
	v_add_co_ci_u32_e32 v17, vcc_lo, 0, v18, vcc_lo
	s_delay_alu instid0(VALU_DEP_2) | instskip(NEXT) | instid1(VALU_DEP_2)
	v_add_co_u32 v3, vcc_lo, v3, v23
	v_add_co_ci_u32_e32 v3, vcc_lo, v17, v24, vcc_lo
	v_add_co_ci_u32_e32 v17, vcc_lo, 0, v26, vcc_lo
	s_delay_alu instid0(VALU_DEP_2) | instskip(NEXT) | instid1(VALU_DEP_2)
	v_add_co_u32 v3, vcc_lo, v3, v25
	v_add_co_ci_u32_e32 v23, vcc_lo, 0, v17, vcc_lo
	s_delay_alu instid0(VALU_DEP_2) | instskip(SKIP_1) | instid1(VALU_DEP_3)
	v_mul_lo_u32 v24, s27, v3
	v_mad_u64_u32 v[17:18], null, s26, v3, 0
	v_mul_lo_u32 v25, s26, v23
	s_delay_alu instid0(VALU_DEP_2) | instskip(NEXT) | instid1(VALU_DEP_2)
	v_sub_co_u32 v17, vcc_lo, v19, v17
	v_add3_u32 v18, v18, v25, v24
	s_delay_alu instid0(VALU_DEP_1) | instskip(NEXT) | instid1(VALU_DEP_1)
	v_sub_nc_u32_e32 v24, v20, v18
	v_subrev_co_ci_u32_e64 v24, s0, s27, v24, vcc_lo
	v_add_co_u32 v25, s0, v3, 2
	s_delay_alu instid0(VALU_DEP_1) | instskip(SKIP_3) | instid1(VALU_DEP_3)
	v_add_co_ci_u32_e64 v26, s0, 0, v23, s0
	v_sub_co_u32 v27, s0, v17, s26
	v_sub_co_ci_u32_e32 v18, vcc_lo, v20, v18, vcc_lo
	v_subrev_co_ci_u32_e64 v24, s0, 0, v24, s0
	v_cmp_le_u32_e32 vcc_lo, s26, v27
	s_delay_alu instid0(VALU_DEP_3) | instskip(SKIP_1) | instid1(VALU_DEP_4)
	v_cmp_eq_u32_e64 s0, s27, v18
	v_cndmask_b32_e64 v27, 0, -1, vcc_lo
	v_cmp_le_u32_e32 vcc_lo, s27, v24
	v_cndmask_b32_e64 v28, 0, -1, vcc_lo
	v_cmp_le_u32_e32 vcc_lo, s26, v17
	;; [unrolled: 2-line block ×3, first 2 shown]
	v_cndmask_b32_e64 v29, 0, -1, vcc_lo
	v_cmp_eq_u32_e32 vcc_lo, s27, v24
	s_delay_alu instid0(VALU_DEP_2) | instskip(SKIP_3) | instid1(VALU_DEP_3)
	v_cndmask_b32_e64 v17, v29, v17, s0
	v_cndmask_b32_e32 v24, v28, v27, vcc_lo
	v_add_co_u32 v27, vcc_lo, v3, 1
	v_add_co_ci_u32_e32 v28, vcc_lo, 0, v23, vcc_lo
	v_cmp_ne_u32_e32 vcc_lo, 0, v24
	s_delay_alu instid0(VALU_DEP_3) | instskip(NEXT) | instid1(VALU_DEP_3)
	v_cndmask_b32_e32 v24, v27, v25, vcc_lo
	v_cndmask_b32_e32 v18, v28, v26, vcc_lo
	v_cmp_ne_u32_e32 vcc_lo, 0, v17
	s_delay_alu instid0(VALU_DEP_3) | instskip(NEXT) | instid1(VALU_DEP_3)
	v_cndmask_b32_e32 v17, v3, v24, vcc_lo
	v_cndmask_b32_e32 v18, v23, v18, vcc_lo
.LBB87_61:                              ;   in Loop: Header=BB87_59 Depth=2
	s_and_not1_saveexec_b32 s0, s43
	s_cbranch_execz .LBB87_58
; %bb.62:                               ;   in Loop: Header=BB87_59 Depth=2
	v_cvt_f32_u32_e32 v3, s26
	s_sub_i32 s43, 0, s26
	s_delay_alu instid0(VALU_DEP_1) | instskip(SKIP_2) | instid1(VALU_DEP_1)
	v_rcp_iflag_f32_e32 v3, v3
	s_waitcnt_depctr 0xfff
	v_mul_f32_e32 v3, 0x4f7ffffe, v3
	v_cvt_u32_f32_e32 v3, v3
	s_delay_alu instid0(VALU_DEP_1) | instskip(NEXT) | instid1(VALU_DEP_1)
	v_mul_lo_u32 v17, s43, v3
	v_mul_hi_u32 v17, v3, v17
	s_delay_alu instid0(VALU_DEP_1) | instskip(NEXT) | instid1(VALU_DEP_1)
	v_add_nc_u32_e32 v3, v3, v17
	v_mul_hi_u32 v3, v19, v3
	s_delay_alu instid0(VALU_DEP_1) | instskip(SKIP_1) | instid1(VALU_DEP_2)
	v_mul_lo_u32 v17, v3, s26
	v_add_nc_u32_e32 v18, 1, v3
	v_sub_nc_u32_e32 v17, v19, v17
	s_delay_alu instid0(VALU_DEP_1) | instskip(SKIP_1) | instid1(VALU_DEP_2)
	v_subrev_nc_u32_e32 v23, s26, v17
	v_cmp_le_u32_e32 vcc_lo, s26, v17
	v_cndmask_b32_e32 v17, v17, v23, vcc_lo
	v_cndmask_b32_e32 v3, v3, v18, vcc_lo
	s_delay_alu instid0(VALU_DEP_2) | instskip(NEXT) | instid1(VALU_DEP_2)
	v_cmp_le_u32_e32 vcc_lo, s26, v17
	v_add_nc_u32_e32 v18, 1, v3
	s_delay_alu instid0(VALU_DEP_1)
	v_dual_cndmask_b32 v17, v3, v18 :: v_dual_mov_b32 v18, v2
	s_branch .LBB87_58
.LBB87_63:                              ;   in Loop: Header=BB87_3 Depth=1
	s_delay_alu instid0(VALU_DEP_1) | instskip(SKIP_2) | instid1(VALU_DEP_1)
	v_mad_u64_u32 v[19:20], null, s14, v25, v[23:24]
	v_mul_lo_u32 v3, s14, v26
	v_mul_lo_u32 v23, s15, v25
	v_add3_u32 v20, v23, v20, v3
.LBB87_64:                              ;   in Loop: Header=BB87_3 Depth=1
	s_or_b32 exec_lo, exec_lo, s42
	v_mov_b32_e32 v25, 0
	v_mov_b32_e32 v26, 0
	s_and_saveexec_b32 s1, s0
	s_cbranch_execz .LBB87_67
; %bb.65:                               ;   in Loop: Header=BB87_3 Depth=1
	v_mov_b32_e32 v23, 0
	v_mov_b32_e32 v24, 0
	s_and_not1_b32 vcc_lo, exec_lo, s29
	s_mov_b64 s[24:25], s[22:23]
	s_mov_b32 s42, s34
	s_cbranch_vccz .LBB87_97
.LBB87_66:                              ;   in Loop: Header=BB87_3 Depth=1
	s_delay_alu instid0(VALU_DEP_1) | instskip(NEXT) | instid1(VALU_DEP_2)
	v_mad_u64_u32 v[25:26], null, s2, v21, v[23:24]
	v_mul_lo_u32 v3, s2, v22
	v_mul_lo_u32 v21, s3, v21
	s_delay_alu instid0(VALU_DEP_1)
	v_add3_u32 v26, v21, v26, v3
.LBB87_67:                              ;   in Loop: Header=BB87_3 Depth=1
	s_or_b32 exec_lo, exec_lo, s1
	s_delay_alu instid0(VALU_DEP_1) | instskip(SKIP_2) | instid1(VALU_DEP_3)
	v_lshlrev_b64 v[21:22], 2, v[25:26]
	v_dual_mov_b32 v26, s9 :: v_dual_mov_b32 v25, s8
	v_dual_mov_b32 v28, s7 :: v_dual_mov_b32 v27, s6
	v_add_co_u32 v21, vcc_lo, s12, v21
	s_delay_alu instid0(VALU_DEP_4)
	v_add_co_ci_u32_e32 v22, vcc_lo, s13, v22, vcc_lo
	s_and_not1_b32 vcc_lo, exec_lo, s30
	global_load_b32 v3, v[21:22], off
	s_cbranch_vccnz .LBB87_69
; %bb.68:                               ;   in Loop: Header=BB87_3 Depth=1
	v_dual_mov_b32 v22, s9 :: v_dual_mov_b32 v21, s8
	v_dual_mov_b32 v24, s7 :: v_dual_mov_b32 v23, s6
	flat_load_b64 v[21:22], v[21:22]
	flat_load_b64 v[27:28], v[23:24]
	s_waitcnt vmcnt(1) lgkmcnt(1)
	v_add_co_u32 v25, vcc_lo, v21, s10
	v_add_co_ci_u32_e32 v26, vcc_lo, s11, v22, vcc_lo
.LBB87_69:                              ;   in Loop: Header=BB87_3 Depth=1
	s_delay_alu instid0(VALU_DEP_1)
	v_alignbit_b32 v24, v26, v25, 2
	v_lshrrev_b32_e32 v23, 2, v26
	s_waitcnt vmcnt(0) lgkmcnt(0)
	v_add_nc_u32_e32 v39, 0x9e3779b9, v27
	v_add_nc_u32_e32 v41, 0x76cf5d0a, v28
	;; [unrolled: 1-line block ×3, first 2 shown]
	v_add_co_u32 v26, vcc_lo, v24, 1
	s_delay_alu instid0(VALU_DEP_1) | instskip(SKIP_4) | instid1(VALU_DEP_4)
	v_cndmask_b32_e64 v21, 0, 1, vcc_lo
	v_add_co_ci_u32_e32 v35, vcc_lo, 0, v23, vcc_lo
	v_xor3_b32 v31, v0, v27, v23
	v_add_nc_u32_e32 v43, 0x32370b8f, v28
	v_add_nc_u32_e32 v44, 0xed9eba14, v28
	v_cmp_eq_u32_e32 vcc_lo, 0, v35
	v_add_nc_u32_e32 v45, 0x1715609d, v27
	v_add_nc_u32_e32 v46, 0xa9066899, v28
	s_mov_b32 s0, exec_lo
	v_dual_cndmask_b32 v29, 0, v21 :: v_dual_add_nc_u32 v40, 0xbb67ae85, v28
	v_mad_u64_u32 v[21:22], null, 0xd2511f53, v26, 0
	s_delay_alu instid0(VALU_DEP_2) | instskip(NEXT) | instid1(VALU_DEP_2)
	v_add_nc_u32_e32 v26, v29, v1
	v_xor_b32_e32 v30, v22, v28
	s_delay_alu instid0(VALU_DEP_2) | instskip(SKIP_2) | instid1(VALU_DEP_1)
	v_cmp_eq_u32_e32 vcc_lo, 0, v26
	v_mad_u64_u32 v[22:23], null, 0xd2511f53, v24, 0
	v_cndmask_b32_e32 v29, 0, v29, vcc_lo
	v_xor_b32_e32 v24, v29, v30
	v_mad_u64_u32 v[29:30], null, 0xd2511f53, v31, 0
	v_mad_u64_u32 v[31:32], null, 0xcd9e8d57, v26, 0
	v_add_nc_u32_e32 v26, 0x3c6ef372, v27
	s_delay_alu instid0(VALU_DEP_4) | instskip(SKIP_2) | instid1(VALU_DEP_2)
	v_mad_u64_u32 v[33:34], null, 0xcd9e8d57, v24, 0
	v_xor_b32_e32 v24, v23, v28
	v_xor3_b32 v36, v40, v30, v22
	v_mad_u64_u32 v[22:23], null, 0xcd9e8d57, v24, 0
	v_xor3_b32 v24, v32, v27, v35
	v_xor3_b32 v32, v39, v34, v31
	s_delay_alu instid0(VALU_DEP_4) | instskip(NEXT) | instid1(VALU_DEP_3)
	v_mad_u64_u32 v[30:31], null, 0xcd9e8d57, v36, 0
	v_mad_u64_u32 v[34:35], null, 0xd2511f53, v24, 0
	s_delay_alu instid0(VALU_DEP_3) | instskip(SKIP_1) | instid1(VALU_DEP_4)
	v_mad_u64_u32 v[36:37], null, 0xd2511f53, v32, 0
	v_xor3_b32 v24, v6, v23, v39
	v_xor3_b32 v39, v26, v31, v22
	s_delay_alu instid0(VALU_DEP_4) | instskip(NEXT) | instid1(VALU_DEP_3)
	v_xor3_b32 v21, v40, v35, v21
	v_mad_u64_u32 v[22:23], null, 0xd2511f53, v24, 0
	v_xor3_b32 v24, v41, v37, v34
	s_delay_alu instid0(VALU_DEP_4) | instskip(NEXT) | instid1(VALU_DEP_4)
	v_mad_u64_u32 v[31:32], null, 0xd2511f53, v39, 0
	v_mad_u64_u32 v[34:35], null, 0xcd9e8d57, v21, 0
	s_delay_alu instid0(VALU_DEP_3) | instskip(SKIP_4) | instid1(VALU_DEP_4)
	v_mad_u64_u32 v[39:40], null, 0xcd9e8d57, v24, 0
	v_xor3_b32 v23, v41, v23, v29
	v_add_nc_u32_e32 v37, 0x78dde6e4, v27
	v_xor3_b32 v29, v43, v32, v22
	v_xor3_b32 v26, v26, v35, v33
	v_mad_u64_u32 v[21:22], null, 0xcd9e8d57, v23, 0
	v_xor3_b32 v40, v42, v40, v34
	s_delay_alu instid0(VALU_DEP_4) | instskip(NEXT) | instid1(VALU_DEP_4)
	v_mad_u64_u32 v[23:24], null, 0xcd9e8d57, v29, 0
	v_mad_u64_u32 v[32:33], null, 0xd2511f53, v26, 0
	s_delay_alu instid0(VALU_DEP_3) | instskip(SKIP_1) | instid1(VALU_DEP_4)
	v_mad_u64_u32 v[34:35], null, 0xd2511f53, v40, 0
	v_xor3_b32 v26, v42, v22, v30
	v_xor3_b32 v24, v37, v24, v21
	s_delay_alu instid0(VALU_DEP_2) | instskip(SKIP_2) | instid1(VALU_DEP_4)
	v_mad_u64_u32 v[21:22], null, 0xd2511f53, v26, 0
	v_xor3_b32 v26, v43, v33, v36
	v_xor3_b32 v32, v44, v35, v32
	v_mad_u64_u32 v[35:36], null, 0xd2511f53, v24, 0
	s_delay_alu instid0(VALU_DEP_3) | instskip(NEXT) | instid1(VALU_DEP_3)
	v_mad_u64_u32 v[29:30], null, 0xcd9e8d57, v26, 0
	v_mad_u64_u32 v[40:41], null, 0xcd9e8d57, v32, 0
	v_xor3_b32 v24, v44, v22, v31
	s_delay_alu instid0(VALU_DEP_4) | instskip(SKIP_2) | instid1(VALU_DEP_4)
	v_xor3_b32 v32, v46, v36, v21
	v_add_nc_u32_e32 v26, 0xb54cda56, v27
	v_add_nc_u32_e32 v31, 0x646e171e, v28
	v_mad_u64_u32 v[21:22], null, 0xcd9e8d57, v24, 0
	v_xor3_b32 v24, v37, v30, v39
	v_xor3_b32 v33, v45, v41, v29
	v_mad_u64_u32 v[41:42], null, 0xcd9e8d57, v32, 0
	v_add_nc_u32_e32 v37, 0x5384540f, v27
	s_delay_alu instid0(VALU_DEP_4) | instskip(NEXT) | instid1(VALU_DEP_4)
	v_mad_u64_u32 v[29:30], null, 0xd2511f53, v24, 0
	v_mad_u64_u32 v[43:44], null, 0xd2511f53, v33, 0
	v_xor3_b32 v23, v45, v22, v23
	v_xor3_b32 v24, v26, v42, v21
	v_add_nc_u32_e32 v45, 0x1fd5c5a3, v28
	v_add_co_u32 v39, null, 0xf1bbcdc8, v27
	v_xor3_b32 v32, v46, v30, v34
	v_xor3_b32 v34, v31, v44, v29
	v_mad_u64_u32 v[21:22], null, 0xd2511f53, v23, 0
	v_mad_u64_u32 v[29:30], null, 0xd2511f53, v24, 0
	s_delay_alu instid0(VALU_DEP_4) | instskip(NEXT) | instid1(VALU_DEP_4)
	v_mad_u64_u32 v[23:24], null, 0xcd9e8d57, v32, 0
	v_mad_u64_u32 v[32:33], null, 0xcd9e8d57, v34, 0
	s_delay_alu instid0(VALU_DEP_4) | instskip(NEXT) | instid1(VALU_DEP_4)
	v_xor3_b32 v31, v31, v22, v35
	v_xor3_b32 v34, v45, v30, v21
	s_delay_alu instid0(VALU_DEP_4) | instskip(NEXT) | instid1(VALU_DEP_3)
	v_xor3_b32 v26, v26, v24, v40
	v_mad_u64_u32 v[21:22], null, 0xcd9e8d57, v31, 0
	v_xor3_b32 v33, v37, v33, v23
	s_delay_alu instid0(VALU_DEP_4) | instskip(NEXT) | instid1(VALU_DEP_4)
	v_mad_u64_u32 v[30:31], null, 0xcd9e8d57, v34, 0
	v_mad_u64_u32 v[23:24], null, 0xd2511f53, v26, 0
	s_delay_alu instid0(VALU_DEP_3)
	v_mad_u64_u32 v[35:36], null, 0xd2511f53, v33, 0
	v_add_nc_u32_e32 v40, 0xdb3d7428, v28
	v_xor3_b32 v22, v37, v22, v41
	v_xor3_b32 v26, v39, v31, v21
	v_add_nc_u32_e32 v41, 0x96a522ad, v28
	v_xor3_b32 v24, v45, v24, v43
	v_and_b32_e32 v28, 3, v25
	v_xor3_b32 v31, v40, v36, v23
	v_mad_u64_u32 v[33:34], null, 0xd2511f53, v22, 0
	v_mad_u64_u32 v[21:22], null, 0xd2511f53, v26, 0
	;; [unrolled: 1-line block ×3, first 2 shown]
	s_delay_alu instid0(VALU_DEP_4) | instskip(SKIP_1) | instid1(VALU_DEP_4)
	v_mad_u64_u32 v[23:24], null, 0xcd9e8d57, v31, 0
	v_add_nc_u32_e32 v31, 0x8ff34781, v27
                                        ; implicit-def: $vgpr26
	v_xor3_b32 v27, v22, v33, v41
	s_delay_alu instid0(VALU_DEP_2)
	v_xor3_b32 v22, v24, v36, v31
	v_cmpx_lt_i32_e32 1, v28
	s_xor_b32 s0, exec_lo, s0
	s_cbranch_execz .LBB87_75
; %bb.70:                               ;   in Loop: Header=BB87_3 Depth=1
	s_mov_b32 s1, exec_lo
                                        ; implicit-def: $vgpr26
	v_cmpx_lt_i32_e32 2, v28
	s_xor_b32 s1, exec_lo, s1
; %bb.71:                               ;   in Loop: Header=BB87_3 Depth=1
	v_xor3_b32 v24, v39, v37, v32
                                        ; implicit-def: $vgpr27
	s_delay_alu instid0(VALU_DEP_1) | instskip(NEXT) | instid1(VALU_DEP_1)
	v_mul_hi_u32 v24, 0xd2511f53, v24
	v_xor3_b32 v26, v24, v35, v41
; %bb.72:                               ;   in Loop: Header=BB87_3 Depth=1
	s_and_not1_saveexec_b32 s1, s1
; %bb.73:                               ;   in Loop: Header=BB87_3 Depth=1
	v_dual_mov_b32 v26, v23 :: v_dual_mov_b32 v23, v22
	v_dual_mov_b32 v22, v21 :: v_dual_mov_b32 v21, v27
; %bb.74:                               ;   in Loop: Header=BB87_3 Depth=1
	s_or_b32 exec_lo, exec_lo, s1
                                        ; implicit-def: $vgpr29_vgpr30
                                        ; implicit-def: $vgpr28
                                        ; implicit-def: $vgpr27
                                        ; implicit-def: $vgpr40
                                        ; implicit-def: $vgpr33_vgpr34
                                        ; implicit-def: $vgpr30_vgpr31
                                        ; implicit-def: $vgpr31
.LBB87_75:                              ;   in Loop: Header=BB87_3 Depth=1
	s_and_not1_saveexec_b32 s0, s0
	s_cbranch_execz .LBB87_79
; %bb.76:                               ;   in Loop: Header=BB87_3 Depth=1
	v_xor3_b32 v23, v40, v34, v29
	v_cmp_eq_u32_e32 vcc_lo, 1, v28
	v_mov_b32_e32 v26, v21
	s_delay_alu instid0(VALU_DEP_3) | instskip(SKIP_1) | instid1(VALU_DEP_2)
	v_mad_u64_u32 v[24:25], null, 0xcd9e8d57, v23, 0
	v_mov_b32_e32 v23, v27
	v_xor3_b32 v28, v25, v30, v31
	s_delay_alu instid0(VALU_DEP_3)
	v_mov_b32_e32 v25, v24
	s_and_saveexec_b32 s1, vcc_lo
; %bb.77:                               ;   in Loop: Header=BB87_3 Depth=1
	v_dual_mov_b32 v26, v22 :: v_dual_mov_b32 v23, v21
	v_dual_mov_b32 v25, v27 :: v_dual_mov_b32 v28, v24
; %bb.78:                               ;   in Loop: Header=BB87_3 Depth=1
	s_or_b32 exec_lo, exec_lo, s1
	s_delay_alu instid0(VALU_DEP_1)
	v_dual_mov_b32 v21, v28 :: v_dual_mov_b32 v22, v25
.LBB87_79:                              ;   in Loop: Header=BB87_3 Depth=1
	s_or_b32 exec_lo, exec_lo, s0
	v_min_i32_e32 v24, 4, v38
	s_mov_b32 s1, 0
	s_mov_b32 s43, 0
	;; [unrolled: 1-line block ×3, first 2 shown]
                                        ; implicit-def: $sgpr25
                                        ; implicit-def: $sgpr26
                                        ; implicit-def: $sgpr27
	s_mov_b32 s0, exec_lo
	v_cmpx_lt_i32_e32 2, v24
	s_xor_b32 s42, exec_lo, s0
	s_cbranch_execz .LBB87_91
; %bb.80:                               ;   in Loop: Header=BB87_3 Depth=1
	s_mov_b32 s0, -1
	s_mov_b32 s44, 0
	s_mov_b32 s26, exec_lo
                                        ; implicit-def: $sgpr24
                                        ; implicit-def: $sgpr25
	v_cmpx_lt_i32_e32 3, v24
	s_cbranch_execz .LBB87_86
; %bb.81:                               ;   in Loop: Header=BB87_3 Depth=1
	s_mov_b32 s0, 0
	s_mov_b32 s44, -1
	s_mov_b32 s27, exec_lo
                                        ; implicit-def: $sgpr24
                                        ; implicit-def: $sgpr25
	v_cmpx_eq_u32_e32 4, v24
	s_cbranch_execz .LBB87_85
; %bb.82:                               ;   in Loop: Header=BB87_3 Depth=1
	v_cmp_le_f32_e32 vcc_lo, 0, v3
	v_cmp_ge_f32_e64 s0, 1.0, v3
	s_mov_b32 s24, 0
	s_delay_alu instid0(VALU_DEP_1)
	s_and_b32 s44, vcc_lo, s0
	s_mov_b32 s0, 0
	s_and_saveexec_b32 s25, s44
	s_cbranch_execz .LBB87_84
; %bb.83:                               ;   in Loop: Header=BB87_3 Depth=1
	v_cvt_f32_u32_e32 v25, v26
	v_lshlrev_b64 v[19:20], 2, v[19:20]
	s_mov_b32 s0, exec_lo
	s_delay_alu instid0(VALU_DEP_2) | instskip(NEXT) | instid1(VALU_DEP_2)
	v_fmaak_f32 v25, 0x2f800000, v25, 0x2f800000
	v_add_co_u32 v19, vcc_lo, s16, v19
	s_delay_alu instid0(VALU_DEP_3) | instskip(NEXT) | instid1(VALU_DEP_3)
	v_add_co_ci_u32_e32 v20, vcc_lo, s17, v20, vcc_lo
	v_cmp_le_f32_e32 vcc_lo, v25, v3
	v_cndmask_b32_e64 v3, 0, 1.0, vcc_lo
	global_store_b32 v[19:20], v3, off
.LBB87_84:                              ;   in Loop: Header=BB87_3 Depth=1
	s_or_b32 exec_lo, exec_lo, s25
	s_mov_b32 s25, -1
	s_xor_b32 s44, exec_lo, -1
	s_and_b32 s0, s0, exec_lo
.LBB87_85:                              ;   in Loop: Header=BB87_3 Depth=1
	s_or_b32 exec_lo, exec_lo, s27
	s_delay_alu instid0(SALU_CYCLE_1)
	s_and_b32 s44, s44, exec_lo
	s_or_not1_b32 s0, s0, exec_lo
.LBB87_86:                              ;   in Loop: Header=BB87_3 Depth=1
	s_or_b32 exec_lo, exec_lo, s26
	s_mov_b32 s27, s24
	s_and_saveexec_b32 s26, s0
	s_cbranch_execz .LBB87_90
; %bb.87:                               ;   in Loop: Header=BB87_3 Depth=1
	v_lshlrev_b64 v[17:18], 2, v[17:18]
	s_delay_alu instid0(VALU_DEP_1) | instskip(NEXT) | instid1(VALU_DEP_2)
	v_add_co_u32 v17, vcc_lo, s12, v17
	v_add_co_ci_u32_e32 v18, vcc_lo, s13, v18, vcc_lo
	global_load_b32 v3, v[17:18], off
	s_waitcnt vmcnt(0)
	v_cmp_le_f32_e32 vcc_lo, 0, v3
	v_cmp_ge_f32_e64 s0, 1.0, v3
	s_delay_alu instid0(VALU_DEP_1) | instskip(SKIP_2) | instid1(SALU_CYCLE_1)
	s_and_b32 s27, vcc_lo, s0
	s_mov_b32 s0, 0
	s_and_saveexec_b32 s43, s27
	s_xor_b32 s27, exec_lo, s43
	s_cbranch_execz .LBB87_89
; %bb.88:                               ;   in Loop: Header=BB87_3 Depth=1
	v_cvt_f32_u32_e32 v17, v23
	v_lshlrev_b64 v[15:16], 2, v[15:16]
	s_mov_b32 s0, exec_lo
	s_delay_alu instid0(VALU_DEP_2) | instskip(NEXT) | instid1(VALU_DEP_2)
	v_fmaak_f32 v17, 0x2f800000, v17, 0x2f800000
	v_add_co_u32 v15, vcc_lo, s16, v15
	s_delay_alu instid0(VALU_DEP_3) | instskip(NEXT) | instid1(VALU_DEP_3)
	v_add_co_ci_u32_e32 v16, vcc_lo, s17, v16, vcc_lo
	v_cmp_le_f32_e32 vcc_lo, v17, v3
	v_cndmask_b32_e64 v3, 0, 1.0, vcc_lo
	global_store_b32 v[15:16], v3, off
.LBB87_89:                              ;   in Loop: Header=BB87_3 Depth=1
	s_or_b32 exec_lo, exec_lo, s27
	s_delay_alu instid0(SALU_CYCLE_1)
	s_and_not1_b32 s27, s24, exec_lo
	s_or_b32 s24, s24, exec_lo
	s_and_not1_b32 s25, s25, exec_lo
	s_and_b32 s43, s0, exec_lo
.LBB87_90:                              ;   in Loop: Header=BB87_3 Depth=1
	s_or_b32 exec_lo, exec_lo, s26
	s_delay_alu instid0(SALU_CYCLE_1)
	s_and_b32 s27, s27, exec_lo
	s_and_b32 s26, s24, exec_lo
	;; [unrolled: 1-line block ×5, first 2 shown]
.LBB87_91:                              ;   in Loop: Header=BB87_3 Depth=1
	s_and_not1_saveexec_b32 s0, s42
; %bb.92:                               ;   in Loop: Header=BB87_3 Depth=1
	v_cmp_lt_i32_e32 vcc_lo, 1, v24
	s_and_not1_b32 s42, s43, exec_lo
	s_mov_b32 s1, exec_lo
	s_and_not1_b32 s27, s27, exec_lo
	s_and_not1_b32 s26, s26, exec_lo
	s_and_b32 s43, vcc_lo, exec_lo
	s_and_not1_b32 s25, s25, exec_lo
	s_or_b32 s43, s42, s43
; %bb.93:                               ;   in Loop: Header=BB87_3 Depth=1
	s_or_b32 exec_lo, exec_lo, s0
	s_mov_b32 s0, 0
	s_mov_b32 s42, s27
	s_and_saveexec_b32 s44, s43
	s_cbranch_execnz .LBB87_101
; %bb.94:                               ;   in Loop: Header=BB87_3 Depth=1
	s_or_b32 exec_lo, exec_lo, s44
	s_and_saveexec_b32 s43, s1
	s_cbranch_execnz .LBB87_104
.LBB87_95:                              ;   in Loop: Header=BB87_3 Depth=1
	s_or_b32 exec_lo, exec_lo, s43
	s_and_saveexec_b32 s1, s0
	s_cbranch_execnz .LBB87_105
	s_branch .LBB87_108
.LBB87_96:                              ;   in Loop: Header=BB87_97 Depth=2
	s_or_b32 exec_lo, exec_lo, s0
	s_load_b64 s[44:45], s[24:25], 0xc8
	s_delay_alu instid0(VALU_DEP_1)
	v_mul_lo_u32 v3, v26, s26
	v_mul_lo_u32 v29, v25, s27
	v_mad_u64_u32 v[27:28], null, v25, s26, 0
	s_add_i32 s42, s42, -1
	s_add_u32 s24, s24, -8
	s_addc_u32 s25, s25, -1
	s_cmp_gt_u32 s42, 2
	s_delay_alu instid0(VALU_DEP_1) | instskip(NEXT) | instid1(VALU_DEP_2)
	v_add3_u32 v3, v28, v29, v3
	v_sub_co_u32 v27, vcc_lo, v21, v27
	s_delay_alu instid0(VALU_DEP_2) | instskip(SKIP_1) | instid1(VALU_DEP_2)
	v_sub_co_ci_u32_e32 v3, vcc_lo, v22, v3, vcc_lo
	s_waitcnt lgkmcnt(0)
	v_mul_lo_u32 v28, s45, v27
	s_delay_alu instid0(VALU_DEP_2) | instskip(SKIP_1) | instid1(VALU_DEP_1)
	v_mul_lo_u32 v3, s44, v3
	v_mad_u64_u32 v[21:22], null, s44, v27, v[23:24]
	v_add3_u32 v24, v28, v22, v3
	s_delay_alu instid0(VALU_DEP_2)
	v_mov_b32_e32 v23, v21
	v_dual_mov_b32 v21, v25 :: v_dual_mov_b32 v22, v26
	s_cbranch_scc0 .LBB87_66
.LBB87_97:                              ;   Parent Loop BB87_3 Depth=1
                                        ; =>  This Inner Loop Header: Depth=2
	s_load_b64 s[26:27], s[24:25], 0x0
                                        ; implicit-def: $vgpr25_vgpr26
	s_mov_b32 s0, exec_lo
	s_waitcnt lgkmcnt(0)
	v_or_b32_e32 v3, s27, v22
	s_delay_alu instid0(VALU_DEP_1)
	v_cmpx_ne_u64_e32 0, v[2:3]
	s_xor_b32 s43, exec_lo, s0
	s_cbranch_execz .LBB87_99
; %bb.98:                               ;   in Loop: Header=BB87_97 Depth=2
	v_cvt_f32_u32_e32 v3, s26
	v_cvt_f32_u32_e32 v25, s27
	s_sub_u32 s0, 0, s26
	s_subb_u32 s44, 0, s27
	s_delay_alu instid0(VALU_DEP_1) | instskip(NEXT) | instid1(VALU_DEP_1)
	v_fmac_f32_e32 v3, 0x4f800000, v25
	v_rcp_f32_e32 v3, v3
	s_waitcnt_depctr 0xfff
	v_mul_f32_e32 v3, 0x5f7ffffc, v3
	s_delay_alu instid0(VALU_DEP_1) | instskip(NEXT) | instid1(VALU_DEP_1)
	v_mul_f32_e32 v25, 0x2f800000, v3
	v_trunc_f32_e32 v25, v25
	s_delay_alu instid0(VALU_DEP_1) | instskip(SKIP_1) | instid1(VALU_DEP_2)
	v_fmac_f32_e32 v3, 0xcf800000, v25
	v_cvt_u32_f32_e32 v25, v25
	v_cvt_u32_f32_e32 v3, v3
	s_delay_alu instid0(VALU_DEP_2) | instskip(NEXT) | instid1(VALU_DEP_2)
	v_mul_lo_u32 v26, s0, v25
	v_mul_hi_u32 v27, s0, v3
	v_mul_lo_u32 v28, s44, v3
	s_delay_alu instid0(VALU_DEP_2) | instskip(SKIP_1) | instid1(VALU_DEP_2)
	v_add_nc_u32_e32 v26, v27, v26
	v_mul_lo_u32 v27, s0, v3
	v_add_nc_u32_e32 v26, v26, v28
	s_delay_alu instid0(VALU_DEP_2) | instskip(NEXT) | instid1(VALU_DEP_2)
	v_mul_hi_u32 v28, v3, v27
	v_mul_lo_u32 v29, v3, v26
	v_mul_hi_u32 v30, v3, v26
	v_mul_hi_u32 v31, v25, v27
	v_mul_lo_u32 v27, v25, v27
	v_mul_hi_u32 v32, v25, v26
	v_mul_lo_u32 v26, v25, v26
	v_add_co_u32 v28, vcc_lo, v28, v29
	v_add_co_ci_u32_e32 v29, vcc_lo, 0, v30, vcc_lo
	s_delay_alu instid0(VALU_DEP_2) | instskip(NEXT) | instid1(VALU_DEP_2)
	v_add_co_u32 v27, vcc_lo, v28, v27
	v_add_co_ci_u32_e32 v27, vcc_lo, v29, v31, vcc_lo
	v_add_co_ci_u32_e32 v28, vcc_lo, 0, v32, vcc_lo
	s_delay_alu instid0(VALU_DEP_2) | instskip(NEXT) | instid1(VALU_DEP_2)
	v_add_co_u32 v26, vcc_lo, v27, v26
	v_add_co_ci_u32_e32 v27, vcc_lo, 0, v28, vcc_lo
	s_delay_alu instid0(VALU_DEP_2) | instskip(NEXT) | instid1(VALU_DEP_2)
	v_add_co_u32 v3, vcc_lo, v3, v26
	v_add_co_ci_u32_e32 v25, vcc_lo, v25, v27, vcc_lo
	s_delay_alu instid0(VALU_DEP_2) | instskip(SKIP_1) | instid1(VALU_DEP_3)
	v_mul_hi_u32 v26, s0, v3
	v_mul_lo_u32 v28, s44, v3
	v_mul_lo_u32 v27, s0, v25
	s_delay_alu instid0(VALU_DEP_1) | instskip(SKIP_1) | instid1(VALU_DEP_2)
	v_add_nc_u32_e32 v26, v26, v27
	v_mul_lo_u32 v27, s0, v3
	v_add_nc_u32_e32 v26, v26, v28
	s_delay_alu instid0(VALU_DEP_2) | instskip(NEXT) | instid1(VALU_DEP_2)
	v_mul_hi_u32 v28, v3, v27
	v_mul_lo_u32 v29, v3, v26
	v_mul_hi_u32 v30, v3, v26
	v_mul_hi_u32 v31, v25, v27
	v_mul_lo_u32 v27, v25, v27
	v_mul_hi_u32 v32, v25, v26
	v_mul_lo_u32 v26, v25, v26
	v_add_co_u32 v28, vcc_lo, v28, v29
	v_add_co_ci_u32_e32 v29, vcc_lo, 0, v30, vcc_lo
	s_delay_alu instid0(VALU_DEP_2) | instskip(NEXT) | instid1(VALU_DEP_2)
	v_add_co_u32 v27, vcc_lo, v28, v27
	v_add_co_ci_u32_e32 v27, vcc_lo, v29, v31, vcc_lo
	v_add_co_ci_u32_e32 v28, vcc_lo, 0, v32, vcc_lo
	s_delay_alu instid0(VALU_DEP_2) | instskip(NEXT) | instid1(VALU_DEP_2)
	v_add_co_u32 v26, vcc_lo, v27, v26
	v_add_co_ci_u32_e32 v27, vcc_lo, 0, v28, vcc_lo
	s_delay_alu instid0(VALU_DEP_2) | instskip(NEXT) | instid1(VALU_DEP_2)
	v_add_co_u32 v3, vcc_lo, v3, v26
	v_add_co_ci_u32_e32 v31, vcc_lo, v25, v27, vcc_lo
	s_delay_alu instid0(VALU_DEP_2) | instskip(SKIP_1) | instid1(VALU_DEP_3)
	v_mul_hi_u32 v32, v21, v3
	v_mad_u64_u32 v[27:28], null, v22, v3, 0
	v_mad_u64_u32 v[25:26], null, v21, v31, 0
	;; [unrolled: 1-line block ×3, first 2 shown]
	s_delay_alu instid0(VALU_DEP_2) | instskip(NEXT) | instid1(VALU_DEP_3)
	v_add_co_u32 v3, vcc_lo, v32, v25
	v_add_co_ci_u32_e32 v25, vcc_lo, 0, v26, vcc_lo
	s_delay_alu instid0(VALU_DEP_2) | instskip(NEXT) | instid1(VALU_DEP_2)
	v_add_co_u32 v3, vcc_lo, v3, v27
	v_add_co_ci_u32_e32 v3, vcc_lo, v25, v28, vcc_lo
	v_add_co_ci_u32_e32 v25, vcc_lo, 0, v30, vcc_lo
	s_delay_alu instid0(VALU_DEP_2) | instskip(NEXT) | instid1(VALU_DEP_2)
	v_add_co_u32 v3, vcc_lo, v3, v29
	v_add_co_ci_u32_e32 v27, vcc_lo, 0, v25, vcc_lo
	s_delay_alu instid0(VALU_DEP_2) | instskip(SKIP_1) | instid1(VALU_DEP_3)
	v_mul_lo_u32 v28, s27, v3
	v_mad_u64_u32 v[25:26], null, s26, v3, 0
	v_mul_lo_u32 v29, s26, v27
	s_delay_alu instid0(VALU_DEP_2) | instskip(NEXT) | instid1(VALU_DEP_2)
	v_sub_co_u32 v25, vcc_lo, v21, v25
	v_add3_u32 v26, v26, v29, v28
	s_delay_alu instid0(VALU_DEP_1) | instskip(NEXT) | instid1(VALU_DEP_1)
	v_sub_nc_u32_e32 v28, v22, v26
	v_subrev_co_ci_u32_e64 v28, s0, s27, v28, vcc_lo
	v_add_co_u32 v29, s0, v3, 2
	s_delay_alu instid0(VALU_DEP_1) | instskip(SKIP_3) | instid1(VALU_DEP_3)
	v_add_co_ci_u32_e64 v30, s0, 0, v27, s0
	v_sub_co_u32 v31, s0, v25, s26
	v_sub_co_ci_u32_e32 v26, vcc_lo, v22, v26, vcc_lo
	v_subrev_co_ci_u32_e64 v28, s0, 0, v28, s0
	v_cmp_le_u32_e32 vcc_lo, s26, v31
	s_delay_alu instid0(VALU_DEP_3) | instskip(SKIP_1) | instid1(VALU_DEP_4)
	v_cmp_eq_u32_e64 s0, s27, v26
	v_cndmask_b32_e64 v31, 0, -1, vcc_lo
	v_cmp_le_u32_e32 vcc_lo, s27, v28
	v_cndmask_b32_e64 v32, 0, -1, vcc_lo
	v_cmp_le_u32_e32 vcc_lo, s26, v25
	;; [unrolled: 2-line block ×3, first 2 shown]
	v_cndmask_b32_e64 v33, 0, -1, vcc_lo
	v_cmp_eq_u32_e32 vcc_lo, s27, v28
	s_delay_alu instid0(VALU_DEP_2) | instskip(SKIP_3) | instid1(VALU_DEP_3)
	v_cndmask_b32_e64 v25, v33, v25, s0
	v_cndmask_b32_e32 v28, v32, v31, vcc_lo
	v_add_co_u32 v31, vcc_lo, v3, 1
	v_add_co_ci_u32_e32 v32, vcc_lo, 0, v27, vcc_lo
	v_cmp_ne_u32_e32 vcc_lo, 0, v28
	s_delay_alu instid0(VALU_DEP_3) | instskip(NEXT) | instid1(VALU_DEP_3)
	v_cndmask_b32_e32 v28, v31, v29, vcc_lo
	v_cndmask_b32_e32 v26, v32, v30, vcc_lo
	v_cmp_ne_u32_e32 vcc_lo, 0, v25
	s_delay_alu instid0(VALU_DEP_3) | instskip(NEXT) | instid1(VALU_DEP_3)
	v_cndmask_b32_e32 v25, v3, v28, vcc_lo
	v_cndmask_b32_e32 v26, v27, v26, vcc_lo
.LBB87_99:                              ;   in Loop: Header=BB87_97 Depth=2
	s_and_not1_saveexec_b32 s0, s43
	s_cbranch_execz .LBB87_96
; %bb.100:                              ;   in Loop: Header=BB87_97 Depth=2
	v_cvt_f32_u32_e32 v3, s26
	s_sub_i32 s43, 0, s26
	s_delay_alu instid0(VALU_DEP_1) | instskip(SKIP_2) | instid1(VALU_DEP_1)
	v_rcp_iflag_f32_e32 v3, v3
	s_waitcnt_depctr 0xfff
	v_mul_f32_e32 v3, 0x4f7ffffe, v3
	v_cvt_u32_f32_e32 v3, v3
	s_delay_alu instid0(VALU_DEP_1) | instskip(NEXT) | instid1(VALU_DEP_1)
	v_mul_lo_u32 v25, s43, v3
	v_mul_hi_u32 v25, v3, v25
	s_delay_alu instid0(VALU_DEP_1) | instskip(NEXT) | instid1(VALU_DEP_1)
	v_add_nc_u32_e32 v3, v3, v25
	v_mul_hi_u32 v3, v21, v3
	s_delay_alu instid0(VALU_DEP_1) | instskip(SKIP_1) | instid1(VALU_DEP_2)
	v_mul_lo_u32 v25, v3, s26
	v_add_nc_u32_e32 v26, 1, v3
	v_sub_nc_u32_e32 v25, v21, v25
	s_delay_alu instid0(VALU_DEP_1) | instskip(SKIP_1) | instid1(VALU_DEP_2)
	v_subrev_nc_u32_e32 v27, s26, v25
	v_cmp_le_u32_e32 vcc_lo, s26, v25
	v_cndmask_b32_e32 v25, v25, v27, vcc_lo
	v_cndmask_b32_e32 v3, v3, v26, vcc_lo
	s_delay_alu instid0(VALU_DEP_2) | instskip(NEXT) | instid1(VALU_DEP_2)
	v_cmp_le_u32_e32 vcc_lo, s26, v25
	v_add_nc_u32_e32 v26, 1, v3
	s_delay_alu instid0(VALU_DEP_1)
	v_dual_cndmask_b32 v25, v3, v26 :: v_dual_mov_b32 v26, v2
	s_branch .LBB87_96
.LBB87_101:                             ;   in Loop: Header=BB87_3 Depth=1
	v_lshlrev_b64 v[13:14], 2, v[13:14]
	s_delay_alu instid0(VALU_DEP_1) | instskip(NEXT) | instid1(VALU_DEP_2)
	v_add_co_u32 v13, vcc_lo, s12, v13
	v_add_co_ci_u32_e32 v14, vcc_lo, s13, v14, vcc_lo
	global_load_b32 v3, v[13:14], off
	s_waitcnt vmcnt(0)
	v_cmp_le_f32_e32 vcc_lo, 0, v3
	v_cmp_ge_f32_e64 s0, 1.0, v3
	s_delay_alu instid0(VALU_DEP_1) | instskip(SKIP_2) | instid1(SALU_CYCLE_1)
	s_and_b32 s42, vcc_lo, s0
	s_mov_b32 s0, 0
	s_and_saveexec_b32 s43, s42
	s_xor_b32 s42, exec_lo, s43
	s_cbranch_execz .LBB87_103
; %bb.102:                              ;   in Loop: Header=BB87_3 Depth=1
	v_cvt_f32_u32_e32 v13, v22
	v_lshlrev_b64 v[11:12], 2, v[11:12]
	s_mov_b32 s0, exec_lo
	s_delay_alu instid0(VALU_DEP_2) | instskip(NEXT) | instid1(VALU_DEP_2)
	v_fmaak_f32 v13, 0x2f800000, v13, 0x2f800000
	v_add_co_u32 v11, vcc_lo, s16, v11
	s_delay_alu instid0(VALU_DEP_3) | instskip(NEXT) | instid1(VALU_DEP_3)
	v_add_co_ci_u32_e32 v12, vcc_lo, s17, v12, vcc_lo
	v_cmp_le_f32_e32 vcc_lo, v13, v3
	v_cndmask_b32_e64 v3, 0, 1.0, vcc_lo
	global_store_b32 v[11:12], v3, off
.LBB87_103:                             ;   in Loop: Header=BB87_3 Depth=1
	s_or_b32 exec_lo, exec_lo, s42
	s_delay_alu instid0(SALU_CYCLE_1)
	s_and_not1_b32 s42, s27, exec_lo
	s_or_b32 s27, s27, exec_lo
	s_and_not1_b32 s26, s26, exec_lo
	s_and_not1_b32 s25, s25, exec_lo
	s_and_b32 s0, s0, exec_lo
	s_and_not1_b32 s1, s1, exec_lo
	s_or_b32 exec_lo, exec_lo, s44
	s_and_saveexec_b32 s43, s1
	s_cbranch_execz .LBB87_95
.LBB87_104:                             ;   in Loop: Header=BB87_3 Depth=1
	v_cmp_eq_u32_e32 vcc_lo, 1, v24
	s_and_not1_b32 s0, s0, exec_lo
	s_and_not1_b32 s42, s42, exec_lo
	s_and_not1_b32 s27, s27, exec_lo
	s_and_not1_b32 s26, s26, exec_lo
	s_and_b32 s1, vcc_lo, exec_lo
	s_and_not1_b32 s25, s25, exec_lo
	s_or_b32 s24, s24, exec_lo
	s_or_b32 s0, s0, s1
	s_or_b32 exec_lo, exec_lo, s43
	s_and_saveexec_b32 s1, s0
	s_cbranch_execz .LBB87_108
.LBB87_105:                             ;   in Loop: Header=BB87_3 Depth=1
	v_lshlrev_b64 v[9:10], 2, v[9:10]
	s_delay_alu instid0(VALU_DEP_1) | instskip(NEXT) | instid1(VALU_DEP_2)
	v_add_co_u32 v9, vcc_lo, s12, v9
	v_add_co_ci_u32_e32 v10, vcc_lo, s13, v10, vcc_lo
	global_load_b32 v3, v[9:10], off
	s_waitcnt vmcnt(0)
	v_cmp_le_f32_e32 vcc_lo, 0, v3
	v_cmp_ge_f32_e64 s0, 1.0, v3
	s_delay_alu instid0(VALU_DEP_1)
	s_and_b32 s44, vcc_lo, s0
	s_mov_b32 s0, 0
	s_and_saveexec_b32 s43, s44
	s_cbranch_execz .LBB87_107
; %bb.106:                              ;   in Loop: Header=BB87_3 Depth=1
	v_cvt_f32_u32_e32 v9, v21
	v_lshlrev_b64 v[7:8], 2, v[7:8]
	s_mov_b32 s0, exec_lo
	s_delay_alu instid0(VALU_DEP_2) | instskip(NEXT) | instid1(VALU_DEP_2)
	v_fmaak_f32 v9, 0x2f800000, v9, 0x2f800000
	v_add_co_u32 v7, vcc_lo, s16, v7
	s_delay_alu instid0(VALU_DEP_3) | instskip(NEXT) | instid1(VALU_DEP_3)
	v_add_co_ci_u32_e32 v8, vcc_lo, s17, v8, vcc_lo
	v_cmp_le_f32_e32 vcc_lo, v9, v3
	v_cndmask_b32_e64 v3, 0, 1.0, vcc_lo
	global_store_b32 v[7:8], v3, off
.LBB87_107:                             ;   in Loop: Header=BB87_3 Depth=1
	s_or_b32 exec_lo, exec_lo, s43
	s_delay_alu instid0(SALU_CYCLE_1)
	s_and_not1_b32 s24, s24, exec_lo
	s_and_b32 s0, s0, exec_lo
	s_or_b32 s42, s42, exec_lo
	s_and_not1_b32 s27, s27, exec_lo
	s_and_not1_b32 s26, s26, exec_lo
	;; [unrolled: 1-line block ×3, first 2 shown]
	s_or_b32 s24, s24, s0
.LBB87_108:                             ;   in Loop: Header=BB87_3 Depth=1
	s_or_b32 exec_lo, exec_lo, s1
	s_delay_alu instid0(SALU_CYCLE_1)
	s_and_not1_b32 s1, s41, exec_lo
	s_and_b32 s41, s42, exec_lo
	s_and_not1_b32 s39, s39, exec_lo
	s_and_b32 s27, s27, exec_lo
	s_or_b32 s41, s1, s41
	s_or_b32 s39, s39, s27
	s_and_not1_b32 s1, s40, exec_lo
	s_and_b32 s26, s26, exec_lo
	s_and_not1_b32 s27, s38, exec_lo
	s_and_b32 s25, s25, exec_lo
	s_mov_b32 s0, -1
	s_or_b32 s40, s1, s26
	s_or_b32 s38, s27, s25
	s_and_saveexec_b32 s1, s24
	s_cbranch_execz .LBB87_2
; %bb.109:                              ;   in Loop: Header=BB87_3 Depth=1
	v_add_co_u32 v4, vcc_lo, v4, s31
	v_add_co_ci_u32_e32 v5, vcc_lo, 0, v5, vcc_lo
	s_and_not1_b32 s41, s41, exec_lo
	s_and_not1_b32 s39, s39, exec_lo
	;; [unrolled: 1-line block ×3, first 2 shown]
	s_delay_alu instid0(VALU_DEP_1)
	v_cmp_le_u64_e32 vcc_lo, s[4:5], v[4:5]
	s_and_not1_b32 s38, s38, exec_lo
	s_or_not1_b32 s0, vcc_lo, exec_lo
	s_branch .LBB87_2
.LBB87_110:
	s_or_b32 exec_lo, exec_lo, s19
	s_xor_b32 s3, s36, -1
	s_xor_b32 s4, s37, -1
	;; [unrolled: 1-line block ×3, first 2 shown]
	s_mov_b32 s1, 0
	s_and_saveexec_b32 s2, s0
	s_delay_alu instid0(SALU_CYCLE_1)
	s_xor_b32 s0, exec_lo, s2
	s_cbranch_execz .LBB87_119
; %bb.111:
	s_mov_b32 s2, 0
	s_and_saveexec_b32 s1, s4
	s_delay_alu instid0(SALU_CYCLE_1)
	s_xor_b32 s1, exec_lo, s1
	s_cbranch_execz .LBB87_117
; %bb.112:
	s_and_saveexec_b32 s4, s3
	s_delay_alu instid0(SALU_CYCLE_1)
	s_xor_b32 s3, exec_lo, s4
	s_cbranch_execz .LBB87_115
; %bb.113:
	s_and_saveexec_b32 s4, s18
	s_delay_alu instid0(SALU_CYCLE_1)
	s_xor_b32 s4, exec_lo, s4
	s_cbranch_execnz .LBB87_133
.LBB87_114:
	s_or_b32 exec_lo, exec_lo, s4
	s_delay_alu instid0(SALU_CYCLE_1)
	s_and_b32 s2, s2, exec_lo
.LBB87_115:
	s_and_not1_saveexec_b32 s3, s3
	s_cbranch_execnz .LBB87_129
.LBB87_116:
	s_or_b32 exec_lo, exec_lo, s3
	s_delay_alu instid0(SALU_CYCLE_1)
	s_and_b32 s2, s2, exec_lo
.LBB87_117:
	s_and_not1_saveexec_b32 s1, s1
	s_cbranch_execnz .LBB87_125
.LBB87_118:
	s_or_b32 exec_lo, exec_lo, s1
	s_delay_alu instid0(SALU_CYCLE_1)
	s_and_b32 s1, s2, exec_lo
.LBB87_119:
	s_and_not1_saveexec_b32 s0, s0
	s_cbranch_execnz .LBB87_123
; %bb.120:
	s_or_b32 exec_lo, exec_lo, s0
	s_delay_alu instid0(SALU_CYCLE_1)
	s_and_b32 exec_lo, exec_lo, s1
.LBB87_121:
	; divergent unreachable
.LBB87_122:
	s_nop 0
	s_sendmsg sendmsg(MSG_DEALLOC_VGPRS)
	s_endpgm
.LBB87_123:
	s_cbranch_execnz .LBB87_127
; %bb.124:
	s_or_b32 s1, s1, exec_lo
	s_or_b32 exec_lo, exec_lo, s0
	s_delay_alu instid0(SALU_CYCLE_1)
	s_and_b32 exec_lo, exec_lo, s1
	s_cbranch_execnz .LBB87_121
	s_branch .LBB87_122
.LBB87_125:
	s_cbranch_execnz .LBB87_131
; %bb.126:
	s_or_b32 s2, s2, exec_lo
	s_branch .LBB87_118
.LBB87_127:
	s_trap 2
	s_sendmsg_rtn_b32 s0, sendmsg(MSG_RTN_GET_DOORBELL)
	s_mov_b32 ttmp2, m0
	s_waitcnt lgkmcnt(0)
	s_and_b32 s0, s0, 0x3ff
	s_delay_alu instid0(SALU_CYCLE_1) | instskip(NEXT) | instid1(SALU_CYCLE_1)
	s_bitset1_b32 s0, 10
	s_mov_b32 m0, s0
	s_sendmsg sendmsg(MSG_INTERRUPT)
	s_mov_b32 m0, ttmp2
.LBB87_128:                             ; =>This Inner Loop Header: Depth=1
	s_sethalt 5
	s_branch .LBB87_128
.LBB87_129:
	s_cbranch_execnz .LBB87_135
; %bb.130:
	s_or_b32 s2, s2, exec_lo
	s_branch .LBB87_116
.LBB87_131:
	s_trap 2
	s_sendmsg_rtn_b32 s0, sendmsg(MSG_RTN_GET_DOORBELL)
	s_mov_b32 ttmp2, m0
	s_waitcnt lgkmcnt(0)
	s_and_b32 s0, s0, 0x3ff
	s_delay_alu instid0(SALU_CYCLE_1) | instskip(NEXT) | instid1(SALU_CYCLE_1)
	s_bitset1_b32 s0, 10
	s_mov_b32 m0, s0
	s_sendmsg sendmsg(MSG_INTERRUPT)
	s_mov_b32 m0, ttmp2
.LBB87_132:                             ; =>This Inner Loop Header: Depth=1
	s_sethalt 5
	s_branch .LBB87_132
.LBB87_133:
	s_cbranch_execnz .LBB87_137
; %bb.134:
	s_mov_b32 s2, exec_lo
	s_branch .LBB87_114
.LBB87_135:
	s_trap 2
	s_sendmsg_rtn_b32 s0, sendmsg(MSG_RTN_GET_DOORBELL)
	s_mov_b32 ttmp2, m0
	s_waitcnt lgkmcnt(0)
	s_and_b32 s0, s0, 0x3ff
	s_delay_alu instid0(SALU_CYCLE_1) | instskip(NEXT) | instid1(SALU_CYCLE_1)
	s_bitset1_b32 s0, 10
	s_mov_b32 m0, s0
	s_sendmsg sendmsg(MSG_INTERRUPT)
	s_mov_b32 m0, ttmp2
.LBB87_136:                             ; =>This Inner Loop Header: Depth=1
	s_sethalt 5
	s_branch .LBB87_136
.LBB87_137:
	s_trap 2
	s_sendmsg_rtn_b32 s0, sendmsg(MSG_RTN_GET_DOORBELL)
	s_mov_b32 ttmp2, m0
	s_waitcnt lgkmcnt(0)
	s_and_b32 s0, s0, 0x3ff
	s_delay_alu instid0(SALU_CYCLE_1) | instskip(NEXT) | instid1(SALU_CYCLE_1)
	s_bitset1_b32 s0, 10
	s_mov_b32 m0, s0
	s_sendmsg sendmsg(MSG_INTERRUPT)
	s_mov_b32 m0, ttmp2
.LBB87_138:                             ; =>This Inner Loop Header: Depth=1
	s_sethalt 5
	s_branch .LBB87_138
	.section	.rodata,"a",@progbits
	.p2align	6, 0x0
	.amdhsa_kernel _ZN2at4cuda12_GLOBAL__N_121kernelPointwiseApply2IZNS_6native9templates4cuda28bernoulli_tensor_cuda_kernelIffEEvRKNS_10TensorBaseES9_NS_15PhiloxCudaStateEEUliRfSB_SB_SB_RKfSD_SD_SD_E_fSC_mLin1ELin1ELi4ELi512ELi2EEEvNS0_6detail10TensorInfoIT0_T2_EENSG_IT1_SI_EESI_T_
		.amdhsa_group_segment_fixed_size 0
		.amdhsa_private_segment_fixed_size 0
		.amdhsa_kernarg_size 1128
		.amdhsa_user_sgpr_count 15
		.amdhsa_user_sgpr_dispatch_ptr 0
		.amdhsa_user_sgpr_queue_ptr 0
		.amdhsa_user_sgpr_kernarg_segment_ptr 1
		.amdhsa_user_sgpr_dispatch_id 0
		.amdhsa_user_sgpr_private_segment_size 0
		.amdhsa_wavefront_size32 1
		.amdhsa_uses_dynamic_stack 0
		.amdhsa_enable_private_segment 0
		.amdhsa_system_sgpr_workgroup_id_x 1
		.amdhsa_system_sgpr_workgroup_id_y 0
		.amdhsa_system_sgpr_workgroup_id_z 0
		.amdhsa_system_sgpr_workgroup_info 0
		.amdhsa_system_vgpr_workitem_id 0
		.amdhsa_next_free_vgpr 47
		.amdhsa_next_free_sgpr 46
		.amdhsa_reserve_vcc 1
		.amdhsa_float_round_mode_32 0
		.amdhsa_float_round_mode_16_64 0
		.amdhsa_float_denorm_mode_32 3
		.amdhsa_float_denorm_mode_16_64 3
		.amdhsa_dx10_clamp 1
		.amdhsa_ieee_mode 1
		.amdhsa_fp16_overflow 0
		.amdhsa_workgroup_processor_mode 1
		.amdhsa_memory_ordered 1
		.amdhsa_forward_progress 0
		.amdhsa_shared_vgpr_count 0
		.amdhsa_exception_fp_ieee_invalid_op 0
		.amdhsa_exception_fp_denorm_src 0
		.amdhsa_exception_fp_ieee_div_zero 0
		.amdhsa_exception_fp_ieee_overflow 0
		.amdhsa_exception_fp_ieee_underflow 0
		.amdhsa_exception_fp_ieee_inexact 0
		.amdhsa_exception_int_div_zero 0
	.end_amdhsa_kernel
	.section	.text._ZN2at4cuda12_GLOBAL__N_121kernelPointwiseApply2IZNS_6native9templates4cuda28bernoulli_tensor_cuda_kernelIffEEvRKNS_10TensorBaseES9_NS_15PhiloxCudaStateEEUliRfSB_SB_SB_RKfSD_SD_SD_E_fSC_mLin1ELin1ELi4ELi512ELi2EEEvNS0_6detail10TensorInfoIT0_T2_EENSG_IT1_SI_EESI_T_,"axG",@progbits,_ZN2at4cuda12_GLOBAL__N_121kernelPointwiseApply2IZNS_6native9templates4cuda28bernoulli_tensor_cuda_kernelIffEEvRKNS_10TensorBaseES9_NS_15PhiloxCudaStateEEUliRfSB_SB_SB_RKfSD_SD_SD_E_fSC_mLin1ELin1ELi4ELi512ELi2EEEvNS0_6detail10TensorInfoIT0_T2_EENSG_IT1_SI_EESI_T_,comdat
.Lfunc_end87:
	.size	_ZN2at4cuda12_GLOBAL__N_121kernelPointwiseApply2IZNS_6native9templates4cuda28bernoulli_tensor_cuda_kernelIffEEvRKNS_10TensorBaseES9_NS_15PhiloxCudaStateEEUliRfSB_SB_SB_RKfSD_SD_SD_E_fSC_mLin1ELin1ELi4ELi512ELi2EEEvNS0_6detail10TensorInfoIT0_T2_EENSG_IT1_SI_EESI_T_, .Lfunc_end87-_ZN2at4cuda12_GLOBAL__N_121kernelPointwiseApply2IZNS_6native9templates4cuda28bernoulli_tensor_cuda_kernelIffEEvRKNS_10TensorBaseES9_NS_15PhiloxCudaStateEEUliRfSB_SB_SB_RKfSD_SD_SD_E_fSC_mLin1ELin1ELi4ELi512ELi2EEEvNS0_6detail10TensorInfoIT0_T2_EENSG_IT1_SI_EESI_T_
                                        ; -- End function
	.section	.AMDGPU.csdata,"",@progbits
; Kernel info:
; codeLenInByte = 12448
; NumSgprs: 48
; NumVgprs: 47
; ScratchSize: 0
; MemoryBound: 0
; FloatMode: 240
; IeeeMode: 1
; LDSByteSize: 0 bytes/workgroup (compile time only)
; SGPRBlocks: 5
; VGPRBlocks: 5
; NumSGPRsForWavesPerEU: 48
; NumVGPRsForWavesPerEU: 47
; Occupancy: 16
; WaveLimiterHint : 1
; COMPUTE_PGM_RSRC2:SCRATCH_EN: 0
; COMPUTE_PGM_RSRC2:USER_SGPR: 15
; COMPUTE_PGM_RSRC2:TRAP_HANDLER: 0
; COMPUTE_PGM_RSRC2:TGID_X_EN: 1
; COMPUTE_PGM_RSRC2:TGID_Y_EN: 0
; COMPUTE_PGM_RSRC2:TGID_Z_EN: 0
; COMPUTE_PGM_RSRC2:TIDIG_COMP_CNT: 0
	.section	.text._ZN2at4cuda12_GLOBAL__N_121kernelPointwiseApply2IZNS_6native9templates4cuda28bernoulli_tensor_cuda_kernelIN3c104HalfEfEEvRKNS_10TensorBaseESB_NS_15PhiloxCudaStateEEUliRS8_SD_SD_SD_RKfSF_SF_SF_E_S8_SE_jLi1ELi1ELi4ELi512ELi2EEEvNS0_6detail10TensorInfoIT0_T2_EENSI_IT1_SK_EESK_T_,"axG",@progbits,_ZN2at4cuda12_GLOBAL__N_121kernelPointwiseApply2IZNS_6native9templates4cuda28bernoulli_tensor_cuda_kernelIN3c104HalfEfEEvRKNS_10TensorBaseESB_NS_15PhiloxCudaStateEEUliRS8_SD_SD_SD_RKfSF_SF_SF_E_S8_SE_jLi1ELi1ELi4ELi512ELi2EEEvNS0_6detail10TensorInfoIT0_T2_EENSI_IT1_SK_EESK_T_,comdat
	.globl	_ZN2at4cuda12_GLOBAL__N_121kernelPointwiseApply2IZNS_6native9templates4cuda28bernoulli_tensor_cuda_kernelIN3c104HalfEfEEvRKNS_10TensorBaseESB_NS_15PhiloxCudaStateEEUliRS8_SD_SD_SD_RKfSF_SF_SF_E_S8_SE_jLi1ELi1ELi4ELi512ELi2EEEvNS0_6detail10TensorInfoIT0_T2_EENSI_IT1_SK_EESK_T_ ; -- Begin function _ZN2at4cuda12_GLOBAL__N_121kernelPointwiseApply2IZNS_6native9templates4cuda28bernoulli_tensor_cuda_kernelIN3c104HalfEfEEvRKNS_10TensorBaseESB_NS_15PhiloxCudaStateEEUliRS8_SD_SD_SD_RKfSF_SF_SF_E_S8_SE_jLi1ELi1ELi4ELi512ELi2EEEvNS0_6detail10TensorInfoIT0_T2_EENSI_IT1_SK_EESK_T_
	.p2align	8
	.type	_ZN2at4cuda12_GLOBAL__N_121kernelPointwiseApply2IZNS_6native9templates4cuda28bernoulli_tensor_cuda_kernelIN3c104HalfEfEEvRKNS_10TensorBaseESB_NS_15PhiloxCudaStateEEUliRS8_SD_SD_SD_RKfSF_SF_SF_E_S8_SE_jLi1ELi1ELi4ELi512ELi2EEEvNS0_6detail10TensorInfoIT0_T2_EENSI_IT1_SK_EESK_T_,@function
_ZN2at4cuda12_GLOBAL__N_121kernelPointwiseApply2IZNS_6native9templates4cuda28bernoulli_tensor_cuda_kernelIN3c104HalfEfEEvRKNS_10TensorBaseESB_NS_15PhiloxCudaStateEEUliRS8_SD_SD_SD_RKfSF_SF_SF_E_S8_SE_jLi1ELi1ELi4ELi512ELi2EEEvNS0_6detail10TensorInfoIT0_T2_EENSI_IT1_SK_EESK_T_: ; @_ZN2at4cuda12_GLOBAL__N_121kernelPointwiseApply2IZNS_6native9templates4cuda28bernoulli_tensor_cuda_kernelIN3c104HalfEfEEvRKNS_10TensorBaseESB_NS_15PhiloxCudaStateEEUliRS8_SD_SD_SD_RKfSF_SF_SF_E_S8_SE_jLi1ELi1ELi4ELi512ELi2EEEvNS0_6detail10TensorInfoIT0_T2_EENSI_IT1_SK_EESK_T_
; %bb.0:
	s_clause 0x1
	s_load_b32 s4, s[0:1], 0x1e4
	s_load_b32 s5, s[0:1], 0x1b0
	s_add_u32 s2, s0, 0x1d8
	s_addc_u32 s3, s1, 0
	s_mov_b32 s6, exec_lo
	s_waitcnt lgkmcnt(0)
	s_and_b32 s4, s4, 0xffff
	s_delay_alu instid0(SALU_CYCLE_1) | instskip(NEXT) | instid1(VALU_DEP_1)
	v_mad_u64_u32 v[1:2], null, s15, s4, v[0:1]
	v_lshlrev_b32_e32 v0, 2, v1
	s_delay_alu instid0(VALU_DEP_1)
	v_cmpx_gt_u32_e64 s5, v0
	s_cbranch_execz .LBB88_51
; %bb.1:
	s_load_b32 s3, s[2:3], 0x0
	s_clause 0x4
	s_load_b32 s17, s[0:1], 0x1d0
	s_load_b32 s2, s[0:1], 0x6c
	;; [unrolled: 1-line block ×3, first 2 shown]
	s_load_b64 s[6:7], s[0:1], 0x0
	s_load_b64 s[12:13], s[0:1], 0xd8
	v_mad_u64_u32 v[2:3], null, 0xcd9e8d57, v1, 0
	s_clause 0x1
	s_load_b64 s[14:15], s[0:1], 0x1c8
	s_load_b128 s[8:11], s[0:1], 0x1b8
	v_dual_mov_b32 v4, 0 :: v_dual_add_nc_u32 v9, 3, v0
	v_add_nc_u32_e32 v8, 2, v0
	v_sub_nc_u32_e32 v24, s5, v0
	s_mov_b32 s16, 0
	v_mov_b32_e32 v25, v3
	s_mov_b32 s24, 0
                                        ; implicit-def: $sgpr26
                                        ; implicit-def: $sgpr25
                                        ; implicit-def: $sgpr27
                                        ; implicit-def: $sgpr29
                                        ; implicit-def: $sgpr28
                                        ; implicit-def: $sgpr30
	s_waitcnt lgkmcnt(0)
	s_mul_i32 s0, s3, s4
	s_bitcmp1_b32 s17, 0
	v_mul_lo_u32 v3, s2, v1
	v_mul_lo_u32 v10, s22, v1
	v_mad_u64_u32 v[5:6], null, s2, v0, s[2:3]
	v_mul_lo_u32 v26, s2, v8
	v_mul_lo_u32 v27, s2, v9
	v_mad_u64_u32 v[6:7], null, s22, v0, s[22:23]
	v_mul_lo_u32 v29, s22, v8
	v_mul_lo_u32 v30, s22, v9
	v_lshlrev_b32_e32 v28, 2, v3
	v_lshlrev_b32_e32 v31, 2, v10
	s_mul_i32 s1, s0, s2
	s_cselect_b32 s18, -1, 0
	s_lshl_b32 s19, s0, 2
	s_mul_i32 s0, s0, s22
	s_lshl_b32 s20, s1, 2
	s_lshl_b32 s21, s0, 2
	s_mov_b32 s22, 0
                                        ; implicit-def: $sgpr23
                                        ; implicit-def: $sgpr17
	s_branch .LBB88_3
.LBB88_2:                               ;   in Loop: Header=BB88_3 Depth=1
	s_or_b32 exec_lo, exec_lo, s1
	s_delay_alu instid0(SALU_CYCLE_1) | instskip(NEXT) | instid1(SALU_CYCLE_1)
	s_and_b32 s0, exec_lo, s0
	s_or_b32 s16, s0, s16
	s_and_not1_b32 s0, s17, exec_lo
	s_and_b32 s1, s30, exec_lo
	s_and_not1_b32 s2, s25, exec_lo
	s_and_b32 s3, s28, exec_lo
	s_or_b32 s17, s0, s1
	s_or_b32 s25, s2, s3
	s_and_not1_b32 s0, s26, exec_lo
	s_and_b32 s1, s29, exec_lo
	s_and_not1_b32 s2, s23, exec_lo
	s_and_b32 s3, s27, exec_lo
	s_or_b32 s26, s0, s1
	s_or_b32 s23, s2, s3
	s_and_not1_b32 exec_lo, exec_lo, s16
	s_cbranch_execz .LBB88_39
.LBB88_3:                               ; =>This Inner Loop Header: Depth=1
	v_add_nc_u32_e32 v3, s22, v31
	v_cmp_lt_i32_e64 s0, 0, v24
	v_add_nc_u32_e32 v9, s22, v6
	v_cmp_lt_i32_e64 s1, 1, v24
	v_add_nc_u32_e32 v11, s22, v29
	v_cmp_lt_i32_e64 s2, 2, v24
	v_cndmask_b32_e64 v3, 0, v3, s0
	v_add_nc_u32_e32 v13, s22, v30
	v_cmp_lt_i32_e64 s3, 3, v24
	s_delay_alu instid0(VALU_DEP_3) | instskip(SKIP_1) | instid1(VALU_DEP_1)
	v_lshlrev_b64 v[7:8], 2, v[3:4]
	v_cndmask_b32_e64 v3, 0, v9, s1
	v_lshlrev_b64 v[9:10], 2, v[3:4]
	v_cndmask_b32_e64 v3, 0, v11, s2
	s_delay_alu instid0(VALU_DEP_4) | instskip(SKIP_1) | instid1(VALU_DEP_3)
	v_add_co_u32 v7, vcc_lo, s12, v7
	v_add_co_ci_u32_e32 v8, vcc_lo, s13, v8, vcc_lo
	v_lshlrev_b64 v[11:12], 2, v[3:4]
	v_cndmask_b32_e64 v3, 0, v13, s3
	v_add_co_u32 v9, vcc_lo, s12, v9
	v_add_co_ci_u32_e32 v10, vcc_lo, s13, v10, vcc_lo
	s_delay_alu instid0(VALU_DEP_3) | instskip(SKIP_2) | instid1(VALU_DEP_3)
	v_lshlrev_b64 v[13:14], 2, v[3:4]
	v_add_co_u32 v11, vcc_lo, s12, v11
	v_add_co_ci_u32_e32 v12, vcc_lo, s13, v12, vcc_lo
	v_add_co_u32 v13, vcc_lo, s12, v13
	s_delay_alu instid0(VALU_DEP_4)
	v_add_co_ci_u32_e32 v14, vcc_lo, s13, v14, vcc_lo
	s_clause 0x3
	global_load_b32 v32, v[7:8], off
	global_load_b32 v33, v[9:10], off
	;; [unrolled: 1-line block ×4, first 2 shown]
	v_mov_b32_e32 v14, s9
	v_dual_mov_b32 v12, s11 :: v_dual_mov_b32 v11, s10
	v_mov_b32_e32 v13, s8
	s_and_not1_b32 vcc_lo, exec_lo, s18
	s_cbranch_vccnz .LBB88_5
; %bb.4:                                ;   in Loop: Header=BB88_3 Depth=1
	v_dual_mov_b32 v7, s10 :: v_dual_mov_b32 v8, s11
	v_dual_mov_b32 v10, s9 :: v_dual_mov_b32 v9, s8
	flat_load_b64 v[7:8], v[7:8]
	flat_load_b64 v[13:14], v[9:10]
	s_waitcnt vmcnt(1) lgkmcnt(1)
	v_add_co_u32 v11, vcc_lo, v7, s14
	v_add_co_ci_u32_e32 v12, vcc_lo, s15, v8, vcc_lo
.LBB88_5:                               ;   in Loop: Header=BB88_3 Depth=1
	s_delay_alu instid0(VALU_DEP_1)
	v_alignbit_b32 v3, v12, v11, 2
	v_lshrrev_b32_e32 v9, 2, v12
	s_waitcnt vmcnt(0) lgkmcnt(0)
	v_add_nc_u32_e32 v37, 0xbb67ae85, v14
	v_add_nc_u32_e32 v38, 0x76cf5d0a, v14
	;; [unrolled: 1-line block ×3, first 2 shown]
	v_add_co_u32 v10, vcc_lo, v3, 1
	s_delay_alu instid0(VALU_DEP_1) | instskip(SKIP_4) | instid1(VALU_DEP_4)
	v_cndmask_b32_e64 v7, 0, 1, vcc_lo
	v_add_co_ci_u32_e32 v12, vcc_lo, 0, v9, vcc_lo
	v_xor3_b32 v17, v25, v13, v9
	v_add_nc_u32_e32 v40, 0xed9eba14, v14
	v_add_nc_u32_e32 v42, 0xa9066899, v14
	v_cmp_eq_u32_e32 vcc_lo, 0, v12
	v_add_nc_u32_e32 v43, 0x646e171e, v14
	s_mov_b32 s4, exec_lo
	v_dual_cndmask_b32 v15, 0, v7 :: v_dual_add_nc_u32 v36, 0x9e3779b9, v13
	v_mad_u64_u32 v[7:8], null, 0xd2511f53, v10, 0
	s_delay_alu instid0(VALU_DEP_2) | instskip(NEXT) | instid1(VALU_DEP_2)
	v_add_nc_u32_e32 v10, v15, v1
	v_xor_b32_e32 v16, v8, v14
	s_delay_alu instid0(VALU_DEP_2) | instskip(SKIP_2) | instid1(VALU_DEP_1)
	v_cmp_eq_u32_e32 vcc_lo, 0, v10
	v_mad_u64_u32 v[8:9], null, 0xd2511f53, v3, 0
	v_cndmask_b32_e32 v15, 0, v15, vcc_lo
	v_xor_b32_e32 v3, v15, v16
	v_mad_u64_u32 v[15:16], null, 0xd2511f53, v17, 0
	v_mad_u64_u32 v[17:18], null, 0xcd9e8d57, v10, 0
	s_delay_alu instid0(VALU_DEP_3) | instskip(SKIP_3) | instid1(VALU_DEP_3)
	v_mad_u64_u32 v[19:20], null, 0xcd9e8d57, v3, 0
	v_xor_b32_e32 v3, v9, v14
	v_add_nc_u32_e32 v10, 0x3c6ef372, v13
	v_xor3_b32 v21, v37, v16, v8
	v_mad_u64_u32 v[8:9], null, 0xcd9e8d57, v3, 0
	v_xor3_b32 v3, v18, v13, v12
	v_xor3_b32 v12, v36, v20, v17
	s_delay_alu instid0(VALU_DEP_4) | instskip(NEXT) | instid1(VALU_DEP_3)
	v_mad_u64_u32 v[16:17], null, 0xcd9e8d57, v21, 0
	v_mad_u64_u32 v[20:21], null, 0xd2511f53, v3, 0
	s_delay_alu instid0(VALU_DEP_3) | instskip(SKIP_1) | instid1(VALU_DEP_4)
	v_mad_u64_u32 v[22:23], null, 0xd2511f53, v12, 0
	v_xor3_b32 v3, v2, v9, v36
	v_xor3_b32 v36, v10, v17, v8
	v_add_nc_u32_e32 v12, 0xdaa66d2b, v13
	s_delay_alu instid0(VALU_DEP_3) | instskip(SKIP_4) | instid1(VALU_DEP_4)
	v_mad_u64_u32 v[8:9], null, 0xd2511f53, v3, 0
	v_xor3_b32 v3, v37, v21, v7
	v_xor3_b32 v7, v38, v23, v20
	v_mad_u64_u32 v[17:18], null, 0xd2511f53, v36, 0
	v_add_nc_u32_e32 v23, 0x78dde6e4, v13
	v_mad_u64_u32 v[20:21], null, 0xcd9e8d57, v3, 0
	s_delay_alu instid0(VALU_DEP_4) | instskip(SKIP_2) | instid1(VALU_DEP_2)
	v_mad_u64_u32 v[36:37], null, 0xcd9e8d57, v7, 0
	v_xor3_b32 v3, v38, v9, v15
	v_xor3_b32 v15, v39, v18, v8
	v_mad_u64_u32 v[7:8], null, 0xcd9e8d57, v3, 0
	v_xor3_b32 v3, v10, v21, v19
	v_xor3_b32 v37, v12, v37, v20
	s_delay_alu instid0(VALU_DEP_4) | instskip(NEXT) | instid1(VALU_DEP_3)
	v_mad_u64_u32 v[9:10], null, 0xcd9e8d57, v15, 0
	v_mad_u64_u32 v[18:19], null, 0xd2511f53, v3, 0
	s_delay_alu instid0(VALU_DEP_3) | instskip(SKIP_1) | instid1(VALU_DEP_4)
	v_mad_u64_u32 v[20:21], null, 0xd2511f53, v37, 0
	v_xor3_b32 v3, v12, v8, v16
	v_xor3_b32 v10, v23, v10, v7
	v_add_nc_u32_e32 v12, 0x1715609d, v13
	s_delay_alu instid0(VALU_DEP_3) | instskip(SKIP_3) | instid1(VALU_DEP_3)
	v_mad_u64_u32 v[7:8], null, 0xd2511f53, v3, 0
	v_xor3_b32 v3, v39, v19, v22
	v_xor3_b32 v18, v40, v21, v18
	v_mad_u64_u32 v[21:22], null, 0xd2511f53, v10, 0
	v_mad_u64_u32 v[15:16], null, 0xcd9e8d57, v3, 0
	s_delay_alu instid0(VALU_DEP_3) | instskip(SKIP_1) | instid1(VALU_DEP_4)
	v_mad_u64_u32 v[37:38], null, 0xcd9e8d57, v18, 0
	v_xor3_b32 v3, v40, v8, v17
	v_xor3_b32 v10, v42, v22, v7
	v_add_nc_u32_e32 v17, 0xb54cda56, v13
	s_delay_alu instid0(VALU_DEP_3) | instskip(SKIP_4) | instid1(VALU_DEP_4)
	v_mad_u64_u32 v[7:8], null, 0xcd9e8d57, v3, 0
	v_xor3_b32 v3, v23, v16, v36
	v_xor3_b32 v18, v12, v38, v15
	v_mad_u64_u32 v[38:39], null, 0xcd9e8d57, v10, 0
	v_add_nc_u32_e32 v23, 0x1fd5c5a3, v14
	v_mad_u64_u32 v[15:16], null, 0xd2511f53, v3, 0
	s_delay_alu instid0(VALU_DEP_4) | instskip(SKIP_4) | instid1(VALU_DEP_4)
	v_mad_u64_u32 v[40:41], null, 0xd2511f53, v18, 0
	v_xor3_b32 v3, v12, v8, v9
	v_xor3_b32 v9, v17, v39, v7
	v_add_nc_u32_e32 v12, 0x5384540f, v13
	v_add_co_u32 v36, null, 0xf1bbcdc8, v13
	v_mad_u64_u32 v[7:8], null, 0xd2511f53, v3, 0
	v_xor3_b32 v3, v42, v16, v20
	v_xor3_b32 v20, v43, v41, v15
	v_mad_u64_u32 v[15:16], null, 0xd2511f53, v9, 0
	s_delay_alu instid0(VALU_DEP_3) | instskip(NEXT) | instid1(VALU_DEP_3)
	v_mad_u64_u32 v[9:10], null, 0xcd9e8d57, v3, 0
	v_mad_u64_u32 v[18:19], null, 0xcd9e8d57, v20, 0
	v_xor3_b32 v3, v43, v8, v21
	s_delay_alu instid0(VALU_DEP_4) | instskip(NEXT) | instid1(VALU_DEP_2)
	v_xor3_b32 v20, v23, v16, v7
	v_mad_u64_u32 v[7:8], null, 0xcd9e8d57, v3, 0
	v_xor3_b32 v3, v17, v10, v37
	v_xor3_b32 v19, v12, v19, v9
	s_delay_alu instid0(VALU_DEP_4) | instskip(SKIP_1) | instid1(VALU_DEP_4)
	v_mad_u64_u32 v[16:17], null, 0xcd9e8d57, v20, 0
	v_add_nc_u32_e32 v37, 0xdb3d7428, v14
	v_mad_u64_u32 v[9:10], null, 0xd2511f53, v3, 0
	s_delay_alu instid0(VALU_DEP_4) | instskip(SKIP_2) | instid1(VALU_DEP_2)
	v_mad_u64_u32 v[21:22], null, 0xd2511f53, v19, 0
	v_xor3_b32 v3, v12, v8, v38
	v_xor3_b32 v12, v36, v17, v7
	v_mad_u64_u32 v[19:20], null, 0xd2511f53, v3, 0
	v_xor3_b32 v3, v23, v10, v40
	v_xor3_b32 v17, v37, v22, v9
	s_delay_alu instid0(VALU_DEP_4) | instskip(NEXT) | instid1(VALU_DEP_3)
	v_mad_u64_u32 v[7:8], null, 0xd2511f53, v12, 0
                                        ; implicit-def: $vgpr12
	v_mad_u64_u32 v[22:23], null, 0xcd9e8d57, v3, 0
	s_delay_alu instid0(VALU_DEP_3) | instskip(SKIP_3) | instid1(VALU_DEP_3)
	v_mad_u64_u32 v[9:10], null, 0xcd9e8d57, v17, 0
	v_add_nc_u32_e32 v17, 0x96a522ad, v14
	v_add_nc_u32_e32 v14, 0x8ff34781, v13
	v_and_b32_e32 v13, 3, v11
	v_xor3_b32 v3, v8, v19, v17
	s_delay_alu instid0(VALU_DEP_3) | instskip(NEXT) | instid1(VALU_DEP_3)
	v_xor3_b32 v8, v10, v22, v14
	v_cmpx_lt_i32_e32 1, v13
	s_xor_b32 s4, exec_lo, s4
	s_cbranch_execz .LBB88_11
; %bb.6:                                ;   in Loop: Header=BB88_3 Depth=1
	s_mov_b32 s31, exec_lo
                                        ; implicit-def: $vgpr12
	v_cmpx_lt_i32_e32 2, v13
	s_xor_b32 s31, exec_lo, s31
; %bb.7:                                ;   in Loop: Header=BB88_3 Depth=1
	v_xor3_b32 v3, v36, v23, v18
	s_delay_alu instid0(VALU_DEP_1) | instskip(NEXT) | instid1(VALU_DEP_1)
	v_mul_hi_u32 v3, 0xd2511f53, v3
	v_xor3_b32 v12, v3, v21, v17
                                        ; implicit-def: $vgpr3
; %bb.8:                                ;   in Loop: Header=BB88_3 Depth=1
	s_and_not1_saveexec_b32 s31, s31
; %bb.9:                                ;   in Loop: Header=BB88_3 Depth=1
	v_dual_mov_b32 v12, v9 :: v_dual_mov_b32 v9, v8
	v_mov_b32_e32 v8, v7
	v_mov_b32_e32 v7, v3
; %bb.10:                               ;   in Loop: Header=BB88_3 Depth=1
	s_or_b32 exec_lo, exec_lo, s31
                                        ; implicit-def: $vgpr15_vgpr16
                                        ; implicit-def: $vgpr13
                                        ; implicit-def: $vgpr3
                                        ; implicit-def: $vgpr37
                                        ; implicit-def: $vgpr19_vgpr20
                                        ; implicit-def: $vgpr14
                                        ; implicit-def: $vgpr16_vgpr17
.LBB88_11:                              ;   in Loop: Header=BB88_3 Depth=1
	s_and_not1_saveexec_b32 s4, s4
	s_cbranch_execz .LBB88_15
; %bb.12:                               ;   in Loop: Header=BB88_3 Depth=1
	v_xor3_b32 v9, v37, v20, v15
	v_cmp_eq_u32_e32 vcc_lo, 1, v13
	s_delay_alu instid0(VALU_DEP_2) | instskip(SKIP_2) | instid1(VALU_DEP_3)
	v_mad_u64_u32 v[10:11], null, 0xcd9e8d57, v9, 0
	v_mov_b32_e32 v12, v7
	v_mov_b32_e32 v9, v3
	v_xor3_b32 v13, v11, v16, v14
	s_delay_alu instid0(VALU_DEP_4)
	v_mov_b32_e32 v11, v10
	s_and_saveexec_b32 s31, vcc_lo
; %bb.13:                               ;   in Loop: Header=BB88_3 Depth=1
	v_dual_mov_b32 v12, v8 :: v_dual_mov_b32 v9, v7
	v_mov_b32_e32 v11, v3
	v_mov_b32_e32 v13, v10
; %bb.14:                               ;   in Loop: Header=BB88_3 Depth=1
	s_or_b32 exec_lo, exec_lo, s31
	s_delay_alu instid0(VALU_DEP_1)
	v_dual_mov_b32 v7, v13 :: v_dual_mov_b32 v8, v11
.LBB88_15:                              ;   in Loop: Header=BB88_3 Depth=1
	s_or_b32 exec_lo, exec_lo, s4
	v_min_i32_e32 v10, 4, v24
	s_mov_b32 s31, 0
	s_mov_b32 s36, 0
	s_mov_b32 s35, exec_lo
                                        ; implicit-def: $sgpr4
                                        ; implicit-def: $sgpr33
                                        ; implicit-def: $sgpr34
	s_delay_alu instid0(VALU_DEP_1)
	v_cmpx_lt_i32_e32 2, v10
	s_xor_b32 s35, exec_lo, s35
	s_cbranch_execz .LBB88_25
; %bb.16:                               ;   in Loop: Header=BB88_3 Depth=1
	s_mov_b32 s36, -1
	s_mov_b32 s34, exec_lo
                                        ; implicit-def: $sgpr33
                                        ; implicit-def: $sgpr4
	v_cmpx_lt_i32_e32 3, v10
	s_cbranch_execz .LBB88_20
; %bb.17:                               ;   in Loop: Header=BB88_3 Depth=1
	v_cmp_le_f32_e32 vcc_lo, 0, v35
	v_cmp_ge_f32_e64 s4, 1.0, v35
	s_mov_b32 s33, 0
	s_mov_b32 s36, 0
	s_delay_alu instid0(VALU_DEP_1) | instskip(NEXT) | instid1(SALU_CYCLE_1)
	s_and_b32 s37, vcc_lo, s4
	s_and_saveexec_b32 s4, s37
	s_cbranch_execz .LBB88_19
; %bb.18:                               ;   in Loop: Header=BB88_3 Depth=1
	v_add_nc_u32_e32 v3, s24, v27
	v_cvt_f32_u32_e32 v13, v12
	s_mov_b32 s36, exec_lo
	s_delay_alu instid0(VALU_DEP_2) | instskip(NEXT) | instid1(VALU_DEP_1)
	v_cndmask_b32_e64 v3, 0, v3, s3
	v_lshlrev_b64 v[11:12], 1, v[3:4]
	s_delay_alu instid0(VALU_DEP_3) | instskip(NEXT) | instid1(VALU_DEP_2)
	v_fmaak_f32 v3, 0x2f800000, v13, 0x2f800000
	v_add_co_u32 v11, vcc_lo, s6, v11
	s_delay_alu instid0(VALU_DEP_3) | instskip(NEXT) | instid1(VALU_DEP_3)
	v_add_co_ci_u32_e32 v12, vcc_lo, s7, v12, vcc_lo
	v_cmp_le_f32_e32 vcc_lo, v3, v35
	v_cndmask_b32_e64 v3, 0, 0x3c00, vcc_lo
	global_store_b16 v[11:12], v3, off
.LBB88_19:                              ;   in Loop: Header=BB88_3 Depth=1
	s_or_b32 exec_lo, exec_lo, s4
	s_mov_b32 s4, -1
	s_or_not1_b32 s36, s36, exec_lo
.LBB88_20:                              ;   in Loop: Header=BB88_3 Depth=1
	s_or_b32 exec_lo, exec_lo, s34
	s_mov_b32 s3, 0
	s_mov_b32 s37, s33
	s_and_saveexec_b32 s34, s36
	s_cbranch_execz .LBB88_24
; %bb.21:                               ;   in Loop: Header=BB88_3 Depth=1
	v_cmp_le_f32_e32 vcc_lo, 0, v34
	v_cmp_ge_f32_e64 s3, 1.0, v34
	s_delay_alu instid0(VALU_DEP_1) | instskip(SKIP_2) | instid1(SALU_CYCLE_1)
	s_and_b32 s36, vcc_lo, s3
	s_mov_b32 s3, 0
	s_and_saveexec_b32 s37, s36
	s_xor_b32 s36, exec_lo, s37
	s_cbranch_execz .LBB88_23
; %bb.22:                               ;   in Loop: Header=BB88_3 Depth=1
	v_add_nc_u32_e32 v3, s24, v26
	v_cvt_f32_u32_e32 v9, v9
	s_mov_b32 s3, exec_lo
	s_delay_alu instid0(VALU_DEP_2) | instskip(NEXT) | instid1(VALU_DEP_1)
	v_cndmask_b32_e64 v3, 0, v3, s2
	v_lshlrev_b64 v[11:12], 1, v[3:4]
	s_delay_alu instid0(VALU_DEP_3) | instskip(NEXT) | instid1(VALU_DEP_2)
	v_fmaak_f32 v3, 0x2f800000, v9, 0x2f800000
	v_add_co_u32 v11, vcc_lo, s6, v11
	s_delay_alu instid0(VALU_DEP_3) | instskip(NEXT) | instid1(VALU_DEP_3)
	v_add_co_ci_u32_e32 v12, vcc_lo, s7, v12, vcc_lo
	v_cmp_le_f32_e32 vcc_lo, v3, v34
	v_cndmask_b32_e64 v3, 0, 0x3c00, vcc_lo
	global_store_b16 v[11:12], v3, off
.LBB88_23:                              ;   in Loop: Header=BB88_3 Depth=1
	s_or_b32 exec_lo, exec_lo, s36
	s_delay_alu instid0(SALU_CYCLE_1)
	s_and_not1_b32 s37, s33, exec_lo
	s_or_b32 s33, s33, exec_lo
	s_and_not1_b32 s4, s4, exec_lo
	s_and_b32 s3, s3, exec_lo
.LBB88_24:                              ;   in Loop: Header=BB88_3 Depth=1
	s_or_b32 exec_lo, exec_lo, s34
	s_delay_alu instid0(SALU_CYCLE_1)
	s_and_b32 s34, s37, exec_lo
	s_and_b32 s33, s33, exec_lo
	;; [unrolled: 1-line block ×4, first 2 shown]
.LBB88_25:                              ;   in Loop: Header=BB88_3 Depth=1
	s_and_not1_saveexec_b32 s2, s35
; %bb.26:                               ;   in Loop: Header=BB88_3 Depth=1
	v_cmp_lt_i32_e32 vcc_lo, 1, v10
	s_and_not1_b32 s3, s36, exec_lo
	s_mov_b32 s31, exec_lo
	s_and_not1_b32 s34, s34, exec_lo
	s_and_not1_b32 s33, s33, exec_lo
	s_and_b32 s35, vcc_lo, exec_lo
	s_and_not1_b32 s4, s4, exec_lo
	s_or_b32 s36, s3, s35
; %bb.27:                               ;   in Loop: Header=BB88_3 Depth=1
	s_or_b32 exec_lo, exec_lo, s2
	s_mov_b32 s3, 0
	s_mov_b32 s35, 0
	;; [unrolled: 1-line block ×3, first 2 shown]
	s_and_saveexec_b32 s37, s36
	s_cbranch_execnz .LBB88_30
; %bb.28:                               ;   in Loop: Header=BB88_3 Depth=1
	s_or_b32 exec_lo, exec_lo, s37
	s_and_saveexec_b32 s1, s31
	s_cbranch_execnz .LBB88_33
.LBB88_29:                              ;   in Loop: Header=BB88_3 Depth=1
	s_or_b32 exec_lo, exec_lo, s1
	s_and_saveexec_b32 s31, s35
	s_cbranch_execnz .LBB88_34
	s_branch .LBB88_37
.LBB88_30:                              ;   in Loop: Header=BB88_3 Depth=1
	v_cmp_le_f32_e32 vcc_lo, 0, v33
	v_cmp_ge_f32_e64 s2, 1.0, v33
	s_delay_alu instid0(VALU_DEP_1) | instskip(NEXT) | instid1(SALU_CYCLE_1)
	s_and_b32 s2, vcc_lo, s2
	s_and_saveexec_b32 s36, s2
	s_delay_alu instid0(SALU_CYCLE_1)
	s_xor_b32 s2, exec_lo, s36
	s_cbranch_execz .LBB88_32
; %bb.31:                               ;   in Loop: Header=BB88_3 Depth=1
	v_add_nc_u32_e32 v3, s24, v5
	v_cvt_f32_u32_e32 v11, v8
	s_mov_b32 s35, exec_lo
	s_delay_alu instid0(VALU_DEP_2) | instskip(NEXT) | instid1(VALU_DEP_1)
	v_cndmask_b32_e64 v3, 0, v3, s1
	v_lshlrev_b64 v[8:9], 1, v[3:4]
	s_delay_alu instid0(VALU_DEP_3) | instskip(NEXT) | instid1(VALU_DEP_2)
	v_fmaak_f32 v3, 0x2f800000, v11, 0x2f800000
	v_add_co_u32 v8, vcc_lo, s6, v8
	s_delay_alu instid0(VALU_DEP_3) | instskip(NEXT) | instid1(VALU_DEP_3)
	v_add_co_ci_u32_e32 v9, vcc_lo, s7, v9, vcc_lo
	v_cmp_le_f32_e32 vcc_lo, v3, v33
	v_cndmask_b32_e64 v3, 0, 0x3c00, vcc_lo
	global_store_b16 v[8:9], v3, off
.LBB88_32:                              ;   in Loop: Header=BB88_3 Depth=1
	s_or_b32 exec_lo, exec_lo, s2
	s_delay_alu instid0(SALU_CYCLE_1)
	s_and_not1_b32 s2, s34, exec_lo
	s_or_b32 s34, s34, exec_lo
	s_and_not1_b32 s33, s33, exec_lo
	s_and_not1_b32 s4, s4, exec_lo
	s_and_b32 s35, s35, exec_lo
	s_and_not1_b32 s31, s31, exec_lo
	s_or_b32 exec_lo, exec_lo, s37
	s_and_saveexec_b32 s1, s31
	s_cbranch_execz .LBB88_29
.LBB88_33:                              ;   in Loop: Header=BB88_3 Depth=1
	v_cmp_eq_u32_e32 vcc_lo, 1, v10
	s_and_not1_b32 s31, s35, exec_lo
	s_mov_b32 s3, exec_lo
	s_and_not1_b32 s2, s2, exec_lo
	s_and_not1_b32 s34, s34, exec_lo
	s_and_b32 s35, vcc_lo, exec_lo
	s_and_not1_b32 s33, s33, exec_lo
	s_and_not1_b32 s4, s4, exec_lo
	s_or_b32 s35, s31, s35
	s_or_b32 exec_lo, exec_lo, s1
	s_and_saveexec_b32 s31, s35
	s_cbranch_execz .LBB88_37
.LBB88_34:                              ;   in Loop: Header=BB88_3 Depth=1
	v_cmp_le_f32_e32 vcc_lo, 0, v32
	v_cmp_ge_f32_e64 s1, 1.0, v32
	s_delay_alu instid0(VALU_DEP_1)
	s_and_b32 s36, vcc_lo, s1
	s_mov_b32 s1, 0
	s_and_saveexec_b32 s35, s36
	s_cbranch_execz .LBB88_36
; %bb.35:                               ;   in Loop: Header=BB88_3 Depth=1
	v_add_nc_u32_e32 v3, s24, v28
	v_cvt_f32_u32_e32 v9, v7
	s_mov_b32 s1, exec_lo
	s_delay_alu instid0(VALU_DEP_2) | instskip(NEXT) | instid1(VALU_DEP_1)
	v_cndmask_b32_e64 v3, 0, v3, s0
	v_lshlrev_b64 v[7:8], 1, v[3:4]
	s_delay_alu instid0(VALU_DEP_3) | instskip(NEXT) | instid1(VALU_DEP_2)
	v_fmaak_f32 v3, 0x2f800000, v9, 0x2f800000
	v_add_co_u32 v7, vcc_lo, s6, v7
	s_delay_alu instid0(VALU_DEP_3) | instskip(NEXT) | instid1(VALU_DEP_3)
	v_add_co_ci_u32_e32 v8, vcc_lo, s7, v8, vcc_lo
	v_cmp_le_f32_e32 vcc_lo, v3, v32
	v_cndmask_b32_e64 v3, 0, 0x3c00, vcc_lo
	global_store_b16 v[7:8], v3, off
.LBB88_36:                              ;   in Loop: Header=BB88_3 Depth=1
	s_or_b32 exec_lo, exec_lo, s35
	s_delay_alu instid0(SALU_CYCLE_1)
	s_and_not1_b32 s0, s3, exec_lo
	s_and_b32 s1, s1, exec_lo
	s_or_b32 s2, s2, exec_lo
	s_and_not1_b32 s34, s34, exec_lo
	s_and_not1_b32 s33, s33, exec_lo
	;; [unrolled: 1-line block ×3, first 2 shown]
	s_or_b32 s3, s0, s1
.LBB88_37:                              ;   in Loop: Header=BB88_3 Depth=1
	s_or_b32 exec_lo, exec_lo, s31
	s_delay_alu instid0(SALU_CYCLE_1)
	s_and_not1_b32 s1, s30, exec_lo
	s_and_b32 s2, s2, exec_lo
	s_and_not1_b32 s28, s28, exec_lo
	s_and_b32 s31, s34, exec_lo
	s_or_b32 s30, s1, s2
	s_and_not1_b32 s1, s29, exec_lo
	s_and_b32 s2, s33, exec_lo
	s_and_not1_b32 s27, s27, exec_lo
	s_and_b32 s4, s4, exec_lo
	s_mov_b32 s0, -1
	s_or_b32 s28, s28, s31
	s_or_b32 s29, s1, s2
	;; [unrolled: 1-line block ×3, first 2 shown]
	s_and_saveexec_b32 s1, s3
	s_cbranch_execz .LBB88_2
; %bb.38:                               ;   in Loop: Header=BB88_3 Depth=1
	v_add_nc_u32_e32 v0, s19, v0
	v_subrev_nc_u32_e32 v24, s19, v24
	s_add_i32 s24, s24, s20
	s_add_i32 s22, s22, s21
	s_and_not1_b32 s30, s30, exec_lo
	v_cmp_le_u32_e32 vcc_lo, s5, v0
	s_and_not1_b32 s28, s28, exec_lo
	s_and_not1_b32 s29, s29, exec_lo
	;; [unrolled: 1-line block ×3, first 2 shown]
	s_or_not1_b32 s0, vcc_lo, exec_lo
	s_branch .LBB88_2
.LBB88_39:
	s_or_b32 exec_lo, exec_lo, s16
	s_xor_b32 s3, s25, -1
	s_xor_b32 s4, s26, -1
	;; [unrolled: 1-line block ×3, first 2 shown]
	s_mov_b32 s1, 0
	s_and_saveexec_b32 s2, s0
	s_delay_alu instid0(SALU_CYCLE_1)
	s_xor_b32 s0, exec_lo, s2
	s_cbranch_execz .LBB88_48
; %bb.40:
	s_mov_b32 s2, 0
	s_and_saveexec_b32 s1, s4
	s_delay_alu instid0(SALU_CYCLE_1)
	s_xor_b32 s1, exec_lo, s1
	s_cbranch_execz .LBB88_46
; %bb.41:
	s_and_saveexec_b32 s4, s3
	s_delay_alu instid0(SALU_CYCLE_1)
	s_xor_b32 s3, exec_lo, s4
	s_cbranch_execz .LBB88_44
; %bb.42:
	s_and_saveexec_b32 s4, s17
	s_delay_alu instid0(SALU_CYCLE_1)
	s_xor_b32 s4, exec_lo, s4
	s_cbranch_execnz .LBB88_62
.LBB88_43:
	s_or_b32 exec_lo, exec_lo, s4
	s_delay_alu instid0(SALU_CYCLE_1)
	s_and_b32 s2, s2, exec_lo
.LBB88_44:
	s_and_not1_saveexec_b32 s3, s3
	s_cbranch_execnz .LBB88_58
.LBB88_45:
	s_or_b32 exec_lo, exec_lo, s3
	s_delay_alu instid0(SALU_CYCLE_1)
	s_and_b32 s2, s2, exec_lo
.LBB88_46:
	s_and_not1_saveexec_b32 s1, s1
	s_cbranch_execnz .LBB88_54
.LBB88_47:
	s_or_b32 exec_lo, exec_lo, s1
	s_delay_alu instid0(SALU_CYCLE_1)
	s_and_b32 s1, s2, exec_lo
.LBB88_48:
	s_and_not1_saveexec_b32 s0, s0
	s_cbranch_execnz .LBB88_52
; %bb.49:
	s_or_b32 exec_lo, exec_lo, s0
	s_delay_alu instid0(SALU_CYCLE_1)
	s_and_b32 exec_lo, exec_lo, s1
.LBB88_50:
	; divergent unreachable
.LBB88_51:
	s_nop 0
	s_sendmsg sendmsg(MSG_DEALLOC_VGPRS)
	s_endpgm
.LBB88_52:
	s_cbranch_execnz .LBB88_56
; %bb.53:
	s_or_b32 s1, s1, exec_lo
	s_or_b32 exec_lo, exec_lo, s0
	s_delay_alu instid0(SALU_CYCLE_1)
	s_and_b32 exec_lo, exec_lo, s1
	s_cbranch_execnz .LBB88_50
	s_branch .LBB88_51
.LBB88_54:
	s_cbranch_execnz .LBB88_60
; %bb.55:
	s_or_b32 s2, s2, exec_lo
	s_branch .LBB88_47
.LBB88_56:
	s_trap 2
	s_sendmsg_rtn_b32 s0, sendmsg(MSG_RTN_GET_DOORBELL)
	s_mov_b32 ttmp2, m0
	s_waitcnt lgkmcnt(0)
	s_and_b32 s0, s0, 0x3ff
	s_delay_alu instid0(SALU_CYCLE_1) | instskip(NEXT) | instid1(SALU_CYCLE_1)
	s_bitset1_b32 s0, 10
	s_mov_b32 m0, s0
	s_sendmsg sendmsg(MSG_INTERRUPT)
	s_mov_b32 m0, ttmp2
.LBB88_57:                              ; =>This Inner Loop Header: Depth=1
	s_sethalt 5
	s_branch .LBB88_57
.LBB88_58:
	s_cbranch_execnz .LBB88_64
; %bb.59:
	s_or_b32 s2, s2, exec_lo
	s_branch .LBB88_45
.LBB88_60:
	s_trap 2
	s_sendmsg_rtn_b32 s0, sendmsg(MSG_RTN_GET_DOORBELL)
	s_mov_b32 ttmp2, m0
	s_waitcnt lgkmcnt(0)
	s_and_b32 s0, s0, 0x3ff
	s_delay_alu instid0(SALU_CYCLE_1) | instskip(NEXT) | instid1(SALU_CYCLE_1)
	s_bitset1_b32 s0, 10
	s_mov_b32 m0, s0
	s_sendmsg sendmsg(MSG_INTERRUPT)
	s_mov_b32 m0, ttmp2
.LBB88_61:                              ; =>This Inner Loop Header: Depth=1
	s_sethalt 5
	s_branch .LBB88_61
.LBB88_62:
	s_cbranch_execnz .LBB88_66
; %bb.63:
	s_mov_b32 s2, exec_lo
	s_branch .LBB88_43
.LBB88_64:
	s_trap 2
	s_sendmsg_rtn_b32 s0, sendmsg(MSG_RTN_GET_DOORBELL)
	s_mov_b32 ttmp2, m0
	s_waitcnt lgkmcnt(0)
	s_and_b32 s0, s0, 0x3ff
	s_delay_alu instid0(SALU_CYCLE_1) | instskip(NEXT) | instid1(SALU_CYCLE_1)
	s_bitset1_b32 s0, 10
	s_mov_b32 m0, s0
	s_sendmsg sendmsg(MSG_INTERRUPT)
	s_mov_b32 m0, ttmp2
.LBB88_65:                              ; =>This Inner Loop Header: Depth=1
	s_sethalt 5
	s_branch .LBB88_65
.LBB88_66:
	s_trap 2
	s_sendmsg_rtn_b32 s0, sendmsg(MSG_RTN_GET_DOORBELL)
	s_mov_b32 ttmp2, m0
	s_waitcnt lgkmcnt(0)
	s_and_b32 s0, s0, 0x3ff
	s_delay_alu instid0(SALU_CYCLE_1) | instskip(NEXT) | instid1(SALU_CYCLE_1)
	s_bitset1_b32 s0, 10
	s_mov_b32 m0, s0
	s_sendmsg sendmsg(MSG_INTERRUPT)
	s_mov_b32 m0, ttmp2
.LBB88_67:                              ; =>This Inner Loop Header: Depth=1
	s_sethalt 5
	s_branch .LBB88_67
	.section	.rodata,"a",@progbits
	.p2align	6, 0x0
	.amdhsa_kernel _ZN2at4cuda12_GLOBAL__N_121kernelPointwiseApply2IZNS_6native9templates4cuda28bernoulli_tensor_cuda_kernelIN3c104HalfEfEEvRKNS_10TensorBaseESB_NS_15PhiloxCudaStateEEUliRS8_SD_SD_SD_RKfSF_SF_SF_E_S8_SE_jLi1ELi1ELi4ELi512ELi2EEEvNS0_6detail10TensorInfoIT0_T2_EENSI_IT1_SK_EESK_T_
		.amdhsa_group_segment_fixed_size 0
		.amdhsa_private_segment_fixed_size 0
		.amdhsa_kernarg_size 728
		.amdhsa_user_sgpr_count 15
		.amdhsa_user_sgpr_dispatch_ptr 0
		.amdhsa_user_sgpr_queue_ptr 0
		.amdhsa_user_sgpr_kernarg_segment_ptr 1
		.amdhsa_user_sgpr_dispatch_id 0
		.amdhsa_user_sgpr_private_segment_size 0
		.amdhsa_wavefront_size32 1
		.amdhsa_uses_dynamic_stack 0
		.amdhsa_enable_private_segment 0
		.amdhsa_system_sgpr_workgroup_id_x 1
		.amdhsa_system_sgpr_workgroup_id_y 0
		.amdhsa_system_sgpr_workgroup_id_z 0
		.amdhsa_system_sgpr_workgroup_info 0
		.amdhsa_system_vgpr_workitem_id 0
		.amdhsa_next_free_vgpr 44
		.amdhsa_next_free_sgpr 38
		.amdhsa_reserve_vcc 1
		.amdhsa_float_round_mode_32 0
		.amdhsa_float_round_mode_16_64 0
		.amdhsa_float_denorm_mode_32 3
		.amdhsa_float_denorm_mode_16_64 3
		.amdhsa_dx10_clamp 1
		.amdhsa_ieee_mode 1
		.amdhsa_fp16_overflow 0
		.amdhsa_workgroup_processor_mode 1
		.amdhsa_memory_ordered 1
		.amdhsa_forward_progress 0
		.amdhsa_shared_vgpr_count 0
		.amdhsa_exception_fp_ieee_invalid_op 0
		.amdhsa_exception_fp_denorm_src 0
		.amdhsa_exception_fp_ieee_div_zero 0
		.amdhsa_exception_fp_ieee_overflow 0
		.amdhsa_exception_fp_ieee_underflow 0
		.amdhsa_exception_fp_ieee_inexact 0
		.amdhsa_exception_int_div_zero 0
	.end_amdhsa_kernel
	.section	.text._ZN2at4cuda12_GLOBAL__N_121kernelPointwiseApply2IZNS_6native9templates4cuda28bernoulli_tensor_cuda_kernelIN3c104HalfEfEEvRKNS_10TensorBaseESB_NS_15PhiloxCudaStateEEUliRS8_SD_SD_SD_RKfSF_SF_SF_E_S8_SE_jLi1ELi1ELi4ELi512ELi2EEEvNS0_6detail10TensorInfoIT0_T2_EENSI_IT1_SK_EESK_T_,"axG",@progbits,_ZN2at4cuda12_GLOBAL__N_121kernelPointwiseApply2IZNS_6native9templates4cuda28bernoulli_tensor_cuda_kernelIN3c104HalfEfEEvRKNS_10TensorBaseESB_NS_15PhiloxCudaStateEEUliRS8_SD_SD_SD_RKfSF_SF_SF_E_S8_SE_jLi1ELi1ELi4ELi512ELi2EEEvNS0_6detail10TensorInfoIT0_T2_EENSI_IT1_SK_EESK_T_,comdat
.Lfunc_end88:
	.size	_ZN2at4cuda12_GLOBAL__N_121kernelPointwiseApply2IZNS_6native9templates4cuda28bernoulli_tensor_cuda_kernelIN3c104HalfEfEEvRKNS_10TensorBaseESB_NS_15PhiloxCudaStateEEUliRS8_SD_SD_SD_RKfSF_SF_SF_E_S8_SE_jLi1ELi1ELi4ELi512ELi2EEEvNS0_6detail10TensorInfoIT0_T2_EENSI_IT1_SK_EESK_T_, .Lfunc_end88-_ZN2at4cuda12_GLOBAL__N_121kernelPointwiseApply2IZNS_6native9templates4cuda28bernoulli_tensor_cuda_kernelIN3c104HalfEfEEvRKNS_10TensorBaseESB_NS_15PhiloxCudaStateEEUliRS8_SD_SD_SD_RKfSF_SF_SF_E_S8_SE_jLi1ELi1ELi4ELi512ELi2EEEvNS0_6detail10TensorInfoIT0_T2_EENSI_IT1_SK_EESK_T_
                                        ; -- End function
	.section	.AMDGPU.csdata,"",@progbits
; Kernel info:
; codeLenInByte = 3248
; NumSgprs: 40
; NumVgprs: 44
; ScratchSize: 0
; MemoryBound: 0
; FloatMode: 240
; IeeeMode: 1
; LDSByteSize: 0 bytes/workgroup (compile time only)
; SGPRBlocks: 4
; VGPRBlocks: 5
; NumSGPRsForWavesPerEU: 40
; NumVGPRsForWavesPerEU: 44
; Occupancy: 16
; WaveLimiterHint : 1
; COMPUTE_PGM_RSRC2:SCRATCH_EN: 0
; COMPUTE_PGM_RSRC2:USER_SGPR: 15
; COMPUTE_PGM_RSRC2:TRAP_HANDLER: 0
; COMPUTE_PGM_RSRC2:TGID_X_EN: 1
; COMPUTE_PGM_RSRC2:TGID_Y_EN: 0
; COMPUTE_PGM_RSRC2:TGID_Z_EN: 0
; COMPUTE_PGM_RSRC2:TIDIG_COMP_CNT: 0
	.section	.text._ZN2at4cuda12_GLOBAL__N_121kernelPointwiseApply2IZNS_6native9templates4cuda28bernoulli_tensor_cuda_kernelIN3c104HalfEfEEvRKNS_10TensorBaseESB_NS_15PhiloxCudaStateEEUliRS8_SD_SD_SD_RKfSF_SF_SF_E_S8_SE_jLi1ELi2ELi4ELi512ELi2EEEvNS0_6detail10TensorInfoIT0_T2_EENSI_IT1_SK_EESK_T_,"axG",@progbits,_ZN2at4cuda12_GLOBAL__N_121kernelPointwiseApply2IZNS_6native9templates4cuda28bernoulli_tensor_cuda_kernelIN3c104HalfEfEEvRKNS_10TensorBaseESB_NS_15PhiloxCudaStateEEUliRS8_SD_SD_SD_RKfSF_SF_SF_E_S8_SE_jLi1ELi2ELi4ELi512ELi2EEEvNS0_6detail10TensorInfoIT0_T2_EENSI_IT1_SK_EESK_T_,comdat
	.globl	_ZN2at4cuda12_GLOBAL__N_121kernelPointwiseApply2IZNS_6native9templates4cuda28bernoulli_tensor_cuda_kernelIN3c104HalfEfEEvRKNS_10TensorBaseESB_NS_15PhiloxCudaStateEEUliRS8_SD_SD_SD_RKfSF_SF_SF_E_S8_SE_jLi1ELi2ELi4ELi512ELi2EEEvNS0_6detail10TensorInfoIT0_T2_EENSI_IT1_SK_EESK_T_ ; -- Begin function _ZN2at4cuda12_GLOBAL__N_121kernelPointwiseApply2IZNS_6native9templates4cuda28bernoulli_tensor_cuda_kernelIN3c104HalfEfEEvRKNS_10TensorBaseESB_NS_15PhiloxCudaStateEEUliRS8_SD_SD_SD_RKfSF_SF_SF_E_S8_SE_jLi1ELi2ELi4ELi512ELi2EEEvNS0_6detail10TensorInfoIT0_T2_EENSI_IT1_SK_EESK_T_
	.p2align	8
	.type	_ZN2at4cuda12_GLOBAL__N_121kernelPointwiseApply2IZNS_6native9templates4cuda28bernoulli_tensor_cuda_kernelIN3c104HalfEfEEvRKNS_10TensorBaseESB_NS_15PhiloxCudaStateEEUliRS8_SD_SD_SD_RKfSF_SF_SF_E_S8_SE_jLi1ELi2ELi4ELi512ELi2EEEvNS0_6detail10TensorInfoIT0_T2_EENSI_IT1_SK_EESK_T_,@function
_ZN2at4cuda12_GLOBAL__N_121kernelPointwiseApply2IZNS_6native9templates4cuda28bernoulli_tensor_cuda_kernelIN3c104HalfEfEEvRKNS_10TensorBaseESB_NS_15PhiloxCudaStateEEUliRS8_SD_SD_SD_RKfSF_SF_SF_E_S8_SE_jLi1ELi2ELi4ELi512ELi2EEEvNS0_6detail10TensorInfoIT0_T2_EENSI_IT1_SK_EESK_T_: ; @_ZN2at4cuda12_GLOBAL__N_121kernelPointwiseApply2IZNS_6native9templates4cuda28bernoulli_tensor_cuda_kernelIN3c104HalfEfEEvRKNS_10TensorBaseESB_NS_15PhiloxCudaStateEEUliRS8_SD_SD_SD_RKfSF_SF_SF_E_S8_SE_jLi1ELi2ELi4ELi512ELi2EEEvNS0_6detail10TensorInfoIT0_T2_EENSI_IT1_SK_EESK_T_
; %bb.0:
	s_clause 0x1
	s_load_b32 s4, s[0:1], 0x1e4
	s_load_b32 s16, s[0:1], 0x1b0
	s_add_u32 s2, s0, 0x1d8
	s_addc_u32 s3, s1, 0
	s_waitcnt lgkmcnt(0)
	s_and_b32 s20, s4, 0xffff
	s_mov_b32 s4, exec_lo
	v_mad_u64_u32 v[1:2], null, s15, s20, v[0:1]
	s_delay_alu instid0(VALU_DEP_1) | instskip(NEXT) | instid1(VALU_DEP_1)
	v_lshlrev_b32_e32 v0, 2, v1
	v_cmpx_gt_u32_e64 s16, v0
	s_cbranch_execz .LBB89_59
; %bb.1:
	s_clause 0x3
	s_load_b32 s17, s[0:1], 0xe4
	s_load_b32 s4, s[0:1], 0x1d0
	;; [unrolled: 1-line block ×3, first 2 shown]
	s_load_b64 s[8:9], s[0:1], 0x0
	s_load_b32 s2, s[2:3], 0x0
	s_clause 0x1
	s_load_b64 s[10:11], s[0:1], 0xd8
	s_load_b64 s[12:13], s[0:1], 0x1c8
	v_add_nc_u32_e32 v8, 3, v0
	v_sub_nc_u32_e32 v25, s16, v0
	s_mov_b32 s22, 0
	s_mov_b32 s25, 0
                                        ; implicit-def: $sgpr24
                                        ; implicit-def: $sgpr27
                                        ; implicit-def: $sgpr26
                                        ; implicit-def: $sgpr28
                                        ; implicit-def: $sgpr30
                                        ; implicit-def: $sgpr29
                                        ; implicit-def: $sgpr31
	v_add_nc_u32_e32 v7, 2, v0
	s_waitcnt lgkmcnt(0)
	v_cvt_f32_u32_e32 v2, s17
	s_bitcmp1_b32 s4, 0
	s_clause 0x1
	s_load_b64 s[14:15], s[0:1], 0x144
	s_load_b128 s[4:7], s[0:1], 0x1b8
	s_cselect_b32 s18, -1, 0
	s_sub_i32 s19, 0, s17
	v_rcp_iflag_f32_e32 v2, v2
	v_mul_lo_u32 v24, v0, s23
	v_mul_lo_u32 v28, s23, v8
	s_mul_i32 s2, s2, s20
	v_mov_b32_e32 v4, 0
	s_lshl_b32 s21, s2, 2
                                        ; implicit-def: $sgpr20
	v_mul_lo_u32 v27, s23, v7
	s_waitcnt_depctr 0xfff
	v_dual_mul_f32 v2, 0x4f7ffffe, v2 :: v_dual_add_nc_u32 v29, s23, v24
	s_mul_i32 s23, s21, s23
	s_delay_alu instid0(VALU_DEP_1) | instskip(SKIP_1) | instid1(VALU_DEP_2)
	v_cvt_u32_f32_e32 v5, v2
	v_mad_u64_u32 v[2:3], null, 0xcd9e8d57, v1, 0
	v_mul_lo_u32 v6, s19, v5
	s_delay_alu instid0(VALU_DEP_2) | instskip(NEXT) | instid1(VALU_DEP_2)
	v_mov_b32_e32 v26, v3
	v_mul_hi_u32 v6, v5, v6
	s_delay_alu instid0(VALU_DEP_1)
	v_add_nc_u32_e32 v30, v5, v6
	s_branch .LBB89_3
.LBB89_2:                               ;   in Loop: Header=BB89_3 Depth=1
	s_or_b32 exec_lo, exec_lo, s1
	s_delay_alu instid0(SALU_CYCLE_1) | instskip(NEXT) | instid1(SALU_CYCLE_1)
	s_and_b32 s0, exec_lo, s0
	s_or_b32 s22, s0, s22
	s_and_not1_b32 s0, s20, exec_lo
	s_and_b32 s1, s31, exec_lo
	s_and_not1_b32 s2, s26, exec_lo
	s_and_b32 s3, s29, exec_lo
	s_or_b32 s20, s0, s1
	s_or_b32 s26, s2, s3
	s_and_not1_b32 s0, s27, exec_lo
	s_and_b32 s1, s30, exec_lo
	s_and_not1_b32 s2, s24, exec_lo
	s_and_b32 s3, s28, exec_lo
	s_or_b32 s27, s0, s1
	s_or_b32 s24, s2, s3
	s_and_not1_b32 exec_lo, exec_lo, s22
	s_cbranch_execz .LBB89_47
.LBB89_3:                               ; =>This Inner Loop Header: Depth=1
	v_mov_b32_e32 v7, 0
	v_mov_b32_e32 v8, 0
	v_cmp_lt_i32_e64 s0, 0, v25
	s_delay_alu instid0(VALU_DEP_2) | instskip(NEXT) | instid1(VALU_DEP_2)
	v_dual_mov_b32 v10, v8 :: v_dual_mov_b32 v9, v7
	s_and_saveexec_b32 s1, s0
	s_cbranch_execz .LBB89_5
; %bb.4:                                ;   in Loop: Header=BB89_3 Depth=1
	v_mul_hi_u32 v3, v30, v0
	s_delay_alu instid0(VALU_DEP_1) | instskip(SKIP_1) | instid1(VALU_DEP_2)
	v_not_b32_e32 v11, v3
	v_mad_u64_u32 v[5:6], null, s19, v3, v[0:1]
	v_mad_u64_u32 v[9:10], null, s17, v11, v[0:1]
	s_delay_alu instid0(VALU_DEP_2) | instskip(NEXT) | instid1(VALU_DEP_2)
	v_cmp_le_u32_e32 vcc_lo, s17, v5
	v_dual_cndmask_b32 v5, v5, v9 :: v_dual_add_nc_u32 v6, 1, v3
	s_delay_alu instid0(VALU_DEP_1) | instskip(NEXT) | instid1(VALU_DEP_2)
	v_cndmask_b32_e32 v3, v3, v6, vcc_lo
	v_cmp_le_u32_e32 vcc_lo, s17, v5
	s_delay_alu instid0(VALU_DEP_2) | instskip(NEXT) | instid1(VALU_DEP_1)
	v_add_nc_u32_e32 v6, 1, v3
	v_cndmask_b32_e32 v11, v3, v6, vcc_lo
	s_delay_alu instid0(VALU_DEP_1) | instskip(SKIP_1) | instid1(VALU_DEP_1)
	v_mad_u64_u32 v[5:6], null, s19, v11, v[0:1]
	s_waitcnt lgkmcnt(0)
	v_mul_lo_u32 v3, v5, s15
	s_delay_alu instid0(VALU_DEP_1)
	v_mad_u64_u32 v[9:10], null, v11, s14, v[3:4]
	v_mov_b32_e32 v10, v4
.LBB89_5:                               ;   in Loop: Header=BB89_3 Depth=1
	s_or_b32 exec_lo, exec_lo, s1
	v_cmp_lt_i32_e64 s1, 1, v25
	s_delay_alu instid0(VALU_DEP_1)
	s_and_saveexec_b32 s2, s1
	s_cbranch_execz .LBB89_7
; %bb.6:                                ;   in Loop: Header=BB89_3 Depth=1
	v_add_nc_u32_e32 v3, 1, v0
	s_delay_alu instid0(VALU_DEP_1) | instskip(NEXT) | instid1(VALU_DEP_1)
	v_mul_hi_u32 v5, v3, v30
	v_mul_lo_u32 v6, v5, s17
	s_delay_alu instid0(VALU_DEP_1) | instskip(NEXT) | instid1(VALU_DEP_1)
	v_sub_nc_u32_e32 v6, v3, v6
	v_subrev_nc_u32_e32 v8, s17, v6
	v_cmp_le_u32_e32 vcc_lo, s17, v6
	s_delay_alu instid0(VALU_DEP_2) | instskip(NEXT) | instid1(VALU_DEP_1)
	v_dual_cndmask_b32 v6, v6, v8 :: v_dual_add_nc_u32 v7, 1, v5
	v_cndmask_b32_e32 v5, v5, v7, vcc_lo
	s_delay_alu instid0(VALU_DEP_2) | instskip(NEXT) | instid1(VALU_DEP_2)
	v_cmp_le_u32_e32 vcc_lo, s17, v6
	v_add_nc_u32_e32 v7, 1, v5
	s_delay_alu instid0(VALU_DEP_1) | instskip(NEXT) | instid1(VALU_DEP_1)
	v_cndmask_b32_e32 v5, v5, v7, vcc_lo
	v_mul_lo_u32 v6, v5, s17
	s_delay_alu instid0(VALU_DEP_1) | instskip(SKIP_1) | instid1(VALU_DEP_1)
	v_sub_nc_u32_e32 v3, v3, v6
	s_waitcnt lgkmcnt(0)
	v_mul_lo_u32 v3, v3, s15
	s_delay_alu instid0(VALU_DEP_1)
	v_mad_u64_u32 v[7:8], null, v5, s14, v[3:4]
	v_mov_b32_e32 v8, v4
.LBB89_7:                               ;   in Loop: Header=BB89_3 Depth=1
	s_or_b32 exec_lo, exec_lo, s2
	v_mov_b32_e32 v5, 0
	v_mov_b32_e32 v6, 0
	v_cmp_lt_i32_e64 s2, 2, v25
	s_delay_alu instid0(VALU_DEP_2) | instskip(NEXT) | instid1(VALU_DEP_2)
	v_dual_mov_b32 v12, v6 :: v_dual_mov_b32 v11, v5
	s_and_saveexec_b32 s3, s2
	s_cbranch_execz .LBB89_9
; %bb.8:                                ;   in Loop: Header=BB89_3 Depth=1
	v_add_nc_u32_e32 v3, 2, v0
	s_delay_alu instid0(VALU_DEP_1) | instskip(NEXT) | instid1(VALU_DEP_1)
	v_mul_hi_u32 v11, v3, v30
	v_mul_lo_u32 v12, v11, s17
	v_add_nc_u32_e32 v13, 1, v11
	s_delay_alu instid0(VALU_DEP_2) | instskip(NEXT) | instid1(VALU_DEP_1)
	v_sub_nc_u32_e32 v12, v3, v12
	v_subrev_nc_u32_e32 v14, s17, v12
	v_cmp_le_u32_e32 vcc_lo, s17, v12
	s_delay_alu instid0(VALU_DEP_2) | instskip(NEXT) | instid1(VALU_DEP_1)
	v_dual_cndmask_b32 v11, v11, v13 :: v_dual_cndmask_b32 v12, v12, v14
	v_add_nc_u32_e32 v13, 1, v11
	s_delay_alu instid0(VALU_DEP_2) | instskip(NEXT) | instid1(VALU_DEP_2)
	v_cmp_le_u32_e32 vcc_lo, s17, v12
	v_cndmask_b32_e32 v13, v11, v13, vcc_lo
	s_delay_alu instid0(VALU_DEP_1) | instskip(NEXT) | instid1(VALU_DEP_1)
	v_mul_lo_u32 v11, v13, s17
	v_sub_nc_u32_e32 v3, v3, v11
	s_waitcnt lgkmcnt(0)
	s_delay_alu instid0(VALU_DEP_1) | instskip(NEXT) | instid1(VALU_DEP_1)
	v_mul_lo_u32 v3, v3, s15
	v_mad_u64_u32 v[11:12], null, v13, s14, v[3:4]
	v_mov_b32_e32 v12, v4
.LBB89_9:                               ;   in Loop: Header=BB89_3 Depth=1
	s_or_b32 exec_lo, exec_lo, s3
	v_dual_mov_b32 v14, v6 :: v_dual_mov_b32 v13, v5
	s_mov_b32 s3, exec_lo
	v_cmpx_lt_i32_e32 3, v25
	s_cbranch_execz .LBB89_11
; %bb.10:                               ;   in Loop: Header=BB89_3 Depth=1
	v_add_nc_u32_e32 v3, 3, v0
	s_delay_alu instid0(VALU_DEP_1) | instskip(NEXT) | instid1(VALU_DEP_1)
	v_mul_hi_u32 v5, v3, v30
	v_mul_lo_u32 v6, v5, s17
	v_add_nc_u32_e32 v13, 1, v5
	s_delay_alu instid0(VALU_DEP_2) | instskip(NEXT) | instid1(VALU_DEP_1)
	v_sub_nc_u32_e32 v6, v3, v6
	v_subrev_nc_u32_e32 v14, s17, v6
	v_cmp_le_u32_e32 vcc_lo, s17, v6
	s_delay_alu instid0(VALU_DEP_2) | instskip(NEXT) | instid1(VALU_DEP_1)
	v_dual_cndmask_b32 v5, v5, v13 :: v_dual_cndmask_b32 v6, v6, v14
	v_add_nc_u32_e32 v13, 1, v5
	s_delay_alu instid0(VALU_DEP_2) | instskip(NEXT) | instid1(VALU_DEP_2)
	v_cmp_le_u32_e32 vcc_lo, s17, v6
	v_cndmask_b32_e32 v6, v5, v13, vcc_lo
	s_delay_alu instid0(VALU_DEP_1) | instskip(NEXT) | instid1(VALU_DEP_1)
	v_mul_lo_u32 v5, v6, s17
	v_sub_nc_u32_e32 v3, v3, v5
	s_waitcnt lgkmcnt(0)
	s_delay_alu instid0(VALU_DEP_1) | instskip(SKIP_1) | instid1(VALU_DEP_2)
	v_mul_lo_u32 v5, v3, s15
	v_add_nc_u32_e32 v3, s25, v28
	v_mad_u64_u32 v[13:14], null, v6, s14, v[5:6]
	v_mov_b32_e32 v6, v4
	s_delay_alu instid0(VALU_DEP_3)
	v_dual_mov_b32 v14, v4 :: v_dual_mov_b32 v5, v3
.LBB89_11:                              ;   in Loop: Header=BB89_3 Depth=1
	s_or_b32 exec_lo, exec_lo, s3
	v_lshlrev_b64 v[9:10], 2, v[9:10]
	v_lshlrev_b64 v[7:8], 2, v[7:8]
	;; [unrolled: 1-line block ×4, first 2 shown]
	s_delay_alu instid0(VALU_DEP_4)
	v_add_co_u32 v9, vcc_lo, s10, v9
	v_add_co_ci_u32_e32 v10, vcc_lo, s11, v10, vcc_lo
	v_add_co_u32 v7, vcc_lo, s10, v7
	v_add_co_ci_u32_e32 v8, vcc_lo, s11, v8, vcc_lo
	;; [unrolled: 2-line block ×4, first 2 shown]
	s_clause 0x3
	global_load_b32 v31, v[9:10], off
	global_load_b32 v32, v[7:8], off
	;; [unrolled: 1-line block ×4, first 2 shown]
	s_waitcnt lgkmcnt(0)
	v_dual_mov_b32 v12, s7 :: v_dual_mov_b32 v11, s6
	v_dual_mov_b32 v14, s5 :: v_dual_mov_b32 v13, s4
	s_and_not1_b32 vcc_lo, exec_lo, s18
	s_cbranch_vccnz .LBB89_13
; %bb.12:                               ;   in Loop: Header=BB89_3 Depth=1
	v_dual_mov_b32 v8, s7 :: v_dual_mov_b32 v7, s6
	v_dual_mov_b32 v10, s5 :: v_dual_mov_b32 v9, s4
	flat_load_b64 v[7:8], v[7:8]
	flat_load_b64 v[13:14], v[9:10]
	s_waitcnt vmcnt(1) lgkmcnt(1)
	v_add_co_u32 v11, vcc_lo, v7, s12
	v_add_co_ci_u32_e32 v12, vcc_lo, s13, v8, vcc_lo
.LBB89_13:                              ;   in Loop: Header=BB89_3 Depth=1
	s_delay_alu instid0(VALU_DEP_1)
	v_alignbit_b32 v10, v12, v11, 2
	v_lshrrev_b32_e32 v9, 2, v12
	s_waitcnt vmcnt(0) lgkmcnt(0)
	v_add_nc_u32_e32 v35, 0xbb67ae85, v14
	v_add_nc_u32_e32 v36, 0x76cf5d0a, v14
	;; [unrolled: 1-line block ×3, first 2 shown]
	v_add_co_u32 v12, vcc_lo, v10, 1
	s_delay_alu instid0(VALU_DEP_1) | instskip(SKIP_4) | instid1(VALU_DEP_4)
	v_cndmask_b32_e64 v7, 0, 1, vcc_lo
	v_add_co_ci_u32_e32 v21, vcc_lo, 0, v9, vcc_lo
	v_xor3_b32 v17, v26, v13, v9
	v_add_nc_u32_e32 v38, 0x32370b8f, v14
	v_add_nc_u32_e32 v39, 0xed9eba14, v14
	v_cmp_eq_u32_e32 vcc_lo, 0, v21
	v_add_nc_u32_e32 v40, 0x1715609d, v13
	v_add_nc_u32_e32 v41, 0xa9066899, v14
	s_mov_b32 s3, exec_lo
	v_dual_cndmask_b32 v15, 0, v7 :: v_dual_add_nc_u32 v34, 0x9e3779b9, v13
	v_mad_u64_u32 v[7:8], null, 0xd2511f53, v12, 0
	s_delay_alu instid0(VALU_DEP_2) | instskip(NEXT) | instid1(VALU_DEP_2)
	v_add_nc_u32_e32 v12, v15, v1
	v_xor_b32_e32 v16, v8, v14
	s_delay_alu instid0(VALU_DEP_2) | instskip(SKIP_2) | instid1(VALU_DEP_1)
	v_cmp_eq_u32_e32 vcc_lo, 0, v12
	v_mad_u64_u32 v[8:9], null, 0xd2511f53, v10, 0
	v_cndmask_b32_e32 v15, 0, v15, vcc_lo
	v_xor_b32_e32 v10, v15, v16
	v_mad_u64_u32 v[15:16], null, 0xd2511f53, v17, 0
	v_mad_u64_u32 v[17:18], null, 0xcd9e8d57, v12, 0
	s_delay_alu instid0(VALU_DEP_3) | instskip(SKIP_3) | instid1(VALU_DEP_3)
	v_mad_u64_u32 v[19:20], null, 0xcd9e8d57, v10, 0
	v_xor_b32_e32 v10, v9, v14
	v_add_nc_u32_e32 v12, 0x3c6ef372, v13
	v_xor3_b32 v22, v35, v16, v8
	v_mad_u64_u32 v[8:9], null, 0xcd9e8d57, v10, 0
	v_xor3_b32 v10, v18, v13, v21
	v_xor3_b32 v18, v34, v20, v17
	s_delay_alu instid0(VALU_DEP_4) | instskip(NEXT) | instid1(VALU_DEP_3)
	v_mad_u64_u32 v[16:17], null, 0xcd9e8d57, v22, 0
	v_mad_u64_u32 v[20:21], null, 0xd2511f53, v10, 0
	s_delay_alu instid0(VALU_DEP_3) | instskip(SKIP_1) | instid1(VALU_DEP_4)
	v_mad_u64_u32 v[22:23], null, 0xd2511f53, v18, 0
	v_xor3_b32 v10, v2, v9, v34
	v_xor3_b32 v34, v12, v17, v8
	s_delay_alu instid0(VALU_DEP_4) | instskip(NEXT) | instid1(VALU_DEP_3)
	v_xor3_b32 v7, v35, v21, v7
	v_mad_u64_u32 v[8:9], null, 0xd2511f53, v10, 0
	v_xor3_b32 v10, v36, v23, v20
	s_delay_alu instid0(VALU_DEP_4) | instskip(NEXT) | instid1(VALU_DEP_4)
	v_mad_u64_u32 v[17:18], null, 0xd2511f53, v34, 0
	v_mad_u64_u32 v[20:21], null, 0xcd9e8d57, v7, 0
	s_delay_alu instid0(VALU_DEP_3) | instskip(SKIP_4) | instid1(VALU_DEP_4)
	v_mad_u64_u32 v[34:35], null, 0xcd9e8d57, v10, 0
	v_xor3_b32 v9, v36, v9, v15
	v_add_nc_u32_e32 v23, 0x78dde6e4, v13
	v_xor3_b32 v15, v38, v18, v8
	v_xor3_b32 v12, v12, v21, v19
	v_mad_u64_u32 v[7:8], null, 0xcd9e8d57, v9, 0
	v_xor3_b32 v35, v37, v35, v20
	s_delay_alu instid0(VALU_DEP_4) | instskip(NEXT) | instid1(VALU_DEP_4)
	v_mad_u64_u32 v[9:10], null, 0xcd9e8d57, v15, 0
	v_mad_u64_u32 v[18:19], null, 0xd2511f53, v12, 0
	s_delay_alu instid0(VALU_DEP_3) | instskip(SKIP_1) | instid1(VALU_DEP_4)
	v_mad_u64_u32 v[20:21], null, 0xd2511f53, v35, 0
	v_xor3_b32 v12, v37, v8, v16
	v_xor3_b32 v10, v23, v10, v7
	s_delay_alu instid0(VALU_DEP_2) | instskip(SKIP_2) | instid1(VALU_DEP_4)
	v_mad_u64_u32 v[7:8], null, 0xd2511f53, v12, 0
	v_xor3_b32 v12, v38, v19, v22
	v_xor3_b32 v18, v39, v21, v18
	v_mad_u64_u32 v[21:22], null, 0xd2511f53, v10, 0
	s_delay_alu instid0(VALU_DEP_3) | instskip(NEXT) | instid1(VALU_DEP_3)
	v_mad_u64_u32 v[15:16], null, 0xcd9e8d57, v12, 0
	v_mad_u64_u32 v[35:36], null, 0xcd9e8d57, v18, 0
	v_xor3_b32 v10, v39, v8, v17
	s_delay_alu instid0(VALU_DEP_4) | instskip(SKIP_2) | instid1(VALU_DEP_4)
	v_xor3_b32 v18, v41, v22, v7
	v_add_nc_u32_e32 v12, 0xb54cda56, v13
	v_add_nc_u32_e32 v17, 0x646e171e, v14
	v_mad_u64_u32 v[7:8], null, 0xcd9e8d57, v10, 0
	v_xor3_b32 v10, v23, v16, v34
	v_xor3_b32 v19, v40, v36, v15
	v_mad_u64_u32 v[36:37], null, 0xcd9e8d57, v18, 0
	v_add_nc_u32_e32 v23, 0x5384540f, v13
	s_delay_alu instid0(VALU_DEP_4) | instskip(NEXT) | instid1(VALU_DEP_4)
	v_mad_u64_u32 v[15:16], null, 0xd2511f53, v10, 0
	v_mad_u64_u32 v[38:39], null, 0xd2511f53, v19, 0
	v_xor3_b32 v9, v40, v8, v9
	v_xor3_b32 v10, v12, v37, v7
	v_add_nc_u32_e32 v40, 0x1fd5c5a3, v14
	v_add_co_u32 v34, null, 0xf1bbcdc8, v13
	v_xor3_b32 v18, v41, v16, v20
	v_xor3_b32 v20, v17, v39, v15
	v_mad_u64_u32 v[7:8], null, 0xd2511f53, v9, 0
	v_mad_u64_u32 v[15:16], null, 0xd2511f53, v10, 0
	s_delay_alu instid0(VALU_DEP_4) | instskip(NEXT) | instid1(VALU_DEP_4)
	v_mad_u64_u32 v[9:10], null, 0xcd9e8d57, v18, 0
	v_mad_u64_u32 v[18:19], null, 0xcd9e8d57, v20, 0
	s_delay_alu instid0(VALU_DEP_4) | instskip(NEXT) | instid1(VALU_DEP_4)
	v_xor3_b32 v17, v17, v8, v21
	v_xor3_b32 v20, v40, v16, v7
	s_delay_alu instid0(VALU_DEP_4) | instskip(NEXT) | instid1(VALU_DEP_3)
	v_xor3_b32 v12, v12, v10, v35
	v_mad_u64_u32 v[7:8], null, 0xcd9e8d57, v17, 0
	v_xor3_b32 v19, v23, v19, v9
	s_delay_alu instid0(VALU_DEP_4) | instskip(NEXT) | instid1(VALU_DEP_4)
	v_mad_u64_u32 v[16:17], null, 0xcd9e8d57, v20, 0
	v_mad_u64_u32 v[9:10], null, 0xd2511f53, v12, 0
	s_delay_alu instid0(VALU_DEP_3)
	v_mad_u64_u32 v[21:22], null, 0xd2511f53, v19, 0
	v_add_nc_u32_e32 v35, 0xdb3d7428, v14
	v_xor3_b32 v8, v23, v8, v36
	v_xor3_b32 v12, v34, v17, v7
	v_add_nc_u32_e32 v36, 0x96a522ad, v14
	v_xor3_b32 v10, v40, v10, v38
	v_and_b32_e32 v14, 3, v11
	v_xor3_b32 v17, v35, v22, v9
	v_mad_u64_u32 v[19:20], null, 0xd2511f53, v8, 0
	v_mad_u64_u32 v[7:8], null, 0xd2511f53, v12, 0
	;; [unrolled: 1-line block ×3, first 2 shown]
	s_delay_alu instid0(VALU_DEP_4) | instskip(SKIP_1) | instid1(VALU_DEP_4)
	v_mad_u64_u32 v[9:10], null, 0xcd9e8d57, v17, 0
	v_add_nc_u32_e32 v17, 0x8ff34781, v13
                                        ; implicit-def: $vgpr12
	v_xor3_b32 v13, v8, v19, v36
	s_delay_alu instid0(VALU_DEP_2)
	v_xor3_b32 v8, v10, v22, v17
	v_cmpx_lt_i32_e32 1, v14
	s_xor_b32 s3, exec_lo, s3
	s_cbranch_execz .LBB89_19
; %bb.14:                               ;   in Loop: Header=BB89_3 Depth=1
	s_mov_b32 s33, exec_lo
                                        ; implicit-def: $vgpr12
	v_cmpx_lt_i32_e32 2, v14
	s_xor_b32 s33, exec_lo, s33
; %bb.15:                               ;   in Loop: Header=BB89_3 Depth=1
	v_xor3_b32 v10, v34, v23, v18
                                        ; implicit-def: $vgpr13
	s_delay_alu instid0(VALU_DEP_1) | instskip(NEXT) | instid1(VALU_DEP_1)
	v_mul_hi_u32 v10, 0xd2511f53, v10
	v_xor3_b32 v12, v10, v21, v36
; %bb.16:                               ;   in Loop: Header=BB89_3 Depth=1
	s_and_not1_saveexec_b32 s33, s33
; %bb.17:                               ;   in Loop: Header=BB89_3 Depth=1
	v_dual_mov_b32 v12, v9 :: v_dual_mov_b32 v9, v8
	v_dual_mov_b32 v8, v7 :: v_dual_mov_b32 v7, v13
; %bb.18:                               ;   in Loop: Header=BB89_3 Depth=1
	s_or_b32 exec_lo, exec_lo, s33
                                        ; implicit-def: $vgpr15_vgpr16
                                        ; implicit-def: $vgpr14
                                        ; implicit-def: $vgpr13
                                        ; implicit-def: $vgpr35
                                        ; implicit-def: $vgpr19_vgpr20
                                        ; implicit-def: $vgpr16_vgpr17
                                        ; implicit-def: $vgpr17
.LBB89_19:                              ;   in Loop: Header=BB89_3 Depth=1
	s_and_not1_saveexec_b32 s3, s3
	s_cbranch_execz .LBB89_23
; %bb.20:                               ;   in Loop: Header=BB89_3 Depth=1
	v_xor3_b32 v9, v35, v20, v15
	v_cmp_eq_u32_e32 vcc_lo, 1, v14
	v_mov_b32_e32 v12, v7
	s_delay_alu instid0(VALU_DEP_3) | instskip(SKIP_1) | instid1(VALU_DEP_2)
	v_mad_u64_u32 v[10:11], null, 0xcd9e8d57, v9, 0
	v_mov_b32_e32 v9, v13
	v_xor3_b32 v14, v11, v16, v17
	s_delay_alu instid0(VALU_DEP_3)
	v_mov_b32_e32 v11, v10
	s_and_saveexec_b32 s33, vcc_lo
; %bb.21:                               ;   in Loop: Header=BB89_3 Depth=1
	v_dual_mov_b32 v12, v8 :: v_dual_mov_b32 v9, v7
	v_dual_mov_b32 v11, v13 :: v_dual_mov_b32 v14, v10
; %bb.22:                               ;   in Loop: Header=BB89_3 Depth=1
	s_or_b32 exec_lo, exec_lo, s33
	s_delay_alu instid0(VALU_DEP_1)
	v_dual_mov_b32 v7, v14 :: v_dual_mov_b32 v8, v11
.LBB89_23:                              ;   in Loop: Header=BB89_3 Depth=1
	s_or_b32 exec_lo, exec_lo, s3
	v_min_i32_e32 v10, 4, v25
	s_mov_b32 s33, 0
	s_mov_b32 s38, 0
	s_mov_b32 s36, exec_lo
                                        ; implicit-def: $sgpr3
                                        ; implicit-def: $sgpr34
                                        ; implicit-def: $sgpr35
	s_delay_alu instid0(VALU_DEP_1)
	v_cmpx_lt_i32_e32 2, v10
	s_xor_b32 s36, exec_lo, s36
	s_cbranch_execz .LBB89_33
; %bb.24:                               ;   in Loop: Header=BB89_3 Depth=1
	s_mov_b32 s3, -1
	s_mov_b32 s35, exec_lo
                                        ; implicit-def: $sgpr34
                                        ; implicit-def: $sgpr37
	v_cmpx_lt_i32_e32 3, v10
	s_cbranch_execz .LBB89_28
; %bb.25:                               ;   in Loop: Header=BB89_3 Depth=1
	v_cmp_le_f32_e32 vcc_lo, 0, v3
	v_cmp_ge_f32_e64 s3, 1.0, v3
	s_mov_b32 s34, 0
	s_delay_alu instid0(VALU_DEP_1)
	s_and_b32 s38, vcc_lo, s3
	s_mov_b32 s3, 0
	s_and_saveexec_b32 s37, s38
	s_cbranch_execz .LBB89_27
; %bb.26:                               ;   in Loop: Header=BB89_3 Depth=1
	v_cvt_f32_u32_e32 v11, v12
	v_lshlrev_b64 v[5:6], 1, v[5:6]
	s_mov_b32 s3, exec_lo
	s_delay_alu instid0(VALU_DEP_2) | instskip(NEXT) | instid1(VALU_DEP_2)
	v_fmaak_f32 v11, 0x2f800000, v11, 0x2f800000
	v_add_co_u32 v5, vcc_lo, s8, v5
	s_delay_alu instid0(VALU_DEP_3) | instskip(NEXT) | instid1(VALU_DEP_3)
	v_add_co_ci_u32_e32 v6, vcc_lo, s9, v6, vcc_lo
	v_cmp_le_f32_e32 vcc_lo, v11, v3
	v_cndmask_b32_e64 v3, 0, 0x3c00, vcc_lo
	global_store_b16 v[5:6], v3, off
.LBB89_27:                              ;   in Loop: Header=BB89_3 Depth=1
	s_or_b32 exec_lo, exec_lo, s37
	s_mov_b32 s37, -1
	s_or_not1_b32 s3, s3, exec_lo
.LBB89_28:                              ;   in Loop: Header=BB89_3 Depth=1
	s_or_b32 exec_lo, exec_lo, s35
	s_mov_b32 s38, 0
	s_mov_b32 s39, s34
	s_and_saveexec_b32 s35, s3
	s_cbranch_execz .LBB89_32
; %bb.29:                               ;   in Loop: Header=BB89_3 Depth=1
	v_cmp_le_f32_e32 vcc_lo, 0, v33
	v_cmp_ge_f32_e64 s3, 1.0, v33
	s_delay_alu instid0(VALU_DEP_1) | instskip(SKIP_2) | instid1(SALU_CYCLE_1)
	s_and_b32 s38, vcc_lo, s3
	s_mov_b32 s3, 0
	s_and_saveexec_b32 s39, s38
	s_xor_b32 s38, exec_lo, s39
	s_cbranch_execz .LBB89_31
; %bb.30:                               ;   in Loop: Header=BB89_3 Depth=1
	v_add_nc_u32_e32 v3, s25, v27
	v_cvt_f32_u32_e32 v9, v9
	s_mov_b32 s3, exec_lo
	s_delay_alu instid0(VALU_DEP_2) | instskip(NEXT) | instid1(VALU_DEP_1)
	v_cndmask_b32_e64 v3, 0, v3, s2
	v_lshlrev_b64 v[5:6], 1, v[3:4]
	s_delay_alu instid0(VALU_DEP_3) | instskip(NEXT) | instid1(VALU_DEP_2)
	v_fmaak_f32 v3, 0x2f800000, v9, 0x2f800000
	v_add_co_u32 v5, vcc_lo, s8, v5
	s_delay_alu instid0(VALU_DEP_3) | instskip(NEXT) | instid1(VALU_DEP_3)
	v_add_co_ci_u32_e32 v6, vcc_lo, s9, v6, vcc_lo
	v_cmp_le_f32_e32 vcc_lo, v3, v33
	v_cndmask_b32_e64 v3, 0, 0x3c00, vcc_lo
	global_store_b16 v[5:6], v3, off
.LBB89_31:                              ;   in Loop: Header=BB89_3 Depth=1
	s_or_b32 exec_lo, exec_lo, s38
	s_delay_alu instid0(SALU_CYCLE_1)
	s_and_not1_b32 s39, s34, exec_lo
	s_or_b32 s34, s34, exec_lo
	s_and_not1_b32 s37, s37, exec_lo
	s_and_b32 s38, s3, exec_lo
.LBB89_32:                              ;   in Loop: Header=BB89_3 Depth=1
	s_or_b32 exec_lo, exec_lo, s35
	s_delay_alu instid0(SALU_CYCLE_1)
	s_and_b32 s35, s39, exec_lo
	s_and_b32 s34, s34, exec_lo
	;; [unrolled: 1-line block ×4, first 2 shown]
.LBB89_33:                              ;   in Loop: Header=BB89_3 Depth=1
	s_and_not1_saveexec_b32 s2, s36
; %bb.34:                               ;   in Loop: Header=BB89_3 Depth=1
	v_cmp_lt_i32_e32 vcc_lo, 1, v10
	s_and_not1_b32 s36, s38, exec_lo
	s_mov_b32 s33, exec_lo
	s_and_not1_b32 s35, s35, exec_lo
	s_and_not1_b32 s34, s34, exec_lo
	s_and_b32 s37, vcc_lo, exec_lo
	s_and_not1_b32 s3, s3, exec_lo
	s_or_b32 s38, s36, s37
; %bb.35:                               ;   in Loop: Header=BB89_3 Depth=1
	s_or_b32 exec_lo, exec_lo, s2
	s_mov_b32 s36, 0
	s_mov_b32 s37, 0
	;; [unrolled: 1-line block ×3, first 2 shown]
	s_and_saveexec_b32 s39, s38
	s_cbranch_execnz .LBB89_38
; %bb.36:                               ;   in Loop: Header=BB89_3 Depth=1
	s_or_b32 exec_lo, exec_lo, s39
	s_and_saveexec_b32 s1, s33
	s_cbranch_execnz .LBB89_41
.LBB89_37:                              ;   in Loop: Header=BB89_3 Depth=1
	s_or_b32 exec_lo, exec_lo, s1
	s_and_saveexec_b32 s33, s37
	s_cbranch_execnz .LBB89_42
	s_branch .LBB89_45
.LBB89_38:                              ;   in Loop: Header=BB89_3 Depth=1
	v_cmp_le_f32_e32 vcc_lo, 0, v32
	v_cmp_ge_f32_e64 s2, 1.0, v32
	s_delay_alu instid0(VALU_DEP_1) | instskip(NEXT) | instid1(SALU_CYCLE_1)
	s_and_b32 s2, vcc_lo, s2
	s_and_saveexec_b32 s38, s2
	s_delay_alu instid0(SALU_CYCLE_1)
	s_xor_b32 s2, exec_lo, s38
	s_cbranch_execz .LBB89_40
; %bb.39:                               ;   in Loop: Header=BB89_3 Depth=1
	v_add_nc_u32_e32 v3, s25, v29
	v_cvt_f32_u32_e32 v8, v8
	s_mov_b32 s37, exec_lo
	s_delay_alu instid0(VALU_DEP_2) | instskip(NEXT) | instid1(VALU_DEP_1)
	v_cndmask_b32_e64 v3, 0, v3, s1
	v_lshlrev_b64 v[5:6], 1, v[3:4]
	s_delay_alu instid0(VALU_DEP_3) | instskip(NEXT) | instid1(VALU_DEP_2)
	v_fmaak_f32 v3, 0x2f800000, v8, 0x2f800000
	v_add_co_u32 v5, vcc_lo, s8, v5
	s_delay_alu instid0(VALU_DEP_3) | instskip(NEXT) | instid1(VALU_DEP_3)
	v_add_co_ci_u32_e32 v6, vcc_lo, s9, v6, vcc_lo
	v_cmp_le_f32_e32 vcc_lo, v3, v32
	v_cndmask_b32_e64 v3, 0, 0x3c00, vcc_lo
	global_store_b16 v[5:6], v3, off
.LBB89_40:                              ;   in Loop: Header=BB89_3 Depth=1
	s_or_b32 exec_lo, exec_lo, s2
	s_delay_alu instid0(SALU_CYCLE_1)
	s_and_not1_b32 s2, s35, exec_lo
	s_or_b32 s35, s35, exec_lo
	s_and_not1_b32 s34, s34, exec_lo
	s_and_not1_b32 s3, s3, exec_lo
	s_and_b32 s37, s37, exec_lo
	s_and_not1_b32 s33, s33, exec_lo
	s_or_b32 exec_lo, exec_lo, s39
	s_and_saveexec_b32 s1, s33
	s_cbranch_execz .LBB89_37
.LBB89_41:                              ;   in Loop: Header=BB89_3 Depth=1
	v_cmp_eq_u32_e32 vcc_lo, 1, v10
	s_and_not1_b32 s33, s37, exec_lo
	s_mov_b32 s36, exec_lo
	s_and_not1_b32 s2, s2, exec_lo
	s_and_not1_b32 s35, s35, exec_lo
	s_and_b32 s37, vcc_lo, exec_lo
	s_and_not1_b32 s34, s34, exec_lo
	s_and_not1_b32 s3, s3, exec_lo
	s_or_b32 s37, s33, s37
	s_or_b32 exec_lo, exec_lo, s1
	s_and_saveexec_b32 s33, s37
	s_cbranch_execz .LBB89_45
.LBB89_42:                              ;   in Loop: Header=BB89_3 Depth=1
	v_cmp_le_f32_e32 vcc_lo, 0, v31
	v_cmp_ge_f32_e64 s1, 1.0, v31
	s_delay_alu instid0(VALU_DEP_1)
	s_and_b32 s38, vcc_lo, s1
	s_mov_b32 s1, 0
	s_and_saveexec_b32 s37, s38
	s_cbranch_execz .LBB89_44
; %bb.43:                               ;   in Loop: Header=BB89_3 Depth=1
	v_add_nc_u32_e32 v3, s25, v24
	v_cvt_f32_u32_e32 v7, v7
	s_mov_b32 s1, exec_lo
	s_delay_alu instid0(VALU_DEP_2) | instskip(NEXT) | instid1(VALU_DEP_1)
	v_cndmask_b32_e64 v3, 0, v3, s0
	v_lshlrev_b64 v[5:6], 1, v[3:4]
	s_delay_alu instid0(VALU_DEP_3) | instskip(NEXT) | instid1(VALU_DEP_2)
	v_fmaak_f32 v3, 0x2f800000, v7, 0x2f800000
	v_add_co_u32 v5, vcc_lo, s8, v5
	s_delay_alu instid0(VALU_DEP_3) | instskip(NEXT) | instid1(VALU_DEP_3)
	v_add_co_ci_u32_e32 v6, vcc_lo, s9, v6, vcc_lo
	v_cmp_le_f32_e32 vcc_lo, v3, v31
	v_cndmask_b32_e64 v3, 0, 0x3c00, vcc_lo
	global_store_b16 v[5:6], v3, off
.LBB89_44:                              ;   in Loop: Header=BB89_3 Depth=1
	s_or_b32 exec_lo, exec_lo, s37
	s_delay_alu instid0(SALU_CYCLE_1)
	s_and_not1_b32 s0, s36, exec_lo
	s_and_b32 s1, s1, exec_lo
	s_or_b32 s2, s2, exec_lo
	s_and_not1_b32 s35, s35, exec_lo
	s_and_not1_b32 s34, s34, exec_lo
	;; [unrolled: 1-line block ×3, first 2 shown]
	s_or_b32 s36, s0, s1
.LBB89_45:                              ;   in Loop: Header=BB89_3 Depth=1
	s_or_b32 exec_lo, exec_lo, s33
	s_delay_alu instid0(SALU_CYCLE_1)
	s_and_not1_b32 s1, s31, exec_lo
	s_and_b32 s2, s2, exec_lo
	s_and_not1_b32 s29, s29, exec_lo
	s_and_b32 s33, s35, exec_lo
	s_or_b32 s31, s1, s2
	s_and_not1_b32 s1, s30, exec_lo
	s_and_b32 s2, s34, exec_lo
	s_and_not1_b32 s28, s28, exec_lo
	s_and_b32 s3, s3, exec_lo
	s_mov_b32 s0, -1
	s_or_b32 s29, s29, s33
	s_or_b32 s30, s1, s2
	;; [unrolled: 1-line block ×3, first 2 shown]
	s_and_saveexec_b32 s1, s36
	s_cbranch_execz .LBB89_2
; %bb.46:                               ;   in Loop: Header=BB89_3 Depth=1
	v_add_nc_u32_e32 v0, s21, v0
	v_subrev_nc_u32_e32 v25, s21, v25
	s_add_i32 s25, s25, s23
	s_and_not1_b32 s31, s31, exec_lo
	s_and_not1_b32 s29, s29, exec_lo
	v_cmp_le_u32_e32 vcc_lo, s16, v0
	s_and_not1_b32 s30, s30, exec_lo
	s_and_not1_b32 s28, s28, exec_lo
	s_or_not1_b32 s0, vcc_lo, exec_lo
	s_branch .LBB89_2
.LBB89_47:
	s_or_b32 exec_lo, exec_lo, s22
	s_xor_b32 s3, s26, -1
	s_xor_b32 s4, s27, -1
	;; [unrolled: 1-line block ×3, first 2 shown]
	s_mov_b32 s1, 0
	s_and_saveexec_b32 s2, s0
	s_delay_alu instid0(SALU_CYCLE_1)
	s_xor_b32 s0, exec_lo, s2
	s_cbranch_execz .LBB89_56
; %bb.48:
	s_mov_b32 s2, 0
	s_and_saveexec_b32 s1, s4
	s_delay_alu instid0(SALU_CYCLE_1)
	s_xor_b32 s1, exec_lo, s1
	s_cbranch_execz .LBB89_54
; %bb.49:
	s_and_saveexec_b32 s4, s3
	s_delay_alu instid0(SALU_CYCLE_1)
	s_xor_b32 s3, exec_lo, s4
	s_cbranch_execz .LBB89_52
; %bb.50:
	s_and_saveexec_b32 s4, s20
	s_delay_alu instid0(SALU_CYCLE_1)
	s_xor_b32 s4, exec_lo, s4
	s_cbranch_execnz .LBB89_70
.LBB89_51:
	s_or_b32 exec_lo, exec_lo, s4
	s_delay_alu instid0(SALU_CYCLE_1)
	s_and_b32 s2, s2, exec_lo
.LBB89_52:
	s_and_not1_saveexec_b32 s3, s3
	s_cbranch_execnz .LBB89_66
.LBB89_53:
	s_or_b32 exec_lo, exec_lo, s3
	s_delay_alu instid0(SALU_CYCLE_1)
	s_and_b32 s2, s2, exec_lo
.LBB89_54:
	s_and_not1_saveexec_b32 s1, s1
	s_cbranch_execnz .LBB89_62
.LBB89_55:
	s_or_b32 exec_lo, exec_lo, s1
	s_delay_alu instid0(SALU_CYCLE_1)
	s_and_b32 s1, s2, exec_lo
.LBB89_56:
	s_and_not1_saveexec_b32 s0, s0
	s_cbranch_execnz .LBB89_60
; %bb.57:
	s_or_b32 exec_lo, exec_lo, s0
	s_delay_alu instid0(SALU_CYCLE_1)
	s_and_b32 exec_lo, exec_lo, s1
.LBB89_58:
	; divergent unreachable
.LBB89_59:
	s_nop 0
	s_sendmsg sendmsg(MSG_DEALLOC_VGPRS)
	s_endpgm
.LBB89_60:
	s_cbranch_execnz .LBB89_64
; %bb.61:
	s_or_b32 s1, s1, exec_lo
	s_or_b32 exec_lo, exec_lo, s0
	s_delay_alu instid0(SALU_CYCLE_1)
	s_and_b32 exec_lo, exec_lo, s1
	s_cbranch_execnz .LBB89_58
	s_branch .LBB89_59
.LBB89_62:
	s_cbranch_execnz .LBB89_68
; %bb.63:
	s_or_b32 s2, s2, exec_lo
	s_branch .LBB89_55
.LBB89_64:
	s_trap 2
	s_sendmsg_rtn_b32 s0, sendmsg(MSG_RTN_GET_DOORBELL)
	s_mov_b32 ttmp2, m0
	s_waitcnt lgkmcnt(0)
	s_and_b32 s0, s0, 0x3ff
	s_delay_alu instid0(SALU_CYCLE_1) | instskip(NEXT) | instid1(SALU_CYCLE_1)
	s_bitset1_b32 s0, 10
	s_mov_b32 m0, s0
	s_sendmsg sendmsg(MSG_INTERRUPT)
	s_mov_b32 m0, ttmp2
.LBB89_65:                              ; =>This Inner Loop Header: Depth=1
	s_sethalt 5
	s_branch .LBB89_65
.LBB89_66:
	s_cbranch_execnz .LBB89_72
; %bb.67:
	s_or_b32 s2, s2, exec_lo
	s_branch .LBB89_53
.LBB89_68:
	s_trap 2
	s_sendmsg_rtn_b32 s0, sendmsg(MSG_RTN_GET_DOORBELL)
	s_mov_b32 ttmp2, m0
	s_waitcnt lgkmcnt(0)
	s_and_b32 s0, s0, 0x3ff
	s_delay_alu instid0(SALU_CYCLE_1) | instskip(NEXT) | instid1(SALU_CYCLE_1)
	s_bitset1_b32 s0, 10
	s_mov_b32 m0, s0
	s_sendmsg sendmsg(MSG_INTERRUPT)
	s_mov_b32 m0, ttmp2
.LBB89_69:                              ; =>This Inner Loop Header: Depth=1
	s_sethalt 5
	s_branch .LBB89_69
.LBB89_70:
	s_cbranch_execnz .LBB89_74
; %bb.71:
	s_mov_b32 s2, exec_lo
	s_branch .LBB89_51
.LBB89_72:
	s_trap 2
	s_sendmsg_rtn_b32 s0, sendmsg(MSG_RTN_GET_DOORBELL)
	s_mov_b32 ttmp2, m0
	s_waitcnt lgkmcnt(0)
	s_and_b32 s0, s0, 0x3ff
	s_delay_alu instid0(SALU_CYCLE_1) | instskip(NEXT) | instid1(SALU_CYCLE_1)
	s_bitset1_b32 s0, 10
	s_mov_b32 m0, s0
	s_sendmsg sendmsg(MSG_INTERRUPT)
	s_mov_b32 m0, ttmp2
.LBB89_73:                              ; =>This Inner Loop Header: Depth=1
	s_sethalt 5
	s_branch .LBB89_73
.LBB89_74:
	s_trap 2
	s_sendmsg_rtn_b32 s0, sendmsg(MSG_RTN_GET_DOORBELL)
	s_mov_b32 ttmp2, m0
	s_waitcnt lgkmcnt(0)
	s_and_b32 s0, s0, 0x3ff
	s_delay_alu instid0(SALU_CYCLE_1) | instskip(NEXT) | instid1(SALU_CYCLE_1)
	s_bitset1_b32 s0, 10
	s_mov_b32 m0, s0
	s_sendmsg sendmsg(MSG_INTERRUPT)
	s_mov_b32 m0, ttmp2
.LBB89_75:                              ; =>This Inner Loop Header: Depth=1
	s_sethalt 5
	s_branch .LBB89_75
	.section	.rodata,"a",@progbits
	.p2align	6, 0x0
	.amdhsa_kernel _ZN2at4cuda12_GLOBAL__N_121kernelPointwiseApply2IZNS_6native9templates4cuda28bernoulli_tensor_cuda_kernelIN3c104HalfEfEEvRKNS_10TensorBaseESB_NS_15PhiloxCudaStateEEUliRS8_SD_SD_SD_RKfSF_SF_SF_E_S8_SE_jLi1ELi2ELi4ELi512ELi2EEEvNS0_6detail10TensorInfoIT0_T2_EENSI_IT1_SK_EESK_T_
		.amdhsa_group_segment_fixed_size 0
		.amdhsa_private_segment_fixed_size 0
		.amdhsa_kernarg_size 728
		.amdhsa_user_sgpr_count 15
		.amdhsa_user_sgpr_dispatch_ptr 0
		.amdhsa_user_sgpr_queue_ptr 0
		.amdhsa_user_sgpr_kernarg_segment_ptr 1
		.amdhsa_user_sgpr_dispatch_id 0
		.amdhsa_user_sgpr_private_segment_size 0
		.amdhsa_wavefront_size32 1
		.amdhsa_uses_dynamic_stack 0
		.amdhsa_enable_private_segment 0
		.amdhsa_system_sgpr_workgroup_id_x 1
		.amdhsa_system_sgpr_workgroup_id_y 0
		.amdhsa_system_sgpr_workgroup_id_z 0
		.amdhsa_system_sgpr_workgroup_info 0
		.amdhsa_system_vgpr_workitem_id 0
		.amdhsa_next_free_vgpr 42
		.amdhsa_next_free_sgpr 40
		.amdhsa_reserve_vcc 1
		.amdhsa_float_round_mode_32 0
		.amdhsa_float_round_mode_16_64 0
		.amdhsa_float_denorm_mode_32 3
		.amdhsa_float_denorm_mode_16_64 3
		.amdhsa_dx10_clamp 1
		.amdhsa_ieee_mode 1
		.amdhsa_fp16_overflow 0
		.amdhsa_workgroup_processor_mode 1
		.amdhsa_memory_ordered 1
		.amdhsa_forward_progress 0
		.amdhsa_shared_vgpr_count 0
		.amdhsa_exception_fp_ieee_invalid_op 0
		.amdhsa_exception_fp_denorm_src 0
		.amdhsa_exception_fp_ieee_div_zero 0
		.amdhsa_exception_fp_ieee_overflow 0
		.amdhsa_exception_fp_ieee_underflow 0
		.amdhsa_exception_fp_ieee_inexact 0
		.amdhsa_exception_int_div_zero 0
	.end_amdhsa_kernel
	.section	.text._ZN2at4cuda12_GLOBAL__N_121kernelPointwiseApply2IZNS_6native9templates4cuda28bernoulli_tensor_cuda_kernelIN3c104HalfEfEEvRKNS_10TensorBaseESB_NS_15PhiloxCudaStateEEUliRS8_SD_SD_SD_RKfSF_SF_SF_E_S8_SE_jLi1ELi2ELi4ELi512ELi2EEEvNS0_6detail10TensorInfoIT0_T2_EENSI_IT1_SK_EESK_T_,"axG",@progbits,_ZN2at4cuda12_GLOBAL__N_121kernelPointwiseApply2IZNS_6native9templates4cuda28bernoulli_tensor_cuda_kernelIN3c104HalfEfEEvRKNS_10TensorBaseESB_NS_15PhiloxCudaStateEEUliRS8_SD_SD_SD_RKfSF_SF_SF_E_S8_SE_jLi1ELi2ELi4ELi512ELi2EEEvNS0_6detail10TensorInfoIT0_T2_EENSI_IT1_SK_EESK_T_,comdat
.Lfunc_end89:
	.size	_ZN2at4cuda12_GLOBAL__N_121kernelPointwiseApply2IZNS_6native9templates4cuda28bernoulli_tensor_cuda_kernelIN3c104HalfEfEEvRKNS_10TensorBaseESB_NS_15PhiloxCudaStateEEUliRS8_SD_SD_SD_RKfSF_SF_SF_E_S8_SE_jLi1ELi2ELi4ELi512ELi2EEEvNS0_6detail10TensorInfoIT0_T2_EENSI_IT1_SK_EESK_T_, .Lfunc_end89-_ZN2at4cuda12_GLOBAL__N_121kernelPointwiseApply2IZNS_6native9templates4cuda28bernoulli_tensor_cuda_kernelIN3c104HalfEfEEvRKNS_10TensorBaseESB_NS_15PhiloxCudaStateEEUliRS8_SD_SD_SD_RKfSF_SF_SF_E_S8_SE_jLi1ELi2ELi4ELi512ELi2EEEvNS0_6detail10TensorInfoIT0_T2_EENSI_IT1_SK_EESK_T_
                                        ; -- End function
	.section	.AMDGPU.csdata,"",@progbits
; Kernel info:
; codeLenInByte = 3760
; NumSgprs: 42
; NumVgprs: 42
; ScratchSize: 0
; MemoryBound: 0
; FloatMode: 240
; IeeeMode: 1
; LDSByteSize: 0 bytes/workgroup (compile time only)
; SGPRBlocks: 5
; VGPRBlocks: 5
; NumSGPRsForWavesPerEU: 42
; NumVGPRsForWavesPerEU: 42
; Occupancy: 16
; WaveLimiterHint : 1
; COMPUTE_PGM_RSRC2:SCRATCH_EN: 0
; COMPUTE_PGM_RSRC2:USER_SGPR: 15
; COMPUTE_PGM_RSRC2:TRAP_HANDLER: 0
; COMPUTE_PGM_RSRC2:TGID_X_EN: 1
; COMPUTE_PGM_RSRC2:TGID_Y_EN: 0
; COMPUTE_PGM_RSRC2:TGID_Z_EN: 0
; COMPUTE_PGM_RSRC2:TIDIG_COMP_CNT: 0
	.section	.text._ZN2at4cuda12_GLOBAL__N_121kernelPointwiseApply2IZNS_6native9templates4cuda28bernoulli_tensor_cuda_kernelIN3c104HalfEfEEvRKNS_10TensorBaseESB_NS_15PhiloxCudaStateEEUliRS8_SD_SD_SD_RKfSF_SF_SF_E_S8_SE_jLi1ELin1ELi4ELi512ELi2EEEvNS0_6detail10TensorInfoIT0_T2_EENSI_IT1_SK_EESK_T_,"axG",@progbits,_ZN2at4cuda12_GLOBAL__N_121kernelPointwiseApply2IZNS_6native9templates4cuda28bernoulli_tensor_cuda_kernelIN3c104HalfEfEEvRKNS_10TensorBaseESB_NS_15PhiloxCudaStateEEUliRS8_SD_SD_SD_RKfSF_SF_SF_E_S8_SE_jLi1ELin1ELi4ELi512ELi2EEEvNS0_6detail10TensorInfoIT0_T2_EENSI_IT1_SK_EESK_T_,comdat
	.globl	_ZN2at4cuda12_GLOBAL__N_121kernelPointwiseApply2IZNS_6native9templates4cuda28bernoulli_tensor_cuda_kernelIN3c104HalfEfEEvRKNS_10TensorBaseESB_NS_15PhiloxCudaStateEEUliRS8_SD_SD_SD_RKfSF_SF_SF_E_S8_SE_jLi1ELin1ELi4ELi512ELi2EEEvNS0_6detail10TensorInfoIT0_T2_EENSI_IT1_SK_EESK_T_ ; -- Begin function _ZN2at4cuda12_GLOBAL__N_121kernelPointwiseApply2IZNS_6native9templates4cuda28bernoulli_tensor_cuda_kernelIN3c104HalfEfEEvRKNS_10TensorBaseESB_NS_15PhiloxCudaStateEEUliRS8_SD_SD_SD_RKfSF_SF_SF_E_S8_SE_jLi1ELin1ELi4ELi512ELi2EEEvNS0_6detail10TensorInfoIT0_T2_EENSI_IT1_SK_EESK_T_
	.p2align	8
	.type	_ZN2at4cuda12_GLOBAL__N_121kernelPointwiseApply2IZNS_6native9templates4cuda28bernoulli_tensor_cuda_kernelIN3c104HalfEfEEvRKNS_10TensorBaseESB_NS_15PhiloxCudaStateEEUliRS8_SD_SD_SD_RKfSF_SF_SF_E_S8_SE_jLi1ELin1ELi4ELi512ELi2EEEvNS0_6detail10TensorInfoIT0_T2_EENSI_IT1_SK_EESK_T_,@function
_ZN2at4cuda12_GLOBAL__N_121kernelPointwiseApply2IZNS_6native9templates4cuda28bernoulli_tensor_cuda_kernelIN3c104HalfEfEEvRKNS_10TensorBaseESB_NS_15PhiloxCudaStateEEUliRS8_SD_SD_SD_RKfSF_SF_SF_E_S8_SE_jLi1ELin1ELi4ELi512ELi2EEEvNS0_6detail10TensorInfoIT0_T2_EENSI_IT1_SK_EESK_T_: ; @_ZN2at4cuda12_GLOBAL__N_121kernelPointwiseApply2IZNS_6native9templates4cuda28bernoulli_tensor_cuda_kernelIN3c104HalfEfEEvRKNS_10TensorBaseESB_NS_15PhiloxCudaStateEEUliRS8_SD_SD_SD_RKfSF_SF_SF_E_S8_SE_jLi1ELin1ELi4ELi512ELi2EEEvNS0_6detail10TensorInfoIT0_T2_EENSI_IT1_SK_EESK_T_
; %bb.0:
	s_clause 0x1
	s_load_b32 s4, s[0:1], 0x1e4
	s_load_b32 s20, s[0:1], 0x1b0
	s_add_u32 s2, s0, 0x1d8
	s_addc_u32 s3, s1, 0
	s_waitcnt lgkmcnt(0)
	s_and_b32 s14, s4, 0xffff
	s_mov_b32 s4, exec_lo
	v_mad_u64_u32 v[1:2], null, s15, s14, v[0:1]
	s_delay_alu instid0(VALU_DEP_1) | instskip(NEXT) | instid1(VALU_DEP_1)
	v_lshlrev_b32_e32 v24, 2, v1
	v_cmpx_gt_u32_e64 s20, v24
	s_cbranch_execz .LBB90_73
; %bb.1:
	s_load_b32 s16, s[0:1], 0x1a8
	s_load_b32 s2, s[2:3], 0x0
	s_clause 0x6
	s_load_b32 s3, s[0:1], 0x1d0
	s_load_b128 s[4:7], s[0:1], 0x1b8
	s_load_b64 s[8:9], s[0:1], 0x1c8
	s_load_b64 s[10:11], s[0:1], 0x0
	s_load_b32 s21, s[0:1], 0x6c
	s_load_b32 s22, s[0:1], 0x144
	s_load_b64 s[12:13], s[0:1], 0xd8
	s_add_u32 s17, s0, 0xd8
	s_addc_u32 s18, s1, 0
	v_mad_u64_u32 v[2:3], null, 0xcd9e8d57, v1, 0
	s_mov_b32 s15, 0
	v_mov_b32_e32 v4, 0
                                        ; implicit-def: $sgpr27
                                        ; implicit-def: $sgpr29
                                        ; implicit-def: $sgpr28
                                        ; implicit-def: $sgpr30
                                        ; implicit-def: $sgpr33
                                        ; implicit-def: $sgpr31
                                        ; implicit-def: $sgpr34
	s_delay_alu instid0(VALU_DEP_2)
	v_mov_b32_e32 v25, v3
	s_waitcnt lgkmcnt(0)
	s_cmp_gt_i32 s16, 1
	s_mul_i32 s2, s2, s14
	s_cselect_b32 s23, -1, 0
	s_bitcmp1_b32 s3, 0
	s_cselect_b32 s24, -1, 0
	s_add_i32 s14, s16, -1
	s_lshl_b32 s25, s2, 2
	s_lshl_b64 s[0:1], s[14:15], 2
	s_add_i32 s26, s16, 1
	s_add_u32 s0, s0, s17
	s_addc_u32 s1, s1, s18
	s_add_u32 s16, s0, 8
	s_addc_u32 s17, s1, 0
                                        ; implicit-def: $sgpr14
	s_branch .LBB90_3
.LBB90_2:                               ;   in Loop: Header=BB90_3 Depth=1
	s_or_b32 exec_lo, exec_lo, s1
	s_delay_alu instid0(SALU_CYCLE_1) | instskip(NEXT) | instid1(SALU_CYCLE_1)
	s_and_b32 s0, exec_lo, s0
	s_or_b32 s15, s0, s15
	s_and_not1_b32 s0, s14, exec_lo
	s_and_b32 s1, s34, exec_lo
	s_and_not1_b32 s2, s28, exec_lo
	s_and_b32 s3, s31, exec_lo
	s_or_b32 s14, s0, s1
	s_or_b32 s28, s2, s3
	s_and_not1_b32 s0, s29, exec_lo
	s_and_b32 s1, s33, exec_lo
	s_and_not1_b32 s2, s27, exec_lo
	s_and_b32 s3, s30, exec_lo
	s_or_b32 s29, s0, s1
	s_or_b32 s27, s2, s3
	s_and_not1_b32 exec_lo, exec_lo, s15
	s_cbranch_execz .LBB90_61
.LBB90_3:                               ; =>This Loop Header: Depth=1
                                        ;     Child Loop BB90_6 Depth 2
                                        ;     Child Loop BB90_11 Depth 2
	;; [unrolled: 1-line block ×4, first 2 shown]
	v_sub_nc_u32_e32 v27, s20, v24
	v_mov_b32_e32 v3, 0
	s_delay_alu instid0(VALU_DEP_2) | instskip(NEXT) | instid1(VALU_DEP_1)
	v_cmp_lt_i32_e64 s0, 0, v27
	s_and_saveexec_b32 s1, s0
	s_cbranch_execz .LBB90_8
; %bb.4:                                ;   in Loop: Header=BB90_3 Depth=1
	v_dual_mov_b32 v0, 0 :: v_dual_mov_b32 v3, v24
	s_and_not1_b32 vcc_lo, exec_lo, s23
	s_cbranch_vccnz .LBB90_7
; %bb.5:                                ;   in Loop: Header=BB90_3 Depth=1
	v_dual_mov_b32 v0, 0 :: v_dual_mov_b32 v3, v24
	s_mov_b64 s[2:3], s[16:17]
	s_mov_b32 s18, s26
	s_set_inst_prefetch_distance 0x1
	.p2align	6
.LBB90_6:                               ;   Parent Loop BB90_3 Depth=1
                                        ; =>  This Inner Loop Header: Depth=2
	s_clause 0x1
	s_load_b32 s19, s[2:3], 0x0
	s_load_b32 s35, s[2:3], 0x64
	v_mov_b32_e32 v7, v3
	s_add_i32 s18, s18, -1
	s_waitcnt lgkmcnt(0)
	v_cvt_f32_u32_e32 v5, s19
	s_sub_i32 s36, 0, s19
	s_add_u32 s2, s2, -4
	s_addc_u32 s3, s3, -1
	s_cmp_gt_u32 s18, 2
	v_rcp_iflag_f32_e32 v5, v5
	s_waitcnt_depctr 0xfff
	v_mul_f32_e32 v5, 0x4f7ffffe, v5
	s_delay_alu instid0(VALU_DEP_1) | instskip(NEXT) | instid1(VALU_DEP_1)
	v_cvt_u32_f32_e32 v5, v5
	v_mul_lo_u32 v6, s36, v5
	s_delay_alu instid0(VALU_DEP_1) | instskip(NEXT) | instid1(VALU_DEP_1)
	v_mul_hi_u32 v6, v5, v6
	v_add_nc_u32_e32 v3, v5, v6
	s_delay_alu instid0(VALU_DEP_1) | instskip(NEXT) | instid1(VALU_DEP_1)
	v_mul_hi_u32 v3, v7, v3
	v_add_nc_u32_e32 v6, 1, v3
	v_mul_lo_u32 v5, v3, s19
	s_delay_alu instid0(VALU_DEP_1) | instskip(NEXT) | instid1(VALU_DEP_1)
	v_sub_nc_u32_e32 v5, v7, v5
	v_subrev_nc_u32_e32 v8, s19, v5
	v_cmp_le_u32_e32 vcc_lo, s19, v5
	v_cndmask_b32_e32 v3, v3, v6, vcc_lo
	s_delay_alu instid0(VALU_DEP_1) | instskip(NEXT) | instid1(VALU_DEP_1)
	v_dual_cndmask_b32 v5, v5, v8 :: v_dual_add_nc_u32 v6, 1, v3
	v_cmp_le_u32_e32 vcc_lo, s19, v5
	s_delay_alu instid0(VALU_DEP_2) | instskip(NEXT) | instid1(VALU_DEP_1)
	v_cndmask_b32_e32 v3, v3, v6, vcc_lo
	v_mul_lo_u32 v5, v3, s19
	s_delay_alu instid0(VALU_DEP_1) | instskip(NEXT) | instid1(VALU_DEP_1)
	v_sub_nc_u32_e32 v7, v7, v5
	v_mad_u64_u32 v[5:6], null, s35, v7, v[0:1]
	s_delay_alu instid0(VALU_DEP_1)
	v_mov_b32_e32 v0, v5
	s_cbranch_scc1 .LBB90_6
.LBB90_7:                               ;   in Loop: Header=BB90_3 Depth=1
	s_set_inst_prefetch_distance 0x2
	s_delay_alu instid0(VALU_DEP_1) | instskip(NEXT) | instid1(VALU_DEP_1)
	v_mad_u64_u32 v[5:6], null, s22, v3, v[0:1]
	v_mov_b32_e32 v3, v5
.LBB90_8:                               ;   in Loop: Header=BB90_3 Depth=1
	s_or_b32 exec_lo, exec_lo, s1
	v_mov_b32_e32 v5, 0
	v_mov_b32_e32 v6, 0
	v_cmp_lt_i32_e64 s1, 1, v27
	s_delay_alu instid0(VALU_DEP_1)
	s_and_saveexec_b32 s18, s1
	s_cbranch_execz .LBB90_13
; %bb.9:                                ;   in Loop: Header=BB90_3 Depth=1
	v_or_b32_e32 v7, 1, v24
	v_mov_b32_e32 v0, 0
	s_and_not1_b32 vcc_lo, exec_lo, s23
	s_cbranch_vccnz .LBB90_12
; %bb.10:                               ;   in Loop: Header=BB90_3 Depth=1
	v_mov_b32_e32 v0, 0
	s_mov_b64 s[2:3], s[16:17]
	s_mov_b32 s19, s26
	s_set_inst_prefetch_distance 0x1
	.p2align	6
.LBB90_11:                              ;   Parent Loop BB90_3 Depth=1
                                        ; =>  This Inner Loop Header: Depth=2
	s_clause 0x1
	s_load_b32 s35, s[2:3], 0x0
	s_load_b32 s36, s[2:3], 0x64
	s_add_i32 s19, s19, -1
	v_mov_b32_e32 v8, v7
	s_waitcnt lgkmcnt(0)
	v_cvt_f32_u32_e32 v5, s35
	s_sub_i32 s37, 0, s35
	s_add_u32 s2, s2, -4
	s_addc_u32 s3, s3, -1
	s_cmp_gt_u32 s19, 2
	v_rcp_iflag_f32_e32 v5, v5
	s_waitcnt_depctr 0xfff
	v_mul_f32_e32 v5, 0x4f7ffffe, v5
	s_delay_alu instid0(VALU_DEP_1) | instskip(NEXT) | instid1(VALU_DEP_1)
	v_cvt_u32_f32_e32 v5, v5
	v_mul_lo_u32 v6, s37, v5
	s_delay_alu instid0(VALU_DEP_1) | instskip(NEXT) | instid1(VALU_DEP_1)
	v_mul_hi_u32 v6, v5, v6
	v_add_nc_u32_e32 v5, v5, v6
	s_delay_alu instid0(VALU_DEP_1) | instskip(NEXT) | instid1(VALU_DEP_1)
	v_mul_hi_u32 v5, v8, v5
	v_mul_lo_u32 v6, v5, s35
	v_add_nc_u32_e32 v7, 1, v5
	s_delay_alu instid0(VALU_DEP_2) | instskip(NEXT) | instid1(VALU_DEP_1)
	v_sub_nc_u32_e32 v6, v8, v6
	v_subrev_nc_u32_e32 v9, s35, v6
	v_cmp_le_u32_e32 vcc_lo, s35, v6
	s_delay_alu instid0(VALU_DEP_2) | instskip(NEXT) | instid1(VALU_DEP_1)
	v_dual_cndmask_b32 v5, v5, v7 :: v_dual_cndmask_b32 v6, v6, v9
	v_add_nc_u32_e32 v7, 1, v5
	s_delay_alu instid0(VALU_DEP_2) | instskip(NEXT) | instid1(VALU_DEP_2)
	v_cmp_le_u32_e32 vcc_lo, s35, v6
	v_cndmask_b32_e32 v7, v5, v7, vcc_lo
	s_delay_alu instid0(VALU_DEP_1) | instskip(NEXT) | instid1(VALU_DEP_1)
	v_mul_lo_u32 v5, v7, s35
	v_sub_nc_u32_e32 v8, v8, v5
	s_delay_alu instid0(VALU_DEP_1) | instskip(NEXT) | instid1(VALU_DEP_1)
	v_mad_u64_u32 v[5:6], null, s36, v8, v[0:1]
	v_mov_b32_e32 v0, v5
	s_cbranch_scc1 .LBB90_11
.LBB90_12:                              ;   in Loop: Header=BB90_3 Depth=1
	s_set_inst_prefetch_distance 0x2
	s_delay_alu instid0(VALU_DEP_1)
	v_mad_u64_u32 v[5:6], null, s22, v7, v[0:1]
	v_mov_b32_e32 v6, v4
.LBB90_13:                              ;   in Loop: Header=BB90_3 Depth=1
	s_or_b32 exec_lo, exec_lo, s18
	v_mov_b32_e32 v9, 0
	v_mov_b32_e32 v10, 0
	v_cmp_lt_i32_e64 s2, 2, v27
	s_delay_alu instid0(VALU_DEP_1)
	s_and_saveexec_b32 s3, s2
	s_cbranch_execz .LBB90_18
; %bb.14:                               ;   in Loop: Header=BB90_3 Depth=1
	v_or_b32_e32 v7, 2, v24
	v_mov_b32_e32 v0, 0
	s_and_not1_b32 vcc_lo, exec_lo, s23
	s_cbranch_vccnz .LBB90_17
; %bb.15:                               ;   in Loop: Header=BB90_3 Depth=1
	v_mov_b32_e32 v0, 0
	s_mov_b64 s[18:19], s[16:17]
	s_mov_b32 s35, s26
	s_set_inst_prefetch_distance 0x1
	.p2align	6
.LBB90_16:                              ;   Parent Loop BB90_3 Depth=1
                                        ; =>  This Inner Loop Header: Depth=2
	s_clause 0x1
	s_load_b32 s36, s[18:19], 0x0
	s_load_b32 s37, s[18:19], 0x64
	s_add_i32 s35, s35, -1
	s_waitcnt lgkmcnt(0)
	v_cvt_f32_u32_e32 v8, s36
	s_sub_i32 s38, 0, s36
	s_add_u32 s18, s18, -4
	s_addc_u32 s19, s19, -1
	s_cmp_gt_u32 s35, 2
	v_rcp_iflag_f32_e32 v8, v8
	s_waitcnt_depctr 0xfff
	v_mul_f32_e32 v8, 0x4f7ffffe, v8
	s_delay_alu instid0(VALU_DEP_1) | instskip(NEXT) | instid1(VALU_DEP_1)
	v_cvt_u32_f32_e32 v8, v8
	v_mul_lo_u32 v9, s38, v8
	s_delay_alu instid0(VALU_DEP_1) | instskip(NEXT) | instid1(VALU_DEP_1)
	v_mul_hi_u32 v9, v8, v9
	v_dual_mov_b32 v10, v7 :: v_dual_add_nc_u32 v7, v8, v9
	s_delay_alu instid0(VALU_DEP_1) | instskip(NEXT) | instid1(VALU_DEP_1)
	v_mul_hi_u32 v7, v10, v7
	v_mul_lo_u32 v8, v7, s36
	v_add_nc_u32_e32 v9, 1, v7
	s_delay_alu instid0(VALU_DEP_2) | instskip(NEXT) | instid1(VALU_DEP_1)
	v_sub_nc_u32_e32 v8, v10, v8
	v_subrev_nc_u32_e32 v11, s36, v8
	v_cmp_le_u32_e32 vcc_lo, s36, v8
	s_delay_alu instid0(VALU_DEP_2) | instskip(NEXT) | instid1(VALU_DEP_1)
	v_dual_cndmask_b32 v7, v7, v9 :: v_dual_cndmask_b32 v8, v8, v11
	v_add_nc_u32_e32 v9, 1, v7
	s_delay_alu instid0(VALU_DEP_2) | instskip(NEXT) | instid1(VALU_DEP_2)
	v_cmp_le_u32_e32 vcc_lo, s36, v8
	v_cndmask_b32_e32 v7, v7, v9, vcc_lo
	s_delay_alu instid0(VALU_DEP_1) | instskip(NEXT) | instid1(VALU_DEP_1)
	v_mul_lo_u32 v8, v7, s36
	v_sub_nc_u32_e32 v10, v10, v8
	s_delay_alu instid0(VALU_DEP_1) | instskip(NEXT) | instid1(VALU_DEP_1)
	v_mad_u64_u32 v[8:9], null, s37, v10, v[0:1]
	v_mov_b32_e32 v0, v8
	s_cbranch_scc1 .LBB90_16
.LBB90_17:                              ;   in Loop: Header=BB90_3 Depth=1
	s_set_inst_prefetch_distance 0x2
	s_delay_alu instid0(VALU_DEP_1)
	v_mad_u64_u32 v[9:10], null, s22, v7, v[0:1]
	v_mov_b32_e32 v10, v4
.LBB90_18:                              ;   in Loop: Header=BB90_3 Depth=1
	s_or_b32 exec_lo, exec_lo, s3
	v_mul_lo_u32 v26, v24, s21
	v_mov_b32_e32 v11, 0
	s_mov_b32 s3, exec_lo
	s_delay_alu instid0(VALU_DEP_2) | instskip(NEXT) | instid1(VALU_DEP_1)
	v_add_nc_u32_e32 v28, s21, v26
	v_dual_mov_b32 v12, 0 :: v_dual_add_nc_u32 v29, s21, v28
	s_delay_alu instid0(VALU_DEP_1)
	v_dual_mov_b32 v7, v11 :: v_dual_mov_b32 v8, v12
	v_cmpx_lt_i32_e32 3, v27
	s_cbranch_execz .LBB90_23
; %bb.19:                               ;   in Loop: Header=BB90_3 Depth=1
	v_or_b32_e32 v7, 3, v24
	v_mov_b32_e32 v0, 0
	s_and_not1_b32 vcc_lo, exec_lo, s23
	s_cbranch_vccnz .LBB90_22
; %bb.20:                               ;   in Loop: Header=BB90_3 Depth=1
	v_mov_b32_e32 v0, 0
	s_mov_b64 s[18:19], s[16:17]
	s_mov_b32 s35, s26
	s_set_inst_prefetch_distance 0x1
	.p2align	6
.LBB90_21:                              ;   Parent Loop BB90_3 Depth=1
                                        ; =>  This Inner Loop Header: Depth=2
	s_clause 0x1
	s_load_b32 s36, s[18:19], 0x0
	s_load_b32 s37, s[18:19], 0x64
	s_add_i32 s35, s35, -1
	s_waitcnt lgkmcnt(0)
	v_cvt_f32_u32_e32 v8, s36
	s_sub_i32 s38, 0, s36
	s_add_u32 s18, s18, -4
	s_addc_u32 s19, s19, -1
	s_cmp_gt_u32 s35, 2
	v_rcp_iflag_f32_e32 v8, v8
	s_waitcnt_depctr 0xfff
	v_mul_f32_e32 v8, 0x4f7ffffe, v8
	s_delay_alu instid0(VALU_DEP_1) | instskip(NEXT) | instid1(VALU_DEP_1)
	v_cvt_u32_f32_e32 v8, v8
	v_mul_lo_u32 v11, s38, v8
	s_delay_alu instid0(VALU_DEP_1) | instskip(NEXT) | instid1(VALU_DEP_1)
	v_mul_hi_u32 v11, v8, v11
	v_dual_mov_b32 v12, v7 :: v_dual_add_nc_u32 v7, v8, v11
	s_delay_alu instid0(VALU_DEP_1) | instskip(NEXT) | instid1(VALU_DEP_1)
	v_mul_hi_u32 v7, v12, v7
	v_mul_lo_u32 v8, v7, s36
	v_add_nc_u32_e32 v11, 1, v7
	s_delay_alu instid0(VALU_DEP_2) | instskip(NEXT) | instid1(VALU_DEP_1)
	v_sub_nc_u32_e32 v8, v12, v8
	v_subrev_nc_u32_e32 v13, s36, v8
	v_cmp_le_u32_e32 vcc_lo, s36, v8
	s_delay_alu instid0(VALU_DEP_2) | instskip(NEXT) | instid1(VALU_DEP_1)
	v_dual_cndmask_b32 v7, v7, v11 :: v_dual_cndmask_b32 v8, v8, v13
	v_add_nc_u32_e32 v11, 1, v7
	s_delay_alu instid0(VALU_DEP_2) | instskip(NEXT) | instid1(VALU_DEP_2)
	v_cmp_le_u32_e32 vcc_lo, s36, v8
	v_cndmask_b32_e32 v7, v7, v11, vcc_lo
	s_delay_alu instid0(VALU_DEP_1) | instskip(NEXT) | instid1(VALU_DEP_1)
	v_mul_lo_u32 v8, v7, s36
	v_sub_nc_u32_e32 v8, v12, v8
	s_delay_alu instid0(VALU_DEP_1) | instskip(NEXT) | instid1(VALU_DEP_1)
	v_mad_u64_u32 v[11:12], null, s37, v8, v[0:1]
	v_mov_b32_e32 v0, v11
	s_cbranch_scc1 .LBB90_21
.LBB90_22:                              ;   in Loop: Header=BB90_3 Depth=1
	s_set_inst_prefetch_distance 0x2
	s_delay_alu instid0(VALU_DEP_1)
	v_mad_u64_u32 v[11:12], null, s22, v7, v[0:1]
	v_dual_mov_b32 v8, v4 :: v_dual_add_nc_u32 v7, s21, v29
	v_mov_b32_e32 v12, v4
.LBB90_23:                              ;   in Loop: Header=BB90_3 Depth=1
	s_or_b32 exec_lo, exec_lo, s3
	v_lshlrev_b64 v[13:14], 2, v[3:4]
	v_lshlrev_b64 v[5:6], 2, v[5:6]
	;; [unrolled: 1-line block ×4, first 2 shown]
	s_delay_alu instid0(VALU_DEP_4)
	v_add_co_u32 v13, vcc_lo, s12, v13
	v_add_co_ci_u32_e32 v14, vcc_lo, s13, v14, vcc_lo
	v_add_co_u32 v5, vcc_lo, s12, v5
	v_add_co_ci_u32_e32 v6, vcc_lo, s13, v6, vcc_lo
	;; [unrolled: 2-line block ×4, first 2 shown]
	s_clause 0x3
	global_load_b32 v0, v[13:14], off
	global_load_b32 v30, v[5:6], off
	;; [unrolled: 1-line block ×4, first 2 shown]
	v_dual_mov_b32 v12, s7 :: v_dual_mov_b32 v11, s6
	v_dual_mov_b32 v14, s5 :: v_dual_mov_b32 v13, s4
	s_and_not1_b32 vcc_lo, exec_lo, s24
	s_cbranch_vccnz .LBB90_25
; %bb.24:                               ;   in Loop: Header=BB90_3 Depth=1
	v_dual_mov_b32 v5, s6 :: v_dual_mov_b32 v6, s7
	v_dual_mov_b32 v10, s5 :: v_dual_mov_b32 v9, s4
	flat_load_b64 v[5:6], v[5:6]
	flat_load_b64 v[13:14], v[9:10]
	s_waitcnt vmcnt(1) lgkmcnt(1)
	v_add_co_u32 v11, vcc_lo, v5, s8
	v_add_co_ci_u32_e32 v12, vcc_lo, s9, v6, vcc_lo
.LBB90_25:                              ;   in Loop: Header=BB90_3 Depth=1
	s_delay_alu instid0(VALU_DEP_1)
	v_alignbit_b32 v15, v12, v11, 2
	v_lshrrev_b32_e32 v9, 2, v12
	s_waitcnt vmcnt(0) lgkmcnt(0)
	v_add_nc_u32_e32 v32, 0x9e3779b9, v13
	v_add_nc_u32_e32 v34, 0x3c6ef372, v13
	;; [unrolled: 1-line block ×3, first 2 shown]
	v_add_co_u32 v10, vcc_lo, v15, 1
	s_delay_alu instid0(VALU_DEP_1) | instskip(SKIP_4) | instid1(VALU_DEP_4)
	v_cndmask_b32_e64 v5, 0, 1, vcc_lo
	v_add_co_ci_u32_e32 v12, vcc_lo, 0, v9, vcc_lo
	v_xor3_b32 v17, v25, v13, v9
	v_add_nc_u32_e32 v36, 0x32370b8f, v14
	v_add_nc_u32_e32 v37, 0xed9eba14, v14
	v_cmp_eq_u32_e32 vcc_lo, 0, v12
	v_add_nc_u32_e32 v38, 0x1fd5c5a3, v14
	s_mov_b32 s3, exec_lo
	v_dual_cndmask_b32 v16, 0, v5 :: v_dual_add_nc_u32 v33, 0xbb67ae85, v14
	v_mad_u64_u32 v[5:6], null, 0xd2511f53, v10, 0
	v_mad_u64_u32 v[9:10], null, 0xd2511f53, v15, 0
	s_delay_alu instid0(VALU_DEP_3) | instskip(NEXT) | instid1(VALU_DEP_3)
	v_add_nc_u32_e32 v19, v16, v1
	v_xor_b32_e32 v6, v6, v14
	s_delay_alu instid0(VALU_DEP_2) | instskip(SKIP_1) | instid1(VALU_DEP_1)
	v_cmp_eq_u32_e32 vcc_lo, 0, v19
	v_cndmask_b32_e32 v16, 0, v16, vcc_lo
	v_xor_b32_e32 v6, v16, v6
	v_mad_u64_u32 v[15:16], null, 0xd2511f53, v17, 0
	v_mad_u64_u32 v[17:18], null, 0xcd9e8d57, v19, 0
	s_delay_alu instid0(VALU_DEP_3) | instskip(SKIP_1) | instid1(VALU_DEP_4)
	v_mad_u64_u32 v[19:20], null, 0xcd9e8d57, v6, 0
	v_xor_b32_e32 v6, v10, v14
	v_xor3_b32 v21, v33, v16, v9
	s_delay_alu instid0(VALU_DEP_2) | instskip(SKIP_2) | instid1(VALU_DEP_4)
	v_mad_u64_u32 v[9:10], null, 0xcd9e8d57, v6, 0
	v_xor3_b32 v6, v18, v13, v12
	v_xor3_b32 v12, v32, v20, v17
	v_mad_u64_u32 v[16:17], null, 0xcd9e8d57, v21, 0
	s_delay_alu instid0(VALU_DEP_3) | instskip(NEXT) | instid1(VALU_DEP_3)
	v_mad_u64_u32 v[20:21], null, 0xd2511f53, v6, 0
	v_mad_u64_u32 v[22:23], null, 0xd2511f53, v12, 0
	v_xor3_b32 v6, v2, v10, v32
	s_delay_alu instid0(VALU_DEP_4) | instskip(SKIP_2) | instid1(VALU_DEP_4)
	v_xor3_b32 v17, v34, v17, v9
	v_add_nc_u32_e32 v12, 0xdaa66d2b, v13
	v_xor3_b32 v21, v33, v21, v5
	v_mad_u64_u32 v[9:10], null, 0xd2511f53, v6, 0
	v_xor3_b32 v23, v35, v23, v20
	v_mad_u64_u32 v[5:6], null, 0xd2511f53, v17, 0
	s_delay_alu instid0(VALU_DEP_4) | instskip(NEXT) | instid1(VALU_DEP_3)
	v_mad_u64_u32 v[17:18], null, 0xcd9e8d57, v21, 0
	v_mad_u64_u32 v[20:21], null, 0xcd9e8d57, v23, 0
	v_xor3_b32 v15, v35, v10, v15
	v_add_nc_u32_e32 v23, 0x78dde6e4, v13
	v_xor3_b32 v6, v36, v6, v9
	s_delay_alu instid0(VALU_DEP_3) | instskip(SKIP_2) | instid1(VALU_DEP_4)
	v_mad_u64_u32 v[9:10], null, 0xcd9e8d57, v15, 0
	v_xor3_b32 v15, v34, v18, v19
	v_xor3_b32 v19, v12, v21, v17
	v_mad_u64_u32 v[17:18], null, 0xcd9e8d57, v6, 0
	s_delay_alu instid0(VALU_DEP_3) | instskip(NEXT) | instid1(VALU_DEP_3)
	v_mad_u64_u32 v[32:33], null, 0xd2511f53, v15, 0
	v_mad_u64_u32 v[34:35], null, 0xd2511f53, v19, 0
	v_xor3_b32 v6, v12, v10, v16
	s_delay_alu instid0(VALU_DEP_4) | instskip(SKIP_2) | instid1(VALU_DEP_4)
	v_xor3_b32 v15, v23, v18, v9
	v_add_nc_u32_e32 v12, 0x1715609d, v13
	v_add_nc_u32_e32 v19, 0xa9066899, v14
	v_mad_u64_u32 v[9:10], null, 0xd2511f53, v6, 0
	v_xor3_b32 v6, v36, v33, v22
	v_xor3_b32 v18, v37, v35, v32
	v_mad_u64_u32 v[21:22], null, 0xd2511f53, v15, 0
	v_add_nc_u32_e32 v33, 0xb54cda56, v13
	s_delay_alu instid0(VALU_DEP_4) | instskip(NEXT) | instid1(VALU_DEP_4)
	v_mad_u64_u32 v[15:16], null, 0xcd9e8d57, v6, 0
	v_mad_u64_u32 v[35:36], null, 0xcd9e8d57, v18, 0
	v_xor3_b32 v10, v37, v10, v5
	v_xor3_b32 v18, v19, v22, v9
	v_add_nc_u32_e32 v32, 0x646e171e, v14
	v_xor3_b32 v20, v23, v16, v20
	s_delay_alu instid0(VALU_DEP_4) | instskip(SKIP_2) | instid1(VALU_DEP_4)
	v_mad_u64_u32 v[5:6], null, 0xcd9e8d57, v10, 0
	v_xor3_b32 v22, v12, v36, v15
	v_mad_u64_u32 v[9:10], null, 0xcd9e8d57, v18, 0
	v_mad_u64_u32 v[15:16], null, 0xd2511f53, v20, 0
	s_delay_alu instid0(VALU_DEP_3) | instskip(SKIP_3) | instid1(VALU_DEP_3)
	v_mad_u64_u32 v[36:37], null, 0xd2511f53, v22, 0
	v_xor3_b32 v12, v12, v6, v17
	v_add_nc_u32_e32 v20, 0x5384540f, v13
	v_xor3_b32 v10, v33, v10, v5
	v_mad_u64_u32 v[5:6], null, 0xd2511f53, v12, 0
	v_xor3_b32 v12, v19, v16, v34
	v_xor3_b32 v17, v32, v37, v15
	s_delay_alu instid0(VALU_DEP_4) | instskip(NEXT) | instid1(VALU_DEP_3)
	v_mad_u64_u32 v[15:16], null, 0xd2511f53, v10, 0
	v_mad_u64_u32 v[22:23], null, 0xcd9e8d57, v12, 0
	s_delay_alu instid0(VALU_DEP_3) | instskip(SKIP_1) | instid1(VALU_DEP_4)
	v_mad_u64_u32 v[18:19], null, 0xcd9e8d57, v17, 0
	v_xor3_b32 v10, v32, v6, v21
	v_xor3_b32 v12, v38, v16, v5
	v_add_co_u32 v32, null, 0xf1bbcdc8, v13
	s_delay_alu instid0(VALU_DEP_3) | instskip(SKIP_4) | instid1(VALU_DEP_4)
	v_mad_u64_u32 v[5:6], null, 0xcd9e8d57, v10, 0
	v_xor3_b32 v10, v33, v23, v35
	v_xor3_b32 v19, v20, v19, v22
	v_mad_u64_u32 v[16:17], null, 0xcd9e8d57, v12, 0
	v_add_nc_u32_e32 v33, 0xdb3d7428, v14
	v_mad_u64_u32 v[34:35], null, 0xd2511f53, v10, 0
	s_delay_alu instid0(VALU_DEP_4) | instskip(SKIP_4) | instid1(VALU_DEP_4)
	v_mad_u64_u32 v[21:22], null, 0xd2511f53, v19, 0
	v_xor3_b32 v6, v20, v6, v9
	v_xor3_b32 v9, v32, v17, v5
	v_add_nc_u32_e32 v17, 0x8ff34781, v13
	v_xor3_b32 v10, v38, v35, v36
	v_mad_u64_u32 v[19:20], null, 0xd2511f53, v6, 0
	v_xor3_b32 v12, v33, v22, v34
	v_mad_u64_u32 v[5:6], null, 0xd2511f53, v9, 0
	s_delay_alu instid0(VALU_DEP_4) | instskip(NEXT) | instid1(VALU_DEP_3)
	v_mad_u64_u32 v[22:23], null, 0xcd9e8d57, v10, 0
	v_mad_u64_u32 v[9:10], null, 0xcd9e8d57, v12, 0
	v_add_nc_u32_e32 v34, 0x96a522ad, v14
	v_and_b32_e32 v14, 3, v11
                                        ; implicit-def: $vgpr12
	s_delay_alu instid0(VALU_DEP_2) | instskip(NEXT) | instid1(VALU_DEP_4)
	v_xor3_b32 v13, v6, v19, v34
	v_xor3_b32 v6, v10, v22, v17
	s_delay_alu instid0(VALU_DEP_3)
	v_cmpx_lt_i32_e32 1, v14
	s_xor_b32 s3, exec_lo, s3
	s_cbranch_execz .LBB90_31
; %bb.26:                               ;   in Loop: Header=BB90_3 Depth=1
	s_mov_b32 s18, exec_lo
                                        ; implicit-def: $vgpr12
	v_cmpx_lt_i32_e32 2, v14
	s_xor_b32 s18, exec_lo, s18
; %bb.27:                               ;   in Loop: Header=BB90_3 Depth=1
	v_xor3_b32 v10, v32, v23, v18
                                        ; implicit-def: $vgpr13
	s_delay_alu instid0(VALU_DEP_1) | instskip(NEXT) | instid1(VALU_DEP_1)
	v_mul_hi_u32 v10, 0xd2511f53, v10
	v_xor3_b32 v12, v10, v21, v34
; %bb.28:                               ;   in Loop: Header=BB90_3 Depth=1
	s_and_not1_saveexec_b32 s18, s18
; %bb.29:                               ;   in Loop: Header=BB90_3 Depth=1
	v_dual_mov_b32 v12, v9 :: v_dual_mov_b32 v9, v6
	v_mov_b32_e32 v6, v5
	v_mov_b32_e32 v5, v13
; %bb.30:                               ;   in Loop: Header=BB90_3 Depth=1
	s_or_b32 exec_lo, exec_lo, s18
                                        ; implicit-def: $vgpr15_vgpr16
                                        ; implicit-def: $vgpr14
                                        ; implicit-def: $vgpr13
                                        ; implicit-def: $vgpr33
                                        ; implicit-def: $vgpr19_vgpr20
                                        ; implicit-def: $vgpr16_vgpr17
                                        ; implicit-def: $vgpr17
.LBB90_31:                              ;   in Loop: Header=BB90_3 Depth=1
	s_and_not1_saveexec_b32 s3, s3
	s_cbranch_execz .LBB90_35
; %bb.32:                               ;   in Loop: Header=BB90_3 Depth=1
	v_xor3_b32 v9, v33, v20, v15
	v_cmp_eq_u32_e32 vcc_lo, 1, v14
	s_delay_alu instid0(VALU_DEP_2) | instskip(SKIP_2) | instid1(VALU_DEP_3)
	v_mad_u64_u32 v[10:11], null, 0xcd9e8d57, v9, 0
	v_mov_b32_e32 v12, v5
	v_mov_b32_e32 v9, v13
	v_xor3_b32 v14, v11, v16, v17
	s_delay_alu instid0(VALU_DEP_4)
	v_mov_b32_e32 v11, v10
	s_and_saveexec_b32 s18, vcc_lo
; %bb.33:                               ;   in Loop: Header=BB90_3 Depth=1
	v_dual_mov_b32 v12, v6 :: v_dual_mov_b32 v9, v5
	v_dual_mov_b32 v11, v13 :: v_dual_mov_b32 v14, v10
; %bb.34:                               ;   in Loop: Header=BB90_3 Depth=1
	s_or_b32 exec_lo, exec_lo, s18
	s_delay_alu instid0(VALU_DEP_1)
	v_dual_mov_b32 v5, v14 :: v_dual_mov_b32 v6, v11
.LBB90_35:                              ;   in Loop: Header=BB90_3 Depth=1
	s_or_b32 exec_lo, exec_lo, s3
	v_min_i32_e32 v10, 4, v27
	s_mov_b32 s18, 0
	s_mov_b32 s38, 0
	;; [unrolled: 1-line block ×3, first 2 shown]
	s_mov_b32 s37, exec_lo
                                        ; implicit-def: $sgpr19
                                        ; implicit-def: $sgpr35
                                        ; implicit-def: $sgpr36
	v_cmpx_lt_i32_e32 2, v10
	s_xor_b32 s37, exec_lo, s37
	s_cbranch_execz .LBB90_47
; %bb.36:                               ;   in Loop: Header=BB90_3 Depth=1
	s_mov_b32 s3, -1
	s_mov_b32 s40, 0
	s_mov_b32 s35, exec_lo
                                        ; implicit-def: $sgpr19
                                        ; implicit-def: $sgpr39
	v_cmpx_lt_i32_e32 3, v10
	s_cbranch_execz .LBB90_42
; %bb.37:                               ;   in Loop: Header=BB90_3 Depth=1
	s_mov_b32 s3, 0
	s_mov_b32 s40, -1
	s_mov_b32 s36, exec_lo
                                        ; implicit-def: $sgpr19
                                        ; implicit-def: $sgpr39
	v_cmpx_eq_u32_e32 4, v10
	s_cbranch_execz .LBB90_41
; %bb.38:                               ;   in Loop: Header=BB90_3 Depth=1
	v_cmp_le_f32_e32 vcc_lo, 0, v3
	v_cmp_ge_f32_e64 s3, 1.0, v3
	s_mov_b32 s19, 0
	s_delay_alu instid0(VALU_DEP_1)
	s_and_b32 s40, vcc_lo, s3
	s_mov_b32 s3, 0
	s_and_saveexec_b32 s39, s40
	s_cbranch_execz .LBB90_40
; %bb.39:                               ;   in Loop: Header=BB90_3 Depth=1
	v_cvt_f32_u32_e32 v11, v12
	v_lshlrev_b64 v[7:8], 1, v[7:8]
	s_mov_b32 s3, exec_lo
	s_delay_alu instid0(VALU_DEP_2) | instskip(NEXT) | instid1(VALU_DEP_2)
	v_fmaak_f32 v11, 0x2f800000, v11, 0x2f800000
	v_add_co_u32 v7, vcc_lo, s10, v7
	s_delay_alu instid0(VALU_DEP_3) | instskip(NEXT) | instid1(VALU_DEP_3)
	v_add_co_ci_u32_e32 v8, vcc_lo, s11, v8, vcc_lo
	v_cmp_le_f32_e32 vcc_lo, v11, v3
	v_cndmask_b32_e64 v3, 0, 0x3c00, vcc_lo
	global_store_b16 v[7:8], v3, off
.LBB90_40:                              ;   in Loop: Header=BB90_3 Depth=1
	s_or_b32 exec_lo, exec_lo, s39
	s_mov_b32 s39, -1
	s_xor_b32 s40, exec_lo, -1
	s_and_b32 s3, s3, exec_lo
.LBB90_41:                              ;   in Loop: Header=BB90_3 Depth=1
	s_or_b32 exec_lo, exec_lo, s36
	s_delay_alu instid0(SALU_CYCLE_1)
	s_and_b32 s40, s40, exec_lo
	s_or_not1_b32 s3, s3, exec_lo
.LBB90_42:                              ;   in Loop: Header=BB90_3 Depth=1
	s_or_b32 exec_lo, exec_lo, s35
	s_mov_b32 s36, s19
	s_and_saveexec_b32 s35, s3
	s_cbranch_execz .LBB90_46
; %bb.43:                               ;   in Loop: Header=BB90_3 Depth=1
	v_cmp_le_f32_e32 vcc_lo, 0, v31
	v_cmp_ge_f32_e64 s3, 1.0, v31
	s_delay_alu instid0(VALU_DEP_1) | instskip(SKIP_2) | instid1(SALU_CYCLE_1)
	s_and_b32 s36, vcc_lo, s3
	s_mov_b32 s3, 0
	s_and_saveexec_b32 s38, s36
	s_xor_b32 s36, exec_lo, s38
	s_cbranch_execz .LBB90_45
; %bb.44:                               ;   in Loop: Header=BB90_3 Depth=1
	v_cndmask_b32_e64 v3, 0, v29, s2
	v_cvt_f32_u32_e32 v9, v9
	s_mov_b32 s3, exec_lo
	s_delay_alu instid0(VALU_DEP_2) | instskip(NEXT) | instid1(VALU_DEP_2)
	v_lshlrev_b64 v[7:8], 1, v[3:4]
	v_fmaak_f32 v3, 0x2f800000, v9, 0x2f800000
	s_delay_alu instid0(VALU_DEP_2) | instskip(NEXT) | instid1(VALU_DEP_3)
	v_add_co_u32 v7, vcc_lo, s10, v7
	v_add_co_ci_u32_e32 v8, vcc_lo, s11, v8, vcc_lo
	s_delay_alu instid0(VALU_DEP_3)
	v_cmp_le_f32_e32 vcc_lo, v3, v31
	v_cndmask_b32_e64 v3, 0, 0x3c00, vcc_lo
	global_store_b16 v[7:8], v3, off
.LBB90_45:                              ;   in Loop: Header=BB90_3 Depth=1
	s_or_b32 exec_lo, exec_lo, s36
	s_delay_alu instid0(SALU_CYCLE_1)
	s_and_not1_b32 s36, s19, exec_lo
	s_or_b32 s19, s19, exec_lo
	s_and_not1_b32 s39, s39, exec_lo
	s_and_b32 s38, s3, exec_lo
.LBB90_46:                              ;   in Loop: Header=BB90_3 Depth=1
	s_or_b32 exec_lo, exec_lo, s35
	s_delay_alu instid0(SALU_CYCLE_1)
	s_and_b32 s36, s36, exec_lo
	s_and_b32 s35, s19, exec_lo
	;; [unrolled: 1-line block ×5, first 2 shown]
.LBB90_47:                              ;   in Loop: Header=BB90_3 Depth=1
	s_and_not1_saveexec_b32 s2, s37
; %bb.48:                               ;   in Loop: Header=BB90_3 Depth=1
	v_cmp_lt_i32_e32 vcc_lo, 1, v10
	s_and_not1_b32 s37, s38, exec_lo
	s_mov_b32 s18, exec_lo
	s_and_not1_b32 s36, s36, exec_lo
	s_and_not1_b32 s35, s35, exec_lo
	s_and_b32 s38, vcc_lo, exec_lo
	s_and_not1_b32 s19, s19, exec_lo
	s_or_b32 s38, s37, s38
; %bb.49:                               ;   in Loop: Header=BB90_3 Depth=1
	s_or_b32 exec_lo, exec_lo, s2
	s_mov_b32 s37, 0
	s_mov_b32 s2, s36
	s_and_saveexec_b32 s39, s38
	s_cbranch_execnz .LBB90_52
; %bb.50:                               ;   in Loop: Header=BB90_3 Depth=1
	s_or_b32 exec_lo, exec_lo, s39
	s_and_saveexec_b32 s1, s18
	s_cbranch_execnz .LBB90_55
.LBB90_51:                              ;   in Loop: Header=BB90_3 Depth=1
	s_or_b32 exec_lo, exec_lo, s1
	s_and_saveexec_b32 s18, s37
	s_cbranch_execnz .LBB90_56
	s_branch .LBB90_59
.LBB90_52:                              ;   in Loop: Header=BB90_3 Depth=1
	v_cmp_le_f32_e32 vcc_lo, 0, v30
	v_cmp_ge_f32_e64 s2, 1.0, v30
	s_delay_alu instid0(VALU_DEP_1) | instskip(NEXT) | instid1(SALU_CYCLE_1)
	s_and_b32 s2, vcc_lo, s2
	s_and_saveexec_b32 s38, s2
	s_delay_alu instid0(SALU_CYCLE_1)
	s_xor_b32 s2, exec_lo, s38
	s_cbranch_execz .LBB90_54
; %bb.53:                               ;   in Loop: Header=BB90_3 Depth=1
	v_cndmask_b32_e64 v3, 0, v28, s1
	v_cvt_f32_u32_e32 v8, v6
	s_mov_b32 s37, exec_lo
	s_delay_alu instid0(VALU_DEP_2) | instskip(NEXT) | instid1(VALU_DEP_2)
	v_lshlrev_b64 v[6:7], 1, v[3:4]
	v_fmaak_f32 v3, 0x2f800000, v8, 0x2f800000
	s_delay_alu instid0(VALU_DEP_2) | instskip(NEXT) | instid1(VALU_DEP_3)
	v_add_co_u32 v6, vcc_lo, s10, v6
	v_add_co_ci_u32_e32 v7, vcc_lo, s11, v7, vcc_lo
	s_delay_alu instid0(VALU_DEP_3)
	v_cmp_le_f32_e32 vcc_lo, v3, v30
	v_cndmask_b32_e64 v3, 0, 0x3c00, vcc_lo
	global_store_b16 v[6:7], v3, off
.LBB90_54:                              ;   in Loop: Header=BB90_3 Depth=1
	s_or_b32 exec_lo, exec_lo, s2
	s_delay_alu instid0(SALU_CYCLE_1)
	s_and_not1_b32 s2, s36, exec_lo
	s_or_b32 s36, s36, exec_lo
	s_and_not1_b32 s35, s35, exec_lo
	s_and_not1_b32 s19, s19, exec_lo
	s_and_b32 s37, s37, exec_lo
	s_and_not1_b32 s18, s18, exec_lo
	s_or_b32 exec_lo, exec_lo, s39
	s_and_saveexec_b32 s1, s18
	s_cbranch_execz .LBB90_51
.LBB90_55:                              ;   in Loop: Header=BB90_3 Depth=1
	v_cmp_eq_u32_e32 vcc_lo, 1, v10
	s_and_not1_b32 s18, s37, exec_lo
	s_and_not1_b32 s2, s2, exec_lo
	;; [unrolled: 1-line block ×4, first 2 shown]
	s_and_b32 s37, vcc_lo, exec_lo
	s_and_not1_b32 s19, s19, exec_lo
	s_or_b32 s3, s3, exec_lo
	s_or_b32 s37, s18, s37
	s_or_b32 exec_lo, exec_lo, s1
	s_and_saveexec_b32 s18, s37
	s_cbranch_execz .LBB90_59
.LBB90_56:                              ;   in Loop: Header=BB90_3 Depth=1
	v_cmp_le_f32_e32 vcc_lo, 0, v0
	v_cmp_ge_f32_e64 s1, 1.0, v0
	s_delay_alu instid0(VALU_DEP_1)
	s_and_b32 s38, vcc_lo, s1
	s_mov_b32 s1, 0
	s_and_saveexec_b32 s37, s38
	s_cbranch_execz .LBB90_58
; %bb.57:                               ;   in Loop: Header=BB90_3 Depth=1
	v_cndmask_b32_e64 v3, 0, v26, s0
	v_cvt_f32_u32_e32 v7, v5
	s_mov_b32 s1, exec_lo
	s_delay_alu instid0(VALU_DEP_2) | instskip(NEXT) | instid1(VALU_DEP_2)
	v_lshlrev_b64 v[5:6], 1, v[3:4]
	v_fmaak_f32 v3, 0x2f800000, v7, 0x2f800000
	s_delay_alu instid0(VALU_DEP_2) | instskip(NEXT) | instid1(VALU_DEP_3)
	v_add_co_u32 v5, vcc_lo, s10, v5
	v_add_co_ci_u32_e32 v6, vcc_lo, s11, v6, vcc_lo
	s_delay_alu instid0(VALU_DEP_3)
	v_cmp_le_f32_e32 vcc_lo, v3, v0
	v_cndmask_b32_e64 v0, 0, 0x3c00, vcc_lo
	global_store_b16 v[5:6], v0, off
.LBB90_58:                              ;   in Loop: Header=BB90_3 Depth=1
	s_or_b32 exec_lo, exec_lo, s37
	s_delay_alu instid0(SALU_CYCLE_1)
	s_and_not1_b32 s0, s3, exec_lo
	s_and_b32 s1, s1, exec_lo
	s_or_b32 s2, s2, exec_lo
	s_and_not1_b32 s36, s36, exec_lo
	s_and_not1_b32 s35, s35, exec_lo
	;; [unrolled: 1-line block ×3, first 2 shown]
	s_or_b32 s3, s0, s1
.LBB90_59:                              ;   in Loop: Header=BB90_3 Depth=1
	s_or_b32 exec_lo, exec_lo, s18
	s_delay_alu instid0(SALU_CYCLE_1)
	s_and_not1_b32 s1, s34, exec_lo
	s_and_b32 s2, s2, exec_lo
	s_and_not1_b32 s18, s31, exec_lo
	s_and_b32 s31, s36, exec_lo
	s_or_b32 s34, s1, s2
	s_or_b32 s31, s18, s31
	s_and_not1_b32 s1, s33, exec_lo
	s_and_b32 s2, s35, exec_lo
	s_and_not1_b32 s18, s30, exec_lo
	s_and_b32 s19, s19, exec_lo
	s_mov_b32 s0, -1
	s_or_b32 s33, s1, s2
	s_or_b32 s30, s18, s19
	s_and_saveexec_b32 s1, s3
	s_cbranch_execz .LBB90_2
; %bb.60:                               ;   in Loop: Header=BB90_3 Depth=1
	v_add_nc_u32_e32 v24, s25, v24
	s_and_not1_b32 s34, s34, exec_lo
	s_and_not1_b32 s31, s31, exec_lo
	;; [unrolled: 1-line block ×4, first 2 shown]
	v_cmp_le_u32_e32 vcc_lo, s20, v24
	s_or_not1_b32 s0, vcc_lo, exec_lo
	s_branch .LBB90_2
.LBB90_61:
	s_or_b32 exec_lo, exec_lo, s15
	s_xor_b32 s3, s28, -1
	s_xor_b32 s4, s29, -1
	;; [unrolled: 1-line block ×3, first 2 shown]
	s_mov_b32 s1, 0
	s_and_saveexec_b32 s2, s0
	s_delay_alu instid0(SALU_CYCLE_1)
	s_xor_b32 s0, exec_lo, s2
	s_cbranch_execz .LBB90_70
; %bb.62:
	s_mov_b32 s2, 0
	s_and_saveexec_b32 s1, s4
	s_delay_alu instid0(SALU_CYCLE_1)
	s_xor_b32 s1, exec_lo, s1
	s_cbranch_execz .LBB90_68
; %bb.63:
	s_and_saveexec_b32 s4, s3
	s_delay_alu instid0(SALU_CYCLE_1)
	s_xor_b32 s3, exec_lo, s4
	s_cbranch_execz .LBB90_66
; %bb.64:
	s_and_saveexec_b32 s4, s14
	s_delay_alu instid0(SALU_CYCLE_1)
	s_xor_b32 s4, exec_lo, s4
	s_cbranch_execnz .LBB90_84
.LBB90_65:
	s_or_b32 exec_lo, exec_lo, s4
	s_delay_alu instid0(SALU_CYCLE_1)
	s_and_b32 s2, s2, exec_lo
.LBB90_66:
	s_and_not1_saveexec_b32 s3, s3
	s_cbranch_execnz .LBB90_80
.LBB90_67:
	s_or_b32 exec_lo, exec_lo, s3
	s_delay_alu instid0(SALU_CYCLE_1)
	s_and_b32 s2, s2, exec_lo
.LBB90_68:
	s_and_not1_saveexec_b32 s1, s1
	s_cbranch_execnz .LBB90_76
.LBB90_69:
	s_or_b32 exec_lo, exec_lo, s1
	s_delay_alu instid0(SALU_CYCLE_1)
	s_and_b32 s1, s2, exec_lo
.LBB90_70:
	s_and_not1_saveexec_b32 s0, s0
	s_cbranch_execnz .LBB90_74
; %bb.71:
	s_or_b32 exec_lo, exec_lo, s0
	s_delay_alu instid0(SALU_CYCLE_1)
	s_and_b32 exec_lo, exec_lo, s1
.LBB90_72:
	; divergent unreachable
.LBB90_73:
	s_nop 0
	s_sendmsg sendmsg(MSG_DEALLOC_VGPRS)
	s_endpgm
.LBB90_74:
	s_cbranch_execnz .LBB90_78
; %bb.75:
	s_or_b32 s1, s1, exec_lo
	s_or_b32 exec_lo, exec_lo, s0
	s_delay_alu instid0(SALU_CYCLE_1)
	s_and_b32 exec_lo, exec_lo, s1
	s_cbranch_execnz .LBB90_72
	s_branch .LBB90_73
.LBB90_76:
	s_cbranch_execnz .LBB90_82
; %bb.77:
	s_or_b32 s2, s2, exec_lo
	s_branch .LBB90_69
.LBB90_78:
	s_trap 2
	s_sendmsg_rtn_b32 s0, sendmsg(MSG_RTN_GET_DOORBELL)
	s_mov_b32 ttmp2, m0
	s_waitcnt lgkmcnt(0)
	s_and_b32 s0, s0, 0x3ff
	s_delay_alu instid0(SALU_CYCLE_1) | instskip(NEXT) | instid1(SALU_CYCLE_1)
	s_bitset1_b32 s0, 10
	s_mov_b32 m0, s0
	s_sendmsg sendmsg(MSG_INTERRUPT)
	s_mov_b32 m0, ttmp2
.LBB90_79:                              ; =>This Inner Loop Header: Depth=1
	s_sethalt 5
	s_branch .LBB90_79
.LBB90_80:
	s_cbranch_execnz .LBB90_86
; %bb.81:
	s_or_b32 s2, s2, exec_lo
	s_branch .LBB90_67
.LBB90_82:
	s_trap 2
	s_sendmsg_rtn_b32 s0, sendmsg(MSG_RTN_GET_DOORBELL)
	s_mov_b32 ttmp2, m0
	s_waitcnt lgkmcnt(0)
	s_and_b32 s0, s0, 0x3ff
	s_delay_alu instid0(SALU_CYCLE_1) | instskip(NEXT) | instid1(SALU_CYCLE_1)
	s_bitset1_b32 s0, 10
	s_mov_b32 m0, s0
	s_sendmsg sendmsg(MSG_INTERRUPT)
	s_mov_b32 m0, ttmp2
.LBB90_83:                              ; =>This Inner Loop Header: Depth=1
	s_sethalt 5
	s_branch .LBB90_83
.LBB90_84:
	s_cbranch_execnz .LBB90_88
; %bb.85:
	s_mov_b32 s2, exec_lo
	s_branch .LBB90_65
.LBB90_86:
	s_trap 2
	s_sendmsg_rtn_b32 s0, sendmsg(MSG_RTN_GET_DOORBELL)
	s_mov_b32 ttmp2, m0
	s_waitcnt lgkmcnt(0)
	s_and_b32 s0, s0, 0x3ff
	s_delay_alu instid0(SALU_CYCLE_1) | instskip(NEXT) | instid1(SALU_CYCLE_1)
	s_bitset1_b32 s0, 10
	s_mov_b32 m0, s0
	s_sendmsg sendmsg(MSG_INTERRUPT)
	s_mov_b32 m0, ttmp2
.LBB90_87:                              ; =>This Inner Loop Header: Depth=1
	s_sethalt 5
	s_branch .LBB90_87
.LBB90_88:
	s_trap 2
	s_sendmsg_rtn_b32 s0, sendmsg(MSG_RTN_GET_DOORBELL)
	s_mov_b32 ttmp2, m0
	s_waitcnt lgkmcnt(0)
	s_and_b32 s0, s0, 0x3ff
	s_delay_alu instid0(SALU_CYCLE_1) | instskip(NEXT) | instid1(SALU_CYCLE_1)
	s_bitset1_b32 s0, 10
	s_mov_b32 m0, s0
	s_sendmsg sendmsg(MSG_INTERRUPT)
	s_mov_b32 m0, ttmp2
.LBB90_89:                              ; =>This Inner Loop Header: Depth=1
	s_sethalt 5
	s_branch .LBB90_89
	.section	.rodata,"a",@progbits
	.p2align	6, 0x0
	.amdhsa_kernel _ZN2at4cuda12_GLOBAL__N_121kernelPointwiseApply2IZNS_6native9templates4cuda28bernoulli_tensor_cuda_kernelIN3c104HalfEfEEvRKNS_10TensorBaseESB_NS_15PhiloxCudaStateEEUliRS8_SD_SD_SD_RKfSF_SF_SF_E_S8_SE_jLi1ELin1ELi4ELi512ELi2EEEvNS0_6detail10TensorInfoIT0_T2_EENSI_IT1_SK_EESK_T_
		.amdhsa_group_segment_fixed_size 0
		.amdhsa_private_segment_fixed_size 0
		.amdhsa_kernarg_size 728
		.amdhsa_user_sgpr_count 15
		.amdhsa_user_sgpr_dispatch_ptr 0
		.amdhsa_user_sgpr_queue_ptr 0
		.amdhsa_user_sgpr_kernarg_segment_ptr 1
		.amdhsa_user_sgpr_dispatch_id 0
		.amdhsa_user_sgpr_private_segment_size 0
		.amdhsa_wavefront_size32 1
		.amdhsa_uses_dynamic_stack 0
		.amdhsa_enable_private_segment 0
		.amdhsa_system_sgpr_workgroup_id_x 1
		.amdhsa_system_sgpr_workgroup_id_y 0
		.amdhsa_system_sgpr_workgroup_id_z 0
		.amdhsa_system_sgpr_workgroup_info 0
		.amdhsa_system_vgpr_workitem_id 0
		.amdhsa_next_free_vgpr 39
		.amdhsa_next_free_sgpr 41
		.amdhsa_reserve_vcc 1
		.amdhsa_float_round_mode_32 0
		.amdhsa_float_round_mode_16_64 0
		.amdhsa_float_denorm_mode_32 3
		.amdhsa_float_denorm_mode_16_64 3
		.amdhsa_dx10_clamp 1
		.amdhsa_ieee_mode 1
		.amdhsa_fp16_overflow 0
		.amdhsa_workgroup_processor_mode 1
		.amdhsa_memory_ordered 1
		.amdhsa_forward_progress 0
		.amdhsa_shared_vgpr_count 0
		.amdhsa_exception_fp_ieee_invalid_op 0
		.amdhsa_exception_fp_denorm_src 0
		.amdhsa_exception_fp_ieee_div_zero 0
		.amdhsa_exception_fp_ieee_overflow 0
		.amdhsa_exception_fp_ieee_underflow 0
		.amdhsa_exception_fp_ieee_inexact 0
		.amdhsa_exception_int_div_zero 0
	.end_amdhsa_kernel
	.section	.text._ZN2at4cuda12_GLOBAL__N_121kernelPointwiseApply2IZNS_6native9templates4cuda28bernoulli_tensor_cuda_kernelIN3c104HalfEfEEvRKNS_10TensorBaseESB_NS_15PhiloxCudaStateEEUliRS8_SD_SD_SD_RKfSF_SF_SF_E_S8_SE_jLi1ELin1ELi4ELi512ELi2EEEvNS0_6detail10TensorInfoIT0_T2_EENSI_IT1_SK_EESK_T_,"axG",@progbits,_ZN2at4cuda12_GLOBAL__N_121kernelPointwiseApply2IZNS_6native9templates4cuda28bernoulli_tensor_cuda_kernelIN3c104HalfEfEEvRKNS_10TensorBaseESB_NS_15PhiloxCudaStateEEUliRS8_SD_SD_SD_RKfSF_SF_SF_E_S8_SE_jLi1ELin1ELi4ELi512ELi2EEEvNS0_6detail10TensorInfoIT0_T2_EENSI_IT1_SK_EESK_T_,comdat
.Lfunc_end90:
	.size	_ZN2at4cuda12_GLOBAL__N_121kernelPointwiseApply2IZNS_6native9templates4cuda28bernoulli_tensor_cuda_kernelIN3c104HalfEfEEvRKNS_10TensorBaseESB_NS_15PhiloxCudaStateEEUliRS8_SD_SD_SD_RKfSF_SF_SF_E_S8_SE_jLi1ELin1ELi4ELi512ELi2EEEvNS0_6detail10TensorInfoIT0_T2_EENSI_IT1_SK_EESK_T_, .Lfunc_end90-_ZN2at4cuda12_GLOBAL__N_121kernelPointwiseApply2IZNS_6native9templates4cuda28bernoulli_tensor_cuda_kernelIN3c104HalfEfEEvRKNS_10TensorBaseESB_NS_15PhiloxCudaStateEEUliRS8_SD_SD_SD_RKfSF_SF_SF_E_S8_SE_jLi1ELin1ELi4ELi512ELi2EEEvNS0_6detail10TensorInfoIT0_T2_EENSI_IT1_SK_EESK_T_
                                        ; -- End function
	.section	.AMDGPU.csdata,"",@progbits
; Kernel info:
; codeLenInByte = 4288
; NumSgprs: 43
; NumVgprs: 39
; ScratchSize: 0
; MemoryBound: 0
; FloatMode: 240
; IeeeMode: 1
; LDSByteSize: 0 bytes/workgroup (compile time only)
; SGPRBlocks: 5
; VGPRBlocks: 4
; NumSGPRsForWavesPerEU: 43
; NumVGPRsForWavesPerEU: 39
; Occupancy: 16
; WaveLimiterHint : 1
; COMPUTE_PGM_RSRC2:SCRATCH_EN: 0
; COMPUTE_PGM_RSRC2:USER_SGPR: 15
; COMPUTE_PGM_RSRC2:TRAP_HANDLER: 0
; COMPUTE_PGM_RSRC2:TGID_X_EN: 1
; COMPUTE_PGM_RSRC2:TGID_Y_EN: 0
; COMPUTE_PGM_RSRC2:TGID_Z_EN: 0
; COMPUTE_PGM_RSRC2:TIDIG_COMP_CNT: 0
	.section	.text._ZN2at4cuda12_GLOBAL__N_121kernelPointwiseApply2IZNS_6native9templates4cuda28bernoulli_tensor_cuda_kernelIN3c104HalfEfEEvRKNS_10TensorBaseESB_NS_15PhiloxCudaStateEEUliRS8_SD_SD_SD_RKfSF_SF_SF_E_S8_SE_jLi2ELi1ELi4ELi512ELi2EEEvNS0_6detail10TensorInfoIT0_T2_EENSI_IT1_SK_EESK_T_,"axG",@progbits,_ZN2at4cuda12_GLOBAL__N_121kernelPointwiseApply2IZNS_6native9templates4cuda28bernoulli_tensor_cuda_kernelIN3c104HalfEfEEvRKNS_10TensorBaseESB_NS_15PhiloxCudaStateEEUliRS8_SD_SD_SD_RKfSF_SF_SF_E_S8_SE_jLi2ELi1ELi4ELi512ELi2EEEvNS0_6detail10TensorInfoIT0_T2_EENSI_IT1_SK_EESK_T_,comdat
	.globl	_ZN2at4cuda12_GLOBAL__N_121kernelPointwiseApply2IZNS_6native9templates4cuda28bernoulli_tensor_cuda_kernelIN3c104HalfEfEEvRKNS_10TensorBaseESB_NS_15PhiloxCudaStateEEUliRS8_SD_SD_SD_RKfSF_SF_SF_E_S8_SE_jLi2ELi1ELi4ELi512ELi2EEEvNS0_6detail10TensorInfoIT0_T2_EENSI_IT1_SK_EESK_T_ ; -- Begin function _ZN2at4cuda12_GLOBAL__N_121kernelPointwiseApply2IZNS_6native9templates4cuda28bernoulli_tensor_cuda_kernelIN3c104HalfEfEEvRKNS_10TensorBaseESB_NS_15PhiloxCudaStateEEUliRS8_SD_SD_SD_RKfSF_SF_SF_E_S8_SE_jLi2ELi1ELi4ELi512ELi2EEEvNS0_6detail10TensorInfoIT0_T2_EENSI_IT1_SK_EESK_T_
	.p2align	8
	.type	_ZN2at4cuda12_GLOBAL__N_121kernelPointwiseApply2IZNS_6native9templates4cuda28bernoulli_tensor_cuda_kernelIN3c104HalfEfEEvRKNS_10TensorBaseESB_NS_15PhiloxCudaStateEEUliRS8_SD_SD_SD_RKfSF_SF_SF_E_S8_SE_jLi2ELi1ELi4ELi512ELi2EEEvNS0_6detail10TensorInfoIT0_T2_EENSI_IT1_SK_EESK_T_,@function
_ZN2at4cuda12_GLOBAL__N_121kernelPointwiseApply2IZNS_6native9templates4cuda28bernoulli_tensor_cuda_kernelIN3c104HalfEfEEvRKNS_10TensorBaseESB_NS_15PhiloxCudaStateEEUliRS8_SD_SD_SD_RKfSF_SF_SF_E_S8_SE_jLi2ELi1ELi4ELi512ELi2EEEvNS0_6detail10TensorInfoIT0_T2_EENSI_IT1_SK_EESK_T_: ; @_ZN2at4cuda12_GLOBAL__N_121kernelPointwiseApply2IZNS_6native9templates4cuda28bernoulli_tensor_cuda_kernelIN3c104HalfEfEEvRKNS_10TensorBaseESB_NS_15PhiloxCudaStateEEUliRS8_SD_SD_SD_RKfSF_SF_SF_E_S8_SE_jLi2ELi1ELi4ELi512ELi2EEEvNS0_6detail10TensorInfoIT0_T2_EENSI_IT1_SK_EESK_T_
; %bb.0:
	s_clause 0x1
	s_load_b32 s4, s[0:1], 0x1e4
	s_load_b32 s16, s[0:1], 0x1b0
	s_add_u32 s2, s0, 0x1d8
	s_addc_u32 s3, s1, 0
	s_waitcnt lgkmcnt(0)
	s_and_b32 s20, s4, 0xffff
	s_mov_b32 s4, exec_lo
	v_mad_u64_u32 v[1:2], null, s15, s20, v[0:1]
	s_delay_alu instid0(VALU_DEP_1) | instskip(NEXT) | instid1(VALU_DEP_1)
	v_lshlrev_b32_e32 v0, 2, v1
	v_cmpx_gt_u32_e64 s16, v0
	s_cbranch_execz .LBB91_59
; %bb.1:
	s_clause 0x4
	s_load_b32 s17, s[0:1], 0xc
	s_load_b64 s[8:9], s[0:1], 0x6c
	s_load_b64 s[10:11], s[0:1], 0xd8
	s_load_b32 s4, s[0:1], 0x1d0
	s_load_b32 s23, s[0:1], 0x144
	;; [unrolled: 1-line block ×3, first 2 shown]
	s_clause 0x1
	s_load_b64 s[12:13], s[0:1], 0x0
	s_load_b64 s[14:15], s[0:1], 0x1c8
	v_add_nc_u32_e32 v8, 3, v0
	v_sub_nc_u32_e32 v31, s16, v0
	s_mov_b32 s22, 0
	s_mov_b32 s25, 0
                                        ; implicit-def: $sgpr24
                                        ; implicit-def: $sgpr27
                                        ; implicit-def: $sgpr26
                                        ; implicit-def: $sgpr28
                                        ; implicit-def: $sgpr30
                                        ; implicit-def: $sgpr29
                                        ; implicit-def: $sgpr31
	v_add_nc_u32_e32 v7, 2, v0
	s_waitcnt lgkmcnt(0)
	v_cvt_f32_u32_e32 v2, s17
	s_bitcmp1_b32 s4, 0
	s_load_b128 s[4:7], s[0:1], 0x1b8
	s_delay_alu instid0(VALU_DEP_1)
	v_rcp_iflag_f32_e32 v2, v2
	s_cselect_b32 s18, -1, 0
	s_sub_i32 s19, 0, s17
	v_mul_lo_u32 v30, v0, s23
	v_mul_lo_u32 v34, s23, v8
	s_mul_i32 s2, s2, s20
	v_mov_b32_e32 v4, 0
	s_lshl_b32 s21, s2, 2
                                        ; implicit-def: $sgpr20
	v_mul_lo_u32 v33, s23, v7
	s_waitcnt_depctr 0xfff
	v_mul_f32_e32 v2, 0x4f7ffffe, v2
	v_add_nc_u32_e32 v35, s23, v30
	s_mul_i32 s23, s21, s23
	s_delay_alu instid0(VALU_DEP_2) | instskip(SKIP_1) | instid1(VALU_DEP_2)
	v_cvt_u32_f32_e32 v5, v2
	v_mad_u64_u32 v[2:3], null, 0xcd9e8d57, v1, 0
	v_mul_lo_u32 v6, s19, v5
	s_delay_alu instid0(VALU_DEP_2) | instskip(NEXT) | instid1(VALU_DEP_2)
	v_mov_b32_e32 v32, v3
	v_mul_hi_u32 v6, v5, v6
	s_delay_alu instid0(VALU_DEP_1)
	v_add_nc_u32_e32 v36, v5, v6
	s_branch .LBB91_3
.LBB91_2:                               ;   in Loop: Header=BB91_3 Depth=1
	s_or_b32 exec_lo, exec_lo, s1
	s_delay_alu instid0(SALU_CYCLE_1) | instskip(NEXT) | instid1(SALU_CYCLE_1)
	s_and_b32 s0, exec_lo, s0
	s_or_b32 s22, s0, s22
	s_and_not1_b32 s0, s20, exec_lo
	s_and_b32 s1, s31, exec_lo
	s_and_not1_b32 s2, s26, exec_lo
	s_and_b32 s3, s29, exec_lo
	s_or_b32 s20, s0, s1
	s_or_b32 s26, s2, s3
	s_and_not1_b32 s0, s27, exec_lo
	s_and_b32 s1, s30, exec_lo
	s_and_not1_b32 s2, s24, exec_lo
	s_and_b32 s3, s28, exec_lo
	s_or_b32 s27, s0, s1
	s_or_b32 s24, s2, s3
	s_and_not1_b32 exec_lo, exec_lo, s22
	s_cbranch_execz .LBB91_47
.LBB91_3:                               ; =>This Inner Loop Header: Depth=1
	v_mov_b32_e32 v7, 0
	v_mov_b32_e32 v8, 0
	v_cmp_lt_i32_e32 vcc_lo, 0, v31
	s_delay_alu instid0(VALU_DEP_2)
	v_dual_mov_b32 v5, v7 :: v_dual_mov_b32 v6, v8
	s_and_saveexec_b32 s1, vcc_lo
	s_cbranch_execz .LBB91_5
; %bb.4:                                ;   in Loop: Header=BB91_3 Depth=1
	v_mul_hi_u32 v3, v36, v0
	s_delay_alu instid0(VALU_DEP_1) | instskip(SKIP_2) | instid1(VALU_DEP_3)
	v_not_b32_e32 v11, v3
	v_mad_u64_u32 v[5:6], null, s19, v3, v[0:1]
	v_add_nc_u32_e32 v6, 1, v3
	v_mad_u64_u32 v[9:10], null, s17, v11, v[0:1]
	s_delay_alu instid0(VALU_DEP_3) | instskip(NEXT) | instid1(VALU_DEP_1)
	v_cmp_le_u32_e64 s0, s17, v5
	v_cndmask_b32_e64 v3, v3, v6, s0
	s_delay_alu instid0(VALU_DEP_3) | instskip(NEXT) | instid1(VALU_DEP_2)
	v_cndmask_b32_e64 v5, v5, v9, s0
	v_add_nc_u32_e32 v6, 1, v3
	s_delay_alu instid0(VALU_DEP_2) | instskip(NEXT) | instid1(VALU_DEP_1)
	v_cmp_le_u32_e64 s0, s17, v5
	v_cndmask_b32_e64 v9, v3, v6, s0
	s_delay_alu instid0(VALU_DEP_1) | instskip(NEXT) | instid1(VALU_DEP_1)
	v_mad_u64_u32 v[5:6], null, s19, v9, v[0:1]
	v_mul_lo_u32 v3, v5, s9
	s_delay_alu instid0(VALU_DEP_1)
	v_mad_u64_u32 v[5:6], null, v9, s8, v[3:4]
	v_mov_b32_e32 v6, v4
.LBB91_5:                               ;   in Loop: Header=BB91_3 Depth=1
	s_or_b32 exec_lo, exec_lo, s1
	v_cmp_lt_i32_e64 s0, 1, v31
	s_delay_alu instid0(VALU_DEP_1)
	s_and_saveexec_b32 s2, s0
	s_cbranch_execz .LBB91_7
; %bb.6:                                ;   in Loop: Header=BB91_3 Depth=1
	v_add_nc_u32_e32 v3, 1, v0
	s_delay_alu instid0(VALU_DEP_1) | instskip(NEXT) | instid1(VALU_DEP_1)
	v_mul_hi_u32 v7, v3, v36
	v_mul_lo_u32 v8, v7, s17
	v_add_nc_u32_e32 v9, 1, v7
	s_delay_alu instid0(VALU_DEP_2) | instskip(NEXT) | instid1(VALU_DEP_1)
	v_sub_nc_u32_e32 v8, v3, v8
	v_subrev_nc_u32_e32 v10, s17, v8
	v_cmp_le_u32_e64 s1, s17, v8
	s_delay_alu instid0(VALU_DEP_1) | instskip(NEXT) | instid1(VALU_DEP_3)
	v_cndmask_b32_e64 v7, v7, v9, s1
	v_cndmask_b32_e64 v8, v8, v10, s1
	s_delay_alu instid0(VALU_DEP_2) | instskip(NEXT) | instid1(VALU_DEP_2)
	v_add_nc_u32_e32 v9, 1, v7
	v_cmp_le_u32_e64 s1, s17, v8
	s_delay_alu instid0(VALU_DEP_1) | instskip(NEXT) | instid1(VALU_DEP_1)
	v_cndmask_b32_e64 v9, v7, v9, s1
	v_mul_lo_u32 v7, v9, s17
	s_delay_alu instid0(VALU_DEP_1) | instskip(NEXT) | instid1(VALU_DEP_1)
	v_sub_nc_u32_e32 v3, v3, v7
	v_mul_lo_u32 v3, v3, s9
	s_delay_alu instid0(VALU_DEP_1)
	v_mad_u64_u32 v[7:8], null, v9, s8, v[3:4]
	v_mov_b32_e32 v8, v4
.LBB91_7:                               ;   in Loop: Header=BB91_3 Depth=1
	s_or_b32 exec_lo, exec_lo, s2
	v_mov_b32_e32 v11, 0
	v_mov_b32_e32 v12, 0
	v_cmp_lt_i32_e64 s1, 2, v31
	s_delay_alu instid0(VALU_DEP_2) | instskip(NEXT) | instid1(VALU_DEP_2)
	v_dual_mov_b32 v9, v11 :: v_dual_mov_b32 v10, v12
	s_and_saveexec_b32 s3, s1
	s_cbranch_execz .LBB91_9
; %bb.8:                                ;   in Loop: Header=BB91_3 Depth=1
	v_add_nc_u32_e32 v3, 2, v0
	s_delay_alu instid0(VALU_DEP_1) | instskip(NEXT) | instid1(VALU_DEP_1)
	v_mul_hi_u32 v9, v3, v36
	v_mul_lo_u32 v10, v9, s17
	v_add_nc_u32_e32 v13, 1, v9
	s_delay_alu instid0(VALU_DEP_2) | instskip(NEXT) | instid1(VALU_DEP_1)
	v_sub_nc_u32_e32 v10, v3, v10
	v_subrev_nc_u32_e32 v14, s17, v10
	v_cmp_le_u32_e64 s2, s17, v10
	s_delay_alu instid0(VALU_DEP_1) | instskip(NEXT) | instid1(VALU_DEP_3)
	v_cndmask_b32_e64 v9, v9, v13, s2
	v_cndmask_b32_e64 v10, v10, v14, s2
	s_delay_alu instid0(VALU_DEP_2) | instskip(NEXT) | instid1(VALU_DEP_2)
	v_add_nc_u32_e32 v13, 1, v9
	v_cmp_le_u32_e64 s2, s17, v10
	s_delay_alu instid0(VALU_DEP_1) | instskip(NEXT) | instid1(VALU_DEP_1)
	v_cndmask_b32_e64 v13, v9, v13, s2
	v_mul_lo_u32 v9, v13, s17
	s_delay_alu instid0(VALU_DEP_1) | instskip(NEXT) | instid1(VALU_DEP_1)
	v_sub_nc_u32_e32 v3, v3, v9
	v_mul_lo_u32 v3, v3, s9
	s_delay_alu instid0(VALU_DEP_1)
	v_mad_u64_u32 v[9:10], null, v13, s8, v[3:4]
	v_mov_b32_e32 v10, v4
.LBB91_9:                               ;   in Loop: Header=BB91_3 Depth=1
	s_or_b32 exec_lo, exec_lo, s3
	v_cmp_lt_i32_e64 s2, 3, v31
	s_delay_alu instid0(VALU_DEP_1)
	s_and_saveexec_b32 s33, s2
	s_cbranch_execz .LBB91_11
; %bb.10:                               ;   in Loop: Header=BB91_3 Depth=1
	v_add_nc_u32_e32 v3, 3, v0
	s_delay_alu instid0(VALU_DEP_1) | instskip(NEXT) | instid1(VALU_DEP_1)
	v_mul_hi_u32 v11, v3, v36
	v_mul_lo_u32 v12, v11, s17
	v_add_nc_u32_e32 v13, 1, v11
	s_delay_alu instid0(VALU_DEP_2) | instskip(NEXT) | instid1(VALU_DEP_1)
	v_sub_nc_u32_e32 v12, v3, v12
	v_subrev_nc_u32_e32 v14, s17, v12
	v_cmp_le_u32_e64 s3, s17, v12
	s_delay_alu instid0(VALU_DEP_1) | instskip(NEXT) | instid1(VALU_DEP_3)
	v_cndmask_b32_e64 v11, v11, v13, s3
	v_cndmask_b32_e64 v12, v12, v14, s3
	s_delay_alu instid0(VALU_DEP_2) | instskip(NEXT) | instid1(VALU_DEP_2)
	v_add_nc_u32_e32 v13, 1, v11
	v_cmp_le_u32_e64 s3, s17, v12
	s_delay_alu instid0(VALU_DEP_1) | instskip(NEXT) | instid1(VALU_DEP_1)
	v_cndmask_b32_e64 v13, v11, v13, s3
	v_mul_lo_u32 v11, v13, s17
	s_delay_alu instid0(VALU_DEP_1) | instskip(NEXT) | instid1(VALU_DEP_1)
	v_sub_nc_u32_e32 v3, v3, v11
	v_mul_lo_u32 v3, v3, s9
	s_delay_alu instid0(VALU_DEP_1)
	v_mad_u64_u32 v[11:12], null, v13, s8, v[3:4]
	v_mov_b32_e32 v12, v4
.LBB91_11:                              ;   in Loop: Header=BB91_3 Depth=1
	s_or_b32 exec_lo, exec_lo, s33
	v_add_nc_u32_e32 v3, s25, v30
	v_add_nc_u32_e32 v15, s25, v35
	;; [unrolled: 1-line block ×4, first 2 shown]
	s_delay_alu instid0(VALU_DEP_4) | instskip(NEXT) | instid1(VALU_DEP_1)
	v_cndmask_b32_e32 v3, 0, v3, vcc_lo
	v_lshlrev_b64 v[13:14], 2, v[3:4]
	v_cndmask_b32_e64 v3, 0, v15, s0
	s_delay_alu instid0(VALU_DEP_1) | instskip(SKIP_1) | instid1(VALU_DEP_4)
	v_lshlrev_b64 v[15:16], 2, v[3:4]
	v_cndmask_b32_e64 v3, 0, v17, s1
	v_add_co_u32 v13, vcc_lo, s10, v13
	v_add_co_ci_u32_e32 v14, vcc_lo, s11, v14, vcc_lo
	s_delay_alu instid0(VALU_DEP_3) | instskip(SKIP_3) | instid1(VALU_DEP_3)
	v_lshlrev_b64 v[17:18], 2, v[3:4]
	v_cndmask_b32_e64 v3, 0, v19, s2
	v_add_co_u32 v15, vcc_lo, s10, v15
	v_add_co_ci_u32_e32 v16, vcc_lo, s11, v16, vcc_lo
	v_lshlrev_b64 v[19:20], 2, v[3:4]
	v_add_co_u32 v17, vcc_lo, s10, v17
	v_add_co_ci_u32_e32 v18, vcc_lo, s11, v18, vcc_lo
	s_delay_alu instid0(VALU_DEP_3) | instskip(NEXT) | instid1(VALU_DEP_4)
	v_add_co_u32 v19, vcc_lo, s10, v19
	v_add_co_ci_u32_e32 v20, vcc_lo, s11, v20, vcc_lo
	s_clause 0x3
	global_load_b32 v3, v[13:14], off
	global_load_b32 v37, v[15:16], off
	;; [unrolled: 1-line block ×4, first 2 shown]
	s_waitcnt lgkmcnt(0)
	v_mov_b32_e32 v20, s5
	v_dual_mov_b32 v18, s7 :: v_dual_mov_b32 v17, s6
	v_mov_b32_e32 v19, s4
	s_and_not1_b32 vcc_lo, exec_lo, s18
	s_cbranch_vccnz .LBB91_13
; %bb.12:                               ;   in Loop: Header=BB91_3 Depth=1
	v_dual_mov_b32 v14, s7 :: v_dual_mov_b32 v13, s6
	v_dual_mov_b32 v16, s5 :: v_dual_mov_b32 v15, s4
	flat_load_b64 v[13:14], v[13:14]
	flat_load_b64 v[19:20], v[15:16]
	s_waitcnt vmcnt(1) lgkmcnt(1)
	v_add_co_u32 v17, vcc_lo, v13, s14
	v_add_co_ci_u32_e32 v18, vcc_lo, s15, v14, vcc_lo
.LBB91_13:                              ;   in Loop: Header=BB91_3 Depth=1
	s_delay_alu instid0(VALU_DEP_1)
	v_alignbit_b32 v16, v18, v17, 2
	v_lshrrev_b32_e32 v15, 2, v18
	s_waitcnt vmcnt(0) lgkmcnt(0)
	v_add_nc_u32_e32 v41, 0xbb67ae85, v20
	v_add_nc_u32_e32 v42, 0x76cf5d0a, v20
	;; [unrolled: 1-line block ×3, first 2 shown]
	v_add_co_u32 v18, vcc_lo, v16, 1
	s_delay_alu instid0(VALU_DEP_1) | instskip(SKIP_4) | instid1(VALU_DEP_4)
	v_cndmask_b32_e64 v13, 0, 1, vcc_lo
	v_add_co_ci_u32_e32 v27, vcc_lo, 0, v15, vcc_lo
	v_xor3_b32 v23, v32, v19, v15
	v_add_nc_u32_e32 v44, 0x32370b8f, v20
	v_add_nc_u32_e32 v45, 0xed9eba14, v20
	v_cmp_eq_u32_e32 vcc_lo, 0, v27
	v_add_nc_u32_e32 v46, 0x1715609d, v19
	v_add_nc_u32_e32 v47, 0xa9066899, v20
	s_mov_b32 s0, exec_lo
	v_dual_cndmask_b32 v21, 0, v13 :: v_dual_add_nc_u32 v40, 0x9e3779b9, v19
	v_mad_u64_u32 v[13:14], null, 0xd2511f53, v18, 0
	s_delay_alu instid0(VALU_DEP_2) | instskip(NEXT) | instid1(VALU_DEP_2)
	v_add_nc_u32_e32 v18, v21, v1
	v_xor_b32_e32 v22, v14, v20
	s_delay_alu instid0(VALU_DEP_2) | instskip(SKIP_2) | instid1(VALU_DEP_1)
	v_cmp_eq_u32_e32 vcc_lo, 0, v18
	v_mad_u64_u32 v[14:15], null, 0xd2511f53, v16, 0
	v_cndmask_b32_e32 v21, 0, v21, vcc_lo
	v_xor_b32_e32 v16, v21, v22
	v_mad_u64_u32 v[21:22], null, 0xd2511f53, v23, 0
	v_mad_u64_u32 v[23:24], null, 0xcd9e8d57, v18, 0
	v_add_nc_u32_e32 v18, 0x3c6ef372, v19
	s_delay_alu instid0(VALU_DEP_4) | instskip(SKIP_2) | instid1(VALU_DEP_2)
	v_mad_u64_u32 v[25:26], null, 0xcd9e8d57, v16, 0
	v_xor_b32_e32 v16, v15, v20
	v_xor3_b32 v28, v41, v22, v14
	v_mad_u64_u32 v[14:15], null, 0xcd9e8d57, v16, 0
	v_xor3_b32 v16, v24, v19, v27
	v_xor3_b32 v24, v40, v26, v23
	s_delay_alu instid0(VALU_DEP_4) | instskip(NEXT) | instid1(VALU_DEP_3)
	v_mad_u64_u32 v[22:23], null, 0xcd9e8d57, v28, 0
	v_mad_u64_u32 v[26:27], null, 0xd2511f53, v16, 0
	s_delay_alu instid0(VALU_DEP_3) | instskip(SKIP_1) | instid1(VALU_DEP_4)
	v_mad_u64_u32 v[28:29], null, 0xd2511f53, v24, 0
	v_xor3_b32 v16, v2, v15, v40
	v_xor3_b32 v40, v18, v23, v14
	s_delay_alu instid0(VALU_DEP_4) | instskip(NEXT) | instid1(VALU_DEP_3)
	v_xor3_b32 v13, v41, v27, v13
	v_mad_u64_u32 v[14:15], null, 0xd2511f53, v16, 0
	v_xor3_b32 v16, v42, v29, v26
	s_delay_alu instid0(VALU_DEP_4) | instskip(NEXT) | instid1(VALU_DEP_4)
	v_mad_u64_u32 v[23:24], null, 0xd2511f53, v40, 0
	v_mad_u64_u32 v[26:27], null, 0xcd9e8d57, v13, 0
	s_delay_alu instid0(VALU_DEP_3) | instskip(SKIP_4) | instid1(VALU_DEP_4)
	v_mad_u64_u32 v[40:41], null, 0xcd9e8d57, v16, 0
	v_xor3_b32 v15, v42, v15, v21
	v_add_nc_u32_e32 v29, 0x78dde6e4, v19
	v_xor3_b32 v21, v44, v24, v14
	v_xor3_b32 v18, v18, v27, v25
	v_mad_u64_u32 v[13:14], null, 0xcd9e8d57, v15, 0
	v_xor3_b32 v41, v43, v41, v26
	s_delay_alu instid0(VALU_DEP_4) | instskip(NEXT) | instid1(VALU_DEP_4)
	v_mad_u64_u32 v[15:16], null, 0xcd9e8d57, v21, 0
	v_mad_u64_u32 v[24:25], null, 0xd2511f53, v18, 0
	s_delay_alu instid0(VALU_DEP_3) | instskip(SKIP_1) | instid1(VALU_DEP_4)
	v_mad_u64_u32 v[26:27], null, 0xd2511f53, v41, 0
	v_xor3_b32 v18, v43, v14, v22
	v_xor3_b32 v16, v29, v16, v13
	s_delay_alu instid0(VALU_DEP_2) | instskip(SKIP_2) | instid1(VALU_DEP_4)
	v_mad_u64_u32 v[13:14], null, 0xd2511f53, v18, 0
	v_xor3_b32 v18, v44, v25, v28
	v_xor3_b32 v24, v45, v27, v24
	v_mad_u64_u32 v[27:28], null, 0xd2511f53, v16, 0
	s_delay_alu instid0(VALU_DEP_3) | instskip(NEXT) | instid1(VALU_DEP_3)
	v_mad_u64_u32 v[21:22], null, 0xcd9e8d57, v18, 0
	v_mad_u64_u32 v[41:42], null, 0xcd9e8d57, v24, 0
	v_xor3_b32 v16, v45, v14, v23
	s_delay_alu instid0(VALU_DEP_4) | instskip(SKIP_2) | instid1(VALU_DEP_4)
	v_xor3_b32 v24, v47, v28, v13
	v_add_nc_u32_e32 v18, 0xb54cda56, v19
	v_add_nc_u32_e32 v23, 0x646e171e, v20
	v_mad_u64_u32 v[13:14], null, 0xcd9e8d57, v16, 0
	v_xor3_b32 v16, v29, v22, v40
	v_xor3_b32 v25, v46, v42, v21
	v_mad_u64_u32 v[42:43], null, 0xcd9e8d57, v24, 0
	v_add_nc_u32_e32 v29, 0x5384540f, v19
	s_delay_alu instid0(VALU_DEP_4) | instskip(NEXT) | instid1(VALU_DEP_4)
	v_mad_u64_u32 v[21:22], null, 0xd2511f53, v16, 0
	v_mad_u64_u32 v[44:45], null, 0xd2511f53, v25, 0
	v_xor3_b32 v15, v46, v14, v15
	v_xor3_b32 v16, v18, v43, v13
	v_add_nc_u32_e32 v46, 0x1fd5c5a3, v20
	v_add_co_u32 v40, null, 0xf1bbcdc8, v19
	v_xor3_b32 v24, v47, v22, v26
	v_xor3_b32 v26, v23, v45, v21
	v_mad_u64_u32 v[13:14], null, 0xd2511f53, v15, 0
	v_mad_u64_u32 v[21:22], null, 0xd2511f53, v16, 0
	s_delay_alu instid0(VALU_DEP_4) | instskip(NEXT) | instid1(VALU_DEP_4)
	v_mad_u64_u32 v[15:16], null, 0xcd9e8d57, v24, 0
	v_mad_u64_u32 v[24:25], null, 0xcd9e8d57, v26, 0
	s_delay_alu instid0(VALU_DEP_4) | instskip(NEXT) | instid1(VALU_DEP_4)
	v_xor3_b32 v23, v23, v14, v27
	v_xor3_b32 v26, v46, v22, v13
	s_delay_alu instid0(VALU_DEP_4) | instskip(NEXT) | instid1(VALU_DEP_3)
	v_xor3_b32 v18, v18, v16, v41
	v_mad_u64_u32 v[13:14], null, 0xcd9e8d57, v23, 0
	v_xor3_b32 v25, v29, v25, v15
	s_delay_alu instid0(VALU_DEP_4) | instskip(NEXT) | instid1(VALU_DEP_4)
	v_mad_u64_u32 v[22:23], null, 0xcd9e8d57, v26, 0
	v_mad_u64_u32 v[15:16], null, 0xd2511f53, v18, 0
	s_delay_alu instid0(VALU_DEP_3)
	v_mad_u64_u32 v[27:28], null, 0xd2511f53, v25, 0
	v_add_nc_u32_e32 v41, 0xdb3d7428, v20
	v_xor3_b32 v14, v29, v14, v42
	v_xor3_b32 v18, v40, v23, v13
	v_add_nc_u32_e32 v42, 0x96a522ad, v20
	v_xor3_b32 v16, v46, v16, v44
	v_and_b32_e32 v20, 3, v17
	v_xor3_b32 v23, v41, v28, v15
	v_mad_u64_u32 v[25:26], null, 0xd2511f53, v14, 0
	v_mad_u64_u32 v[13:14], null, 0xd2511f53, v18, 0
	;; [unrolled: 1-line block ×3, first 2 shown]
	s_delay_alu instid0(VALU_DEP_4) | instskip(SKIP_1) | instid1(VALU_DEP_4)
	v_mad_u64_u32 v[15:16], null, 0xcd9e8d57, v23, 0
	v_add_nc_u32_e32 v23, 0x8ff34781, v19
                                        ; implicit-def: $vgpr18
	v_xor3_b32 v19, v14, v25, v42
	s_delay_alu instid0(VALU_DEP_2)
	v_xor3_b32 v14, v16, v28, v23
	v_cmpx_lt_i32_e32 1, v20
	s_xor_b32 s0, exec_lo, s0
	s_cbranch_execz .LBB91_19
; %bb.14:                               ;   in Loop: Header=BB91_3 Depth=1
	s_mov_b32 s1, exec_lo
                                        ; implicit-def: $vgpr18
	v_cmpx_lt_i32_e32 2, v20
	s_xor_b32 s1, exec_lo, s1
; %bb.15:                               ;   in Loop: Header=BB91_3 Depth=1
	v_xor3_b32 v16, v40, v29, v24
                                        ; implicit-def: $vgpr19
	s_delay_alu instid0(VALU_DEP_1) | instskip(NEXT) | instid1(VALU_DEP_1)
	v_mul_hi_u32 v16, 0xd2511f53, v16
	v_xor3_b32 v18, v16, v27, v42
; %bb.16:                               ;   in Loop: Header=BB91_3 Depth=1
	s_and_not1_saveexec_b32 s1, s1
; %bb.17:                               ;   in Loop: Header=BB91_3 Depth=1
	v_dual_mov_b32 v18, v15 :: v_dual_mov_b32 v15, v14
	v_dual_mov_b32 v14, v13 :: v_dual_mov_b32 v13, v19
; %bb.18:                               ;   in Loop: Header=BB91_3 Depth=1
	s_or_b32 exec_lo, exec_lo, s1
                                        ; implicit-def: $vgpr21_vgpr22
                                        ; implicit-def: $vgpr20
                                        ; implicit-def: $vgpr19
                                        ; implicit-def: $vgpr41
                                        ; implicit-def: $vgpr25_vgpr26
                                        ; implicit-def: $vgpr22_vgpr23
                                        ; implicit-def: $vgpr23
.LBB91_19:                              ;   in Loop: Header=BB91_3 Depth=1
	s_and_not1_saveexec_b32 s0, s0
	s_cbranch_execz .LBB91_23
; %bb.20:                               ;   in Loop: Header=BB91_3 Depth=1
	v_xor3_b32 v15, v41, v26, v21
	v_cmp_eq_u32_e32 vcc_lo, 1, v20
	v_mov_b32_e32 v18, v13
	s_delay_alu instid0(VALU_DEP_3) | instskip(SKIP_1) | instid1(VALU_DEP_2)
	v_mad_u64_u32 v[16:17], null, 0xcd9e8d57, v15, 0
	v_mov_b32_e32 v15, v19
	v_xor3_b32 v20, v17, v22, v23
	s_delay_alu instid0(VALU_DEP_3)
	v_mov_b32_e32 v17, v16
	s_and_saveexec_b32 s1, vcc_lo
; %bb.21:                               ;   in Loop: Header=BB91_3 Depth=1
	v_dual_mov_b32 v18, v14 :: v_dual_mov_b32 v15, v13
	v_dual_mov_b32 v17, v19 :: v_dual_mov_b32 v20, v16
; %bb.22:                               ;   in Loop: Header=BB91_3 Depth=1
	s_or_b32 exec_lo, exec_lo, s1
	s_delay_alu instid0(VALU_DEP_1)
	v_dual_mov_b32 v13, v20 :: v_dual_mov_b32 v14, v17
.LBB91_23:                              ;   in Loop: Header=BB91_3 Depth=1
	s_or_b32 exec_lo, exec_lo, s0
	v_min_i32_e32 v16, 4, v31
	s_mov_b32 s1, 0
	s_mov_b32 s36, 0
                                        ; implicit-def: $sgpr2
                                        ; implicit-def: $sgpr3
                                        ; implicit-def: $sgpr33
	s_mov_b32 s0, exec_lo
	s_delay_alu instid0(VALU_DEP_1)
	v_cmpx_lt_i32_e32 2, v16
	s_xor_b32 s34, exec_lo, s0
	s_cbranch_execz .LBB91_33
; %bb.24:                               ;   in Loop: Header=BB91_3 Depth=1
	s_mov_b32 s33, -1
	s_mov_b32 s3, exec_lo
                                        ; implicit-def: $sgpr2
                                        ; implicit-def: $sgpr35
	v_cmpx_lt_i32_e32 3, v16
	s_cbranch_execz .LBB91_28
; %bb.25:                               ;   in Loop: Header=BB91_3 Depth=1
	v_cmp_le_f32_e32 vcc_lo, 0, v39
	v_cmp_ge_f32_e64 s0, 1.0, v39
	s_mov_b32 s2, 0
	s_delay_alu instid0(VALU_DEP_1)
	s_and_b32 s35, vcc_lo, s0
	s_mov_b32 s0, 0
	s_and_saveexec_b32 s33, s35
	s_cbranch_execz .LBB91_27
; %bb.26:                               ;   in Loop: Header=BB91_3 Depth=1
	v_cvt_f32_u32_e32 v17, v18
	v_lshlrev_b64 v[11:12], 1, v[11:12]
	s_mov_b32 s0, exec_lo
	s_delay_alu instid0(VALU_DEP_2) | instskip(NEXT) | instid1(VALU_DEP_2)
	v_fmaak_f32 v17, 0x2f800000, v17, 0x2f800000
	v_add_co_u32 v11, vcc_lo, s12, v11
	s_delay_alu instid0(VALU_DEP_3) | instskip(NEXT) | instid1(VALU_DEP_3)
	v_add_co_ci_u32_e32 v12, vcc_lo, s13, v12, vcc_lo
	v_cmp_le_f32_e32 vcc_lo, v17, v39
	v_cndmask_b32_e64 v17, 0, 0x3c00, vcc_lo
	global_store_b16 v[11:12], v17, off
.LBB91_27:                              ;   in Loop: Header=BB91_3 Depth=1
	s_or_b32 exec_lo, exec_lo, s33
	s_mov_b32 s35, -1
	s_or_not1_b32 s33, s0, exec_lo
.LBB91_28:                              ;   in Loop: Header=BB91_3 Depth=1
	s_or_b32 exec_lo, exec_lo, s3
	s_mov_b32 s0, 0
	s_mov_b32 s36, s2
	s_and_saveexec_b32 s3, s33
	s_cbranch_execz .LBB91_32
; %bb.29:                               ;   in Loop: Header=BB91_3 Depth=1
	v_cmp_le_f32_e32 vcc_lo, 0, v38
	v_cmp_ge_f32_e64 s0, 1.0, v38
	s_delay_alu instid0(VALU_DEP_1) | instskip(SKIP_2) | instid1(SALU_CYCLE_1)
	s_and_b32 s33, vcc_lo, s0
	s_mov_b32 s0, 0
	s_and_saveexec_b32 s36, s33
	s_xor_b32 s33, exec_lo, s36
	s_cbranch_execz .LBB91_31
; %bb.30:                               ;   in Loop: Header=BB91_3 Depth=1
	v_cvt_f32_u32_e32 v11, v15
	v_lshlrev_b64 v[9:10], 1, v[9:10]
	s_mov_b32 s0, exec_lo
	s_delay_alu instid0(VALU_DEP_2) | instskip(NEXT) | instid1(VALU_DEP_2)
	v_fmaak_f32 v11, 0x2f800000, v11, 0x2f800000
	v_add_co_u32 v9, vcc_lo, s12, v9
	s_delay_alu instid0(VALU_DEP_3) | instskip(NEXT) | instid1(VALU_DEP_3)
	v_add_co_ci_u32_e32 v10, vcc_lo, s13, v10, vcc_lo
	v_cmp_le_f32_e32 vcc_lo, v11, v38
	v_cndmask_b32_e64 v11, 0, 0x3c00, vcc_lo
	global_store_b16 v[9:10], v11, off
.LBB91_31:                              ;   in Loop: Header=BB91_3 Depth=1
	s_or_b32 exec_lo, exec_lo, s33
	s_delay_alu instid0(SALU_CYCLE_1)
	s_and_not1_b32 s36, s2, exec_lo
	s_or_b32 s2, s2, exec_lo
	s_and_not1_b32 s35, s35, exec_lo
	s_and_b32 s0, s0, exec_lo
.LBB91_32:                              ;   in Loop: Header=BB91_3 Depth=1
	s_or_b32 exec_lo, exec_lo, s3
	s_delay_alu instid0(SALU_CYCLE_1)
	s_and_b32 s33, s36, exec_lo
	s_and_b32 s3, s2, exec_lo
	;; [unrolled: 1-line block ×4, first 2 shown]
.LBB91_33:                              ;   in Loop: Header=BB91_3 Depth=1
	s_and_not1_saveexec_b32 s0, s34
; %bb.34:                               ;   in Loop: Header=BB91_3 Depth=1
	v_cmp_lt_i32_e32 vcc_lo, 1, v16
	s_and_not1_b32 s34, s36, exec_lo
	s_mov_b32 s1, exec_lo
	s_and_not1_b32 s33, s33, exec_lo
	s_and_not1_b32 s3, s3, exec_lo
	s_and_b32 s35, vcc_lo, exec_lo
	s_and_not1_b32 s2, s2, exec_lo
	s_or_b32 s36, s34, s35
; %bb.35:                               ;   in Loop: Header=BB91_3 Depth=1
	s_or_b32 exec_lo, exec_lo, s0
	s_mov_b32 s34, 0
	s_mov_b32 s0, 0
	;; [unrolled: 1-line block ×3, first 2 shown]
	s_and_saveexec_b32 s37, s36
	s_cbranch_execnz .LBB91_38
; %bb.36:                               ;   in Loop: Header=BB91_3 Depth=1
	s_or_b32 exec_lo, exec_lo, s37
	s_and_saveexec_b32 s36, s1
	s_cbranch_execnz .LBB91_41
.LBB91_37:                              ;   in Loop: Header=BB91_3 Depth=1
	s_or_b32 exec_lo, exec_lo, s36
	s_and_saveexec_b32 s1, s0
	s_cbranch_execnz .LBB91_42
	s_branch .LBB91_45
.LBB91_38:                              ;   in Loop: Header=BB91_3 Depth=1
	v_cmp_le_f32_e32 vcc_lo, 0, v37
	v_cmp_ge_f32_e64 s0, 1.0, v37
	s_delay_alu instid0(VALU_DEP_1) | instskip(SKIP_2) | instid1(SALU_CYCLE_1)
	s_and_b32 s35, vcc_lo, s0
	s_mov_b32 s0, 0
	s_and_saveexec_b32 s36, s35
	s_xor_b32 s35, exec_lo, s36
	s_cbranch_execz .LBB91_40
; %bb.39:                               ;   in Loop: Header=BB91_3 Depth=1
	v_cvt_f32_u32_e32 v9, v14
	v_lshlrev_b64 v[7:8], 1, v[7:8]
	s_mov_b32 s0, exec_lo
	s_delay_alu instid0(VALU_DEP_2) | instskip(NEXT) | instid1(VALU_DEP_2)
	v_fmaak_f32 v9, 0x2f800000, v9, 0x2f800000
	v_add_co_u32 v7, vcc_lo, s12, v7
	s_delay_alu instid0(VALU_DEP_3) | instskip(NEXT) | instid1(VALU_DEP_3)
	v_add_co_ci_u32_e32 v8, vcc_lo, s13, v8, vcc_lo
	v_cmp_le_f32_e32 vcc_lo, v9, v37
	v_cndmask_b32_e64 v9, 0, 0x3c00, vcc_lo
	global_store_b16 v[7:8], v9, off
.LBB91_40:                              ;   in Loop: Header=BB91_3 Depth=1
	s_or_b32 exec_lo, exec_lo, s35
	s_delay_alu instid0(SALU_CYCLE_1)
	s_and_not1_b32 s35, s33, exec_lo
	s_or_b32 s33, s33, exec_lo
	s_and_not1_b32 s3, s3, exec_lo
	s_and_not1_b32 s2, s2, exec_lo
	s_and_b32 s0, s0, exec_lo
	s_and_not1_b32 s1, s1, exec_lo
	s_or_b32 exec_lo, exec_lo, s37
	s_and_saveexec_b32 s36, s1
	s_cbranch_execz .LBB91_37
.LBB91_41:                              ;   in Loop: Header=BB91_3 Depth=1
	v_cmp_eq_u32_e32 vcc_lo, 1, v16
	s_and_not1_b32 s0, s0, exec_lo
	s_mov_b32 s34, exec_lo
	s_and_not1_b32 s35, s35, exec_lo
	s_and_not1_b32 s33, s33, exec_lo
	s_and_b32 s1, vcc_lo, exec_lo
	s_and_not1_b32 s3, s3, exec_lo
	s_and_not1_b32 s2, s2, exec_lo
	s_or_b32 s0, s0, s1
	s_or_b32 exec_lo, exec_lo, s36
	s_and_saveexec_b32 s1, s0
	s_cbranch_execz .LBB91_45
.LBB91_42:                              ;   in Loop: Header=BB91_3 Depth=1
	v_cmp_le_f32_e32 vcc_lo, 0, v3
	v_cmp_ge_f32_e64 s0, 1.0, v3
	s_delay_alu instid0(VALU_DEP_1)
	s_and_b32 s37, vcc_lo, s0
	s_mov_b32 s0, 0
	s_and_saveexec_b32 s36, s37
	s_cbranch_execz .LBB91_44
; %bb.43:                               ;   in Loop: Header=BB91_3 Depth=1
	v_cvt_f32_u32_e32 v7, v13
	v_lshlrev_b64 v[5:6], 1, v[5:6]
	s_mov_b32 s0, exec_lo
	s_delay_alu instid0(VALU_DEP_2) | instskip(NEXT) | instid1(VALU_DEP_2)
	v_fmaak_f32 v7, 0x2f800000, v7, 0x2f800000
	v_add_co_u32 v5, vcc_lo, s12, v5
	s_delay_alu instid0(VALU_DEP_3) | instskip(NEXT) | instid1(VALU_DEP_3)
	v_add_co_ci_u32_e32 v6, vcc_lo, s13, v6, vcc_lo
	v_cmp_le_f32_e32 vcc_lo, v7, v3
	v_cndmask_b32_e64 v3, 0, 0x3c00, vcc_lo
	global_store_b16 v[5:6], v3, off
.LBB91_44:                              ;   in Loop: Header=BB91_3 Depth=1
	s_or_b32 exec_lo, exec_lo, s36
	s_delay_alu instid0(SALU_CYCLE_1)
	s_and_not1_b32 s34, s34, exec_lo
	s_and_b32 s0, s0, exec_lo
	s_or_b32 s35, s35, exec_lo
	s_and_not1_b32 s33, s33, exec_lo
	s_and_not1_b32 s3, s3, exec_lo
	;; [unrolled: 1-line block ×3, first 2 shown]
	s_or_b32 s34, s34, s0
.LBB91_45:                              ;   in Loop: Header=BB91_3 Depth=1
	s_or_b32 exec_lo, exec_lo, s1
	s_delay_alu instid0(SALU_CYCLE_1)
	s_and_not1_b32 s1, s31, exec_lo
	s_and_b32 s31, s35, exec_lo
	s_and_not1_b32 s29, s29, exec_lo
	s_and_b32 s33, s33, exec_lo
	s_or_b32 s31, s1, s31
	s_and_not1_b32 s1, s30, exec_lo
	s_and_b32 s3, s3, exec_lo
	s_and_not1_b32 s28, s28, exec_lo
	s_and_b32 s2, s2, exec_lo
	s_mov_b32 s0, -1
	s_or_b32 s29, s29, s33
	s_or_b32 s30, s1, s3
	;; [unrolled: 1-line block ×3, first 2 shown]
	s_and_saveexec_b32 s1, s34
	s_cbranch_execz .LBB91_2
; %bb.46:                               ;   in Loop: Header=BB91_3 Depth=1
	v_add_nc_u32_e32 v0, s21, v0
	v_subrev_nc_u32_e32 v31, s21, v31
	s_add_i32 s25, s25, s23
	s_and_not1_b32 s31, s31, exec_lo
	s_and_not1_b32 s29, s29, exec_lo
	v_cmp_le_u32_e32 vcc_lo, s16, v0
	s_and_not1_b32 s30, s30, exec_lo
	s_and_not1_b32 s28, s28, exec_lo
	s_or_not1_b32 s0, vcc_lo, exec_lo
	s_branch .LBB91_2
.LBB91_47:
	s_or_b32 exec_lo, exec_lo, s22
	s_xor_b32 s3, s26, -1
	s_xor_b32 s4, s27, -1
	s_xor_b32 s0, s24, -1
	s_mov_b32 s1, 0
	s_and_saveexec_b32 s2, s0
	s_delay_alu instid0(SALU_CYCLE_1)
	s_xor_b32 s0, exec_lo, s2
	s_cbranch_execz .LBB91_56
; %bb.48:
	s_mov_b32 s2, 0
	s_and_saveexec_b32 s1, s4
	s_delay_alu instid0(SALU_CYCLE_1)
	s_xor_b32 s1, exec_lo, s1
	s_cbranch_execz .LBB91_54
; %bb.49:
	s_and_saveexec_b32 s4, s3
	s_delay_alu instid0(SALU_CYCLE_1)
	s_xor_b32 s3, exec_lo, s4
	s_cbranch_execz .LBB91_52
; %bb.50:
	s_and_saveexec_b32 s4, s20
	s_delay_alu instid0(SALU_CYCLE_1)
	s_xor_b32 s4, exec_lo, s4
	s_cbranch_execnz .LBB91_70
.LBB91_51:
	s_or_b32 exec_lo, exec_lo, s4
	s_delay_alu instid0(SALU_CYCLE_1)
	s_and_b32 s2, s2, exec_lo
.LBB91_52:
	s_and_not1_saveexec_b32 s3, s3
	s_cbranch_execnz .LBB91_66
.LBB91_53:
	s_or_b32 exec_lo, exec_lo, s3
	s_delay_alu instid0(SALU_CYCLE_1)
	s_and_b32 s2, s2, exec_lo
.LBB91_54:
	s_and_not1_saveexec_b32 s1, s1
	s_cbranch_execnz .LBB91_62
.LBB91_55:
	s_or_b32 exec_lo, exec_lo, s1
	s_delay_alu instid0(SALU_CYCLE_1)
	s_and_b32 s1, s2, exec_lo
.LBB91_56:
	s_and_not1_saveexec_b32 s0, s0
	s_cbranch_execnz .LBB91_60
; %bb.57:
	s_or_b32 exec_lo, exec_lo, s0
	s_delay_alu instid0(SALU_CYCLE_1)
	s_and_b32 exec_lo, exec_lo, s1
.LBB91_58:
	; divergent unreachable
.LBB91_59:
	s_nop 0
	s_sendmsg sendmsg(MSG_DEALLOC_VGPRS)
	s_endpgm
.LBB91_60:
	s_cbranch_execnz .LBB91_64
; %bb.61:
	s_or_b32 s1, s1, exec_lo
	s_or_b32 exec_lo, exec_lo, s0
	s_delay_alu instid0(SALU_CYCLE_1)
	s_and_b32 exec_lo, exec_lo, s1
	s_cbranch_execnz .LBB91_58
	s_branch .LBB91_59
.LBB91_62:
	s_cbranch_execnz .LBB91_68
; %bb.63:
	s_or_b32 s2, s2, exec_lo
	s_branch .LBB91_55
.LBB91_64:
	s_trap 2
	s_sendmsg_rtn_b32 s0, sendmsg(MSG_RTN_GET_DOORBELL)
	s_mov_b32 ttmp2, m0
	s_waitcnt lgkmcnt(0)
	s_and_b32 s0, s0, 0x3ff
	s_delay_alu instid0(SALU_CYCLE_1) | instskip(NEXT) | instid1(SALU_CYCLE_1)
	s_bitset1_b32 s0, 10
	s_mov_b32 m0, s0
	s_sendmsg sendmsg(MSG_INTERRUPT)
	s_mov_b32 m0, ttmp2
.LBB91_65:                              ; =>This Inner Loop Header: Depth=1
	s_sethalt 5
	s_branch .LBB91_65
.LBB91_66:
	s_cbranch_execnz .LBB91_72
; %bb.67:
	s_or_b32 s2, s2, exec_lo
	s_branch .LBB91_53
.LBB91_68:
	s_trap 2
	s_sendmsg_rtn_b32 s0, sendmsg(MSG_RTN_GET_DOORBELL)
	s_mov_b32 ttmp2, m0
	s_waitcnt lgkmcnt(0)
	s_and_b32 s0, s0, 0x3ff
	s_delay_alu instid0(SALU_CYCLE_1) | instskip(NEXT) | instid1(SALU_CYCLE_1)
	s_bitset1_b32 s0, 10
	s_mov_b32 m0, s0
	s_sendmsg sendmsg(MSG_INTERRUPT)
	s_mov_b32 m0, ttmp2
.LBB91_69:                              ; =>This Inner Loop Header: Depth=1
	s_sethalt 5
	s_branch .LBB91_69
.LBB91_70:
	s_cbranch_execnz .LBB91_74
; %bb.71:
	s_mov_b32 s2, exec_lo
	s_branch .LBB91_51
.LBB91_72:
	s_trap 2
	s_sendmsg_rtn_b32 s0, sendmsg(MSG_RTN_GET_DOORBELL)
	s_mov_b32 ttmp2, m0
	s_waitcnt lgkmcnt(0)
	s_and_b32 s0, s0, 0x3ff
	s_delay_alu instid0(SALU_CYCLE_1) | instskip(NEXT) | instid1(SALU_CYCLE_1)
	s_bitset1_b32 s0, 10
	s_mov_b32 m0, s0
	s_sendmsg sendmsg(MSG_INTERRUPT)
	s_mov_b32 m0, ttmp2
.LBB91_73:                              ; =>This Inner Loop Header: Depth=1
	s_sethalt 5
	s_branch .LBB91_73
.LBB91_74:
	s_trap 2
	s_sendmsg_rtn_b32 s0, sendmsg(MSG_RTN_GET_DOORBELL)
	s_mov_b32 ttmp2, m0
	s_waitcnt lgkmcnt(0)
	s_and_b32 s0, s0, 0x3ff
	s_delay_alu instid0(SALU_CYCLE_1) | instskip(NEXT) | instid1(SALU_CYCLE_1)
	s_bitset1_b32 s0, 10
	s_mov_b32 m0, s0
	s_sendmsg sendmsg(MSG_INTERRUPT)
	s_mov_b32 m0, ttmp2
.LBB91_75:                              ; =>This Inner Loop Header: Depth=1
	s_sethalt 5
	s_branch .LBB91_75
	.section	.rodata,"a",@progbits
	.p2align	6, 0x0
	.amdhsa_kernel _ZN2at4cuda12_GLOBAL__N_121kernelPointwiseApply2IZNS_6native9templates4cuda28bernoulli_tensor_cuda_kernelIN3c104HalfEfEEvRKNS_10TensorBaseESB_NS_15PhiloxCudaStateEEUliRS8_SD_SD_SD_RKfSF_SF_SF_E_S8_SE_jLi2ELi1ELi4ELi512ELi2EEEvNS0_6detail10TensorInfoIT0_T2_EENSI_IT1_SK_EESK_T_
		.amdhsa_group_segment_fixed_size 0
		.amdhsa_private_segment_fixed_size 0
		.amdhsa_kernarg_size 728
		.amdhsa_user_sgpr_count 15
		.amdhsa_user_sgpr_dispatch_ptr 0
		.amdhsa_user_sgpr_queue_ptr 0
		.amdhsa_user_sgpr_kernarg_segment_ptr 1
		.amdhsa_user_sgpr_dispatch_id 0
		.amdhsa_user_sgpr_private_segment_size 0
		.amdhsa_wavefront_size32 1
		.amdhsa_uses_dynamic_stack 0
		.amdhsa_enable_private_segment 0
		.amdhsa_system_sgpr_workgroup_id_x 1
		.amdhsa_system_sgpr_workgroup_id_y 0
		.amdhsa_system_sgpr_workgroup_id_z 0
		.amdhsa_system_sgpr_workgroup_info 0
		.amdhsa_system_vgpr_workitem_id 0
		.amdhsa_next_free_vgpr 48
		.amdhsa_next_free_sgpr 38
		.amdhsa_reserve_vcc 1
		.amdhsa_float_round_mode_32 0
		.amdhsa_float_round_mode_16_64 0
		.amdhsa_float_denorm_mode_32 3
		.amdhsa_float_denorm_mode_16_64 3
		.amdhsa_dx10_clamp 1
		.amdhsa_ieee_mode 1
		.amdhsa_fp16_overflow 0
		.amdhsa_workgroup_processor_mode 1
		.amdhsa_memory_ordered 1
		.amdhsa_forward_progress 0
		.amdhsa_shared_vgpr_count 0
		.amdhsa_exception_fp_ieee_invalid_op 0
		.amdhsa_exception_fp_denorm_src 0
		.amdhsa_exception_fp_ieee_div_zero 0
		.amdhsa_exception_fp_ieee_overflow 0
		.amdhsa_exception_fp_ieee_underflow 0
		.amdhsa_exception_fp_ieee_inexact 0
		.amdhsa_exception_int_div_zero 0
	.end_amdhsa_kernel
	.section	.text._ZN2at4cuda12_GLOBAL__N_121kernelPointwiseApply2IZNS_6native9templates4cuda28bernoulli_tensor_cuda_kernelIN3c104HalfEfEEvRKNS_10TensorBaseESB_NS_15PhiloxCudaStateEEUliRS8_SD_SD_SD_RKfSF_SF_SF_E_S8_SE_jLi2ELi1ELi4ELi512ELi2EEEvNS0_6detail10TensorInfoIT0_T2_EENSI_IT1_SK_EESK_T_,"axG",@progbits,_ZN2at4cuda12_GLOBAL__N_121kernelPointwiseApply2IZNS_6native9templates4cuda28bernoulli_tensor_cuda_kernelIN3c104HalfEfEEvRKNS_10TensorBaseESB_NS_15PhiloxCudaStateEEUliRS8_SD_SD_SD_RKfSF_SF_SF_E_S8_SE_jLi2ELi1ELi4ELi512ELi2EEEvNS0_6detail10TensorInfoIT0_T2_EENSI_IT1_SK_EESK_T_,comdat
.Lfunc_end91:
	.size	_ZN2at4cuda12_GLOBAL__N_121kernelPointwiseApply2IZNS_6native9templates4cuda28bernoulli_tensor_cuda_kernelIN3c104HalfEfEEvRKNS_10TensorBaseESB_NS_15PhiloxCudaStateEEUliRS8_SD_SD_SD_RKfSF_SF_SF_E_S8_SE_jLi2ELi1ELi4ELi512ELi2EEEvNS0_6detail10TensorInfoIT0_T2_EENSI_IT1_SK_EESK_T_, .Lfunc_end91-_ZN2at4cuda12_GLOBAL__N_121kernelPointwiseApply2IZNS_6native9templates4cuda28bernoulli_tensor_cuda_kernelIN3c104HalfEfEEvRKNS_10TensorBaseESB_NS_15PhiloxCudaStateEEUliRS8_SD_SD_SD_RKfSF_SF_SF_E_S8_SE_jLi2ELi1ELi4ELi512ELi2EEEvNS0_6detail10TensorInfoIT0_T2_EENSI_IT1_SK_EESK_T_
                                        ; -- End function
	.section	.AMDGPU.csdata,"",@progbits
; Kernel info:
; codeLenInByte = 3820
; NumSgprs: 40
; NumVgprs: 48
; ScratchSize: 0
; MemoryBound: 0
; FloatMode: 240
; IeeeMode: 1
; LDSByteSize: 0 bytes/workgroup (compile time only)
; SGPRBlocks: 4
; VGPRBlocks: 5
; NumSGPRsForWavesPerEU: 40
; NumVGPRsForWavesPerEU: 48
; Occupancy: 16
; WaveLimiterHint : 1
; COMPUTE_PGM_RSRC2:SCRATCH_EN: 0
; COMPUTE_PGM_RSRC2:USER_SGPR: 15
; COMPUTE_PGM_RSRC2:TRAP_HANDLER: 0
; COMPUTE_PGM_RSRC2:TGID_X_EN: 1
; COMPUTE_PGM_RSRC2:TGID_Y_EN: 0
; COMPUTE_PGM_RSRC2:TGID_Z_EN: 0
; COMPUTE_PGM_RSRC2:TIDIG_COMP_CNT: 0
	.section	.text._ZN2at4cuda12_GLOBAL__N_121kernelPointwiseApply2IZNS_6native9templates4cuda28bernoulli_tensor_cuda_kernelIN3c104HalfEfEEvRKNS_10TensorBaseESB_NS_15PhiloxCudaStateEEUliRS8_SD_SD_SD_RKfSF_SF_SF_E_S8_SE_jLi2ELi2ELi4ELi512ELi2EEEvNS0_6detail10TensorInfoIT0_T2_EENSI_IT1_SK_EESK_T_,"axG",@progbits,_ZN2at4cuda12_GLOBAL__N_121kernelPointwiseApply2IZNS_6native9templates4cuda28bernoulli_tensor_cuda_kernelIN3c104HalfEfEEvRKNS_10TensorBaseESB_NS_15PhiloxCudaStateEEUliRS8_SD_SD_SD_RKfSF_SF_SF_E_S8_SE_jLi2ELi2ELi4ELi512ELi2EEEvNS0_6detail10TensorInfoIT0_T2_EENSI_IT1_SK_EESK_T_,comdat
	.globl	_ZN2at4cuda12_GLOBAL__N_121kernelPointwiseApply2IZNS_6native9templates4cuda28bernoulli_tensor_cuda_kernelIN3c104HalfEfEEvRKNS_10TensorBaseESB_NS_15PhiloxCudaStateEEUliRS8_SD_SD_SD_RKfSF_SF_SF_E_S8_SE_jLi2ELi2ELi4ELi512ELi2EEEvNS0_6detail10TensorInfoIT0_T2_EENSI_IT1_SK_EESK_T_ ; -- Begin function _ZN2at4cuda12_GLOBAL__N_121kernelPointwiseApply2IZNS_6native9templates4cuda28bernoulli_tensor_cuda_kernelIN3c104HalfEfEEvRKNS_10TensorBaseESB_NS_15PhiloxCudaStateEEUliRS8_SD_SD_SD_RKfSF_SF_SF_E_S8_SE_jLi2ELi2ELi4ELi512ELi2EEEvNS0_6detail10TensorInfoIT0_T2_EENSI_IT1_SK_EESK_T_
	.p2align	8
	.type	_ZN2at4cuda12_GLOBAL__N_121kernelPointwiseApply2IZNS_6native9templates4cuda28bernoulli_tensor_cuda_kernelIN3c104HalfEfEEvRKNS_10TensorBaseESB_NS_15PhiloxCudaStateEEUliRS8_SD_SD_SD_RKfSF_SF_SF_E_S8_SE_jLi2ELi2ELi4ELi512ELi2EEEvNS0_6detail10TensorInfoIT0_T2_EENSI_IT1_SK_EESK_T_,@function
_ZN2at4cuda12_GLOBAL__N_121kernelPointwiseApply2IZNS_6native9templates4cuda28bernoulli_tensor_cuda_kernelIN3c104HalfEfEEvRKNS_10TensorBaseESB_NS_15PhiloxCudaStateEEUliRS8_SD_SD_SD_RKfSF_SF_SF_E_S8_SE_jLi2ELi2ELi4ELi512ELi2EEEvNS0_6detail10TensorInfoIT0_T2_EENSI_IT1_SK_EESK_T_: ; @_ZN2at4cuda12_GLOBAL__N_121kernelPointwiseApply2IZNS_6native9templates4cuda28bernoulli_tensor_cuda_kernelIN3c104HalfEfEEvRKNS_10TensorBaseESB_NS_15PhiloxCudaStateEEUliRS8_SD_SD_SD_RKfSF_SF_SF_E_S8_SE_jLi2ELi2ELi4ELi512ELi2EEEvNS0_6detail10TensorInfoIT0_T2_EENSI_IT1_SK_EESK_T_
; %bb.0:
	s_clause 0x1
	s_load_b32 s2, s[0:1], 0x1e4
	s_load_b32 s16, s[0:1], 0x1b0
	s_add_u32 s4, s0, 0x1d8
	s_addc_u32 s5, s1, 0
	s_waitcnt lgkmcnt(0)
	s_and_b32 s22, s2, 0xffff
	s_mov_b32 s2, exec_lo
	v_mad_u64_u32 v[1:2], null, s15, s22, v[0:1]
	s_delay_alu instid0(VALU_DEP_1) | instskip(NEXT) | instid1(VALU_DEP_1)
	v_lshlrev_b32_e32 v0, 2, v1
	v_cmpx_gt_u32_e64 s16, v0
	s_cbranch_execz .LBB92_67
; %bb.1:
	s_clause 0x6
	s_load_b32 s17, s[0:1], 0xc
	s_load_b32 s18, s[0:1], 0xe4
	s_load_b64 s[2:3], s[0:1], 0x6c
	s_load_b64 s[8:9], s[0:1], 0xd8
	s_load_b64 s[10:11], s[0:1], 0x144
	s_load_b32 s6, s[0:1], 0x1d0
	s_load_b64 s[12:13], s[0:1], 0x0
	s_load_b32 s23, s[4:5], 0x0
	v_sub_nc_u32_e32 v32, s16, v0
                                        ; implicit-def: $sgpr26
                                        ; implicit-def: $sgpr25
                                        ; implicit-def: $sgpr27
                                        ; implicit-def: $sgpr29
                                        ; implicit-def: $sgpr28
                                        ; implicit-def: $sgpr30
	s_waitcnt lgkmcnt(0)
	v_cvt_f32_u32_e32 v2, s17
	v_cvt_f32_u32_e32 v3, s18
	s_delay_alu instid0(VALU_DEP_2) | instskip(NEXT) | instid1(VALU_DEP_1)
	v_rcp_iflag_f32_e32 v2, v2
	v_rcp_iflag_f32_e32 v3, v3
	s_bitcmp1_b32 s6, 0
	s_clause 0x1
	s_load_b64 s[14:15], s[0:1], 0x1c8
	s_load_b128 s[4:7], s[0:1], 0x1b8
	s_cselect_b32 s19, -1, 0
	s_sub_i32 s20, 0, s17
	s_sub_i32 s21, 0, s18
	s_mul_i32 s23, s23, s22
	s_mov_b32 s22, 0
	s_lshl_b32 s24, s23, 2
	s_waitcnt_depctr 0xfff
	v_dual_mul_f32 v2, 0x4f7ffffe, v2 :: v_dual_mul_f32 v3, 0x4f7ffffe, v3
                                        ; implicit-def: $sgpr23
                                        ; implicit-def: $sgpr1
	s_delay_alu instid0(VALU_DEP_1) | instskip(NEXT) | instid1(VALU_DEP_2)
	v_cvt_u32_f32_e32 v5, v2
	v_cvt_u32_f32_e32 v6, v3
	v_mad_u64_u32 v[2:3], null, 0xcd9e8d57, v1, 0
	s_delay_alu instid0(VALU_DEP_3) | instskip(NEXT) | instid1(VALU_DEP_3)
	v_mul_lo_u32 v4, s20, v5
	v_mul_lo_u32 v7, s21, v6
	s_delay_alu instid0(VALU_DEP_3) | instskip(NEXT) | instid1(VALU_DEP_3)
	v_mov_b32_e32 v29, v3
	v_mul_hi_u32 v8, v5, v4
	s_delay_alu instid0(VALU_DEP_3) | instskip(SKIP_1) | instid1(VALU_DEP_3)
	v_mul_hi_u32 v7, v6, v7
	v_mov_b32_e32 v4, 0
	v_add_nc_u32_e32 v30, v5, v8
	s_delay_alu instid0(VALU_DEP_3)
	v_add_nc_u32_e32 v31, v6, v7
	s_branch .LBB92_3
.LBB92_2:                               ;   in Loop: Header=BB92_3 Depth=1
	s_or_b32 exec_lo, exec_lo, s31
	s_delay_alu instid0(SALU_CYCLE_1) | instskip(NEXT) | instid1(SALU_CYCLE_1)
	s_and_b32 s0, exec_lo, s0
	s_or_b32 s22, s0, s22
	s_and_not1_b32 s0, s1, exec_lo
	s_and_b32 s1, s30, exec_lo
	s_and_not1_b32 s25, s25, exec_lo
	s_and_b32 s31, s28, exec_lo
	s_or_b32 s1, s0, s1
	s_or_b32 s25, s25, s31
	s_and_not1_b32 s0, s26, exec_lo
	s_and_b32 s26, s29, exec_lo
	s_and_not1_b32 s23, s23, exec_lo
	s_and_b32 s31, s27, exec_lo
	s_or_b32 s26, s0, s26
	s_or_b32 s23, s23, s31
	s_and_not1_b32 exec_lo, exec_lo, s22
	s_cbranch_execz .LBB92_55
.LBB92_3:                               ; =>This Inner Loop Header: Depth=1
	v_cmp_lt_i32_e32 vcc_lo, 0, v32
	v_mov_b32_e32 v5, 0
	s_and_saveexec_b32 s31, vcc_lo
	s_cbranch_execz .LBB92_5
; %bb.4:                                ;   in Loop: Header=BB92_3 Depth=1
	v_mul_hi_u32 v3, v30, v0
	s_delay_alu instid0(VALU_DEP_1) | instskip(SKIP_2) | instid1(VALU_DEP_3)
	v_not_b32_e32 v8, v3
	v_mad_u64_u32 v[5:6], null, s20, v3, v[0:1]
	v_add_nc_u32_e32 v9, 1, v3
	v_mad_u64_u32 v[6:7], null, s17, v8, v[0:1]
	s_delay_alu instid0(VALU_DEP_3) | instskip(NEXT) | instid1(VALU_DEP_1)
	v_cmp_le_u32_e64 s0, s17, v5
	v_cndmask_b32_e64 v3, v3, v9, s0
	s_delay_alu instid0(VALU_DEP_3) | instskip(NEXT) | instid1(VALU_DEP_2)
	v_cndmask_b32_e64 v5, v5, v6, s0
	v_add_nc_u32_e32 v6, 1, v3
	s_delay_alu instid0(VALU_DEP_2) | instskip(NEXT) | instid1(VALU_DEP_1)
	v_cmp_le_u32_e64 s0, s17, v5
	v_cndmask_b32_e64 v7, v3, v6, s0
	s_delay_alu instid0(VALU_DEP_1) | instskip(NEXT) | instid1(VALU_DEP_1)
	v_mad_u64_u32 v[5:6], null, s20, v7, v[0:1]
	v_mul_lo_u32 v3, v5, s3
	s_delay_alu instid0(VALU_DEP_1)
	v_mad_u64_u32 v[5:6], null, v7, s2, v[3:4]
.LBB92_5:                               ;   in Loop: Header=BB92_3 Depth=1
	s_or_b32 exec_lo, exec_lo, s31
	v_mov_b32_e32 v3, 0
	s_and_saveexec_b32 s0, vcc_lo
	s_cbranch_execz .LBB92_7
; %bb.6:                                ;   in Loop: Header=BB92_3 Depth=1
	v_mul_hi_u32 v3, v31, v0
	s_delay_alu instid0(VALU_DEP_1) | instskip(SKIP_2) | instid1(VALU_DEP_3)
	v_not_b32_e32 v9, v3
	v_mad_u64_u32 v[6:7], null, s21, v3, v[0:1]
	v_add_nc_u32_e32 v10, 1, v3
	v_mad_u64_u32 v[7:8], null, s18, v9, v[0:1]
	s_delay_alu instid0(VALU_DEP_3) | instskip(NEXT) | instid1(VALU_DEP_2)
	v_cmp_le_u32_e32 vcc_lo, s18, v6
	v_dual_cndmask_b32 v3, v3, v10 :: v_dual_cndmask_b32 v6, v6, v7
	s_delay_alu instid0(VALU_DEP_1) | instskip(NEXT) | instid1(VALU_DEP_2)
	v_add_nc_u32_e32 v7, 1, v3
	v_cmp_le_u32_e32 vcc_lo, s18, v6
	s_delay_alu instid0(VALU_DEP_2) | instskip(NEXT) | instid1(VALU_DEP_1)
	v_cndmask_b32_e32 v8, v3, v7, vcc_lo
	v_mad_u64_u32 v[6:7], null, s21, v8, v[0:1]
	s_delay_alu instid0(VALU_DEP_1) | instskip(NEXT) | instid1(VALU_DEP_1)
	v_mul_lo_u32 v3, v6, s11
	v_mad_u64_u32 v[6:7], null, v8, s10, v[3:4]
	s_delay_alu instid0(VALU_DEP_1)
	v_mov_b32_e32 v3, v6
.LBB92_7:                               ;   in Loop: Header=BB92_3 Depth=1
	s_or_b32 exec_lo, exec_lo, s0
	v_mov_b32_e32 v12, 0
	v_dual_mov_b32 v13, 0 :: v_dual_add_nc_u32 v8, 1, v0
	v_cmp_lt_i32_e32 vcc_lo, 1, v32
	s_delay_alu instid0(VALU_DEP_2)
	v_dual_mov_b32 v6, v12 :: v_dual_mov_b32 v7, v13
	s_and_saveexec_b32 s31, vcc_lo
	s_cbranch_execz .LBB92_9
; %bb.8:                                ;   in Loop: Header=BB92_3 Depth=1
	v_mul_hi_u32 v6, v8, v30
	s_delay_alu instid0(VALU_DEP_1) | instskip(SKIP_1) | instid1(VALU_DEP_2)
	v_mul_lo_u32 v7, v6, s17
	v_add_nc_u32_e32 v9, 1, v6
	v_sub_nc_u32_e32 v7, v8, v7
	s_delay_alu instid0(VALU_DEP_1) | instskip(SKIP_1) | instid1(VALU_DEP_1)
	v_subrev_nc_u32_e32 v10, s17, v7
	v_cmp_le_u32_e64 s0, s17, v7
	v_cndmask_b32_e64 v6, v6, v9, s0
	s_delay_alu instid0(VALU_DEP_3) | instskip(NEXT) | instid1(VALU_DEP_2)
	v_cndmask_b32_e64 v7, v7, v10, s0
	v_add_nc_u32_e32 v9, 1, v6
	s_delay_alu instid0(VALU_DEP_2) | instskip(NEXT) | instid1(VALU_DEP_1)
	v_cmp_le_u32_e64 s0, s17, v7
	v_cndmask_b32_e64 v10, v6, v9, s0
	s_delay_alu instid0(VALU_DEP_1) | instskip(NEXT) | instid1(VALU_DEP_1)
	v_mul_lo_u32 v6, v10, s17
	v_sub_nc_u32_e32 v6, v8, v6
	s_delay_alu instid0(VALU_DEP_1) | instskip(NEXT) | instid1(VALU_DEP_1)
	v_mul_lo_u32 v9, v6, s3
	v_mad_u64_u32 v[6:7], null, v10, s2, v[9:10]
	v_mov_b32_e32 v7, v4
.LBB92_9:                               ;   in Loop: Header=BB92_3 Depth=1
	s_or_b32 exec_lo, exec_lo, s31
	s_and_saveexec_b32 s0, vcc_lo
	s_cbranch_execz .LBB92_11
; %bb.10:                               ;   in Loop: Header=BB92_3 Depth=1
	v_mul_hi_u32 v9, v8, v31
	s_delay_alu instid0(VALU_DEP_1) | instskip(NEXT) | instid1(VALU_DEP_1)
	v_mul_lo_u32 v10, v9, s18
	v_sub_nc_u32_e32 v10, v8, v10
	s_delay_alu instid0(VALU_DEP_1) | instskip(SKIP_1) | instid1(VALU_DEP_2)
	v_subrev_nc_u32_e32 v12, s18, v10
	v_cmp_le_u32_e32 vcc_lo, s18, v10
	v_dual_cndmask_b32 v10, v10, v12 :: v_dual_add_nc_u32 v11, 1, v9
	s_delay_alu instid0(VALU_DEP_1) | instskip(NEXT) | instid1(VALU_DEP_2)
	v_cndmask_b32_e32 v9, v9, v11, vcc_lo
	v_cmp_le_u32_e32 vcc_lo, s18, v10
	s_delay_alu instid0(VALU_DEP_2) | instskip(NEXT) | instid1(VALU_DEP_1)
	v_add_nc_u32_e32 v11, 1, v9
	v_cndmask_b32_e32 v9, v9, v11, vcc_lo
	s_delay_alu instid0(VALU_DEP_1) | instskip(NEXT) | instid1(VALU_DEP_1)
	v_mul_lo_u32 v10, v9, s18
	v_sub_nc_u32_e32 v8, v8, v10
	s_delay_alu instid0(VALU_DEP_1) | instskip(NEXT) | instid1(VALU_DEP_1)
	v_mul_lo_u32 v8, v8, s11
	v_mad_u64_u32 v[12:13], null, v9, s10, v[8:9]
	v_mov_b32_e32 v13, v4
.LBB92_11:                              ;   in Loop: Header=BB92_3 Depth=1
	s_or_b32 exec_lo, exec_lo, s0
	v_mov_b32_e32 v14, 0
	v_dual_mov_b32 v15, 0 :: v_dual_add_nc_u32 v10, 2, v0
	v_cmp_lt_i32_e32 vcc_lo, 2, v32
	s_delay_alu instid0(VALU_DEP_2)
	v_dual_mov_b32 v8, v14 :: v_dual_mov_b32 v9, v15
	s_and_saveexec_b32 s31, vcc_lo
	s_cbranch_execz .LBB92_13
; %bb.12:                               ;   in Loop: Header=BB92_3 Depth=1
	v_mul_hi_u32 v8, v10, v30
	s_delay_alu instid0(VALU_DEP_1) | instskip(SKIP_1) | instid1(VALU_DEP_2)
	v_mul_lo_u32 v9, v8, s17
	v_add_nc_u32_e32 v11, 1, v8
	v_sub_nc_u32_e32 v9, v10, v9
	s_delay_alu instid0(VALU_DEP_1) | instskip(SKIP_1) | instid1(VALU_DEP_1)
	v_subrev_nc_u32_e32 v16, s17, v9
	v_cmp_le_u32_e64 s0, s17, v9
	v_cndmask_b32_e64 v8, v8, v11, s0
	s_delay_alu instid0(VALU_DEP_3) | instskip(NEXT) | instid1(VALU_DEP_2)
	v_cndmask_b32_e64 v9, v9, v16, s0
	v_add_nc_u32_e32 v11, 1, v8
	s_delay_alu instid0(VALU_DEP_2) | instskip(NEXT) | instid1(VALU_DEP_1)
	v_cmp_le_u32_e64 s0, s17, v9
	v_cndmask_b32_e64 v16, v8, v11, s0
	s_delay_alu instid0(VALU_DEP_1) | instskip(NEXT) | instid1(VALU_DEP_1)
	v_mul_lo_u32 v8, v16, s17
	v_sub_nc_u32_e32 v8, v10, v8
	s_delay_alu instid0(VALU_DEP_1) | instskip(NEXT) | instid1(VALU_DEP_1)
	v_mul_lo_u32 v11, v8, s3
	v_mad_u64_u32 v[8:9], null, v16, s2, v[11:12]
	v_mov_b32_e32 v9, v4
.LBB92_13:                              ;   in Loop: Header=BB92_3 Depth=1
	s_or_b32 exec_lo, exec_lo, s31
	s_and_saveexec_b32 s0, vcc_lo
	s_cbranch_execz .LBB92_15
; %bb.14:                               ;   in Loop: Header=BB92_3 Depth=1
	v_mul_hi_u32 v11, v10, v31
	s_delay_alu instid0(VALU_DEP_1) | instskip(NEXT) | instid1(VALU_DEP_1)
	v_mul_lo_u32 v14, v11, s18
	v_sub_nc_u32_e32 v14, v10, v14
	s_delay_alu instid0(VALU_DEP_1) | instskip(SKIP_1) | instid1(VALU_DEP_2)
	v_subrev_nc_u32_e32 v16, s18, v14
	v_cmp_le_u32_e32 vcc_lo, s18, v14
	v_dual_cndmask_b32 v14, v14, v16 :: v_dual_add_nc_u32 v15, 1, v11
	s_delay_alu instid0(VALU_DEP_1) | instskip(NEXT) | instid1(VALU_DEP_2)
	v_cndmask_b32_e32 v11, v11, v15, vcc_lo
	v_cmp_le_u32_e32 vcc_lo, s18, v14
	s_delay_alu instid0(VALU_DEP_2) | instskip(NEXT) | instid1(VALU_DEP_1)
	v_add_nc_u32_e32 v15, 1, v11
	v_cndmask_b32_e32 v11, v11, v15, vcc_lo
	s_delay_alu instid0(VALU_DEP_1) | instskip(NEXT) | instid1(VALU_DEP_1)
	v_mul_lo_u32 v14, v11, s18
	v_sub_nc_u32_e32 v10, v10, v14
	s_delay_alu instid0(VALU_DEP_1) | instskip(NEXT) | instid1(VALU_DEP_1)
	v_mul_lo_u32 v10, v10, s11
	v_mad_u64_u32 v[14:15], null, v11, s10, v[10:11]
	v_mov_b32_e32 v15, v4
.LBB92_15:                              ;   in Loop: Header=BB92_3 Depth=1
	s_or_b32 exec_lo, exec_lo, s0
	v_mov_b32_e32 v16, 0
	v_dual_mov_b32 v17, 0 :: v_dual_add_nc_u32 v18, 3, v0
	v_cmp_lt_i32_e32 vcc_lo, 3, v32
	s_delay_alu instid0(VALU_DEP_2)
	v_dual_mov_b32 v10, v16 :: v_dual_mov_b32 v11, v17
	s_and_saveexec_b32 s31, vcc_lo
	s_cbranch_execz .LBB92_17
; %bb.16:                               ;   in Loop: Header=BB92_3 Depth=1
	v_mul_hi_u32 v10, v18, v30
	s_delay_alu instid0(VALU_DEP_1) | instskip(SKIP_1) | instid1(VALU_DEP_2)
	v_mul_lo_u32 v11, v10, s17
	v_add_nc_u32_e32 v19, 1, v10
	v_sub_nc_u32_e32 v11, v18, v11
	s_delay_alu instid0(VALU_DEP_1) | instskip(SKIP_1) | instid1(VALU_DEP_1)
	v_subrev_nc_u32_e32 v20, s17, v11
	v_cmp_le_u32_e64 s0, s17, v11
	v_cndmask_b32_e64 v10, v10, v19, s0
	s_delay_alu instid0(VALU_DEP_3) | instskip(NEXT) | instid1(VALU_DEP_2)
	v_cndmask_b32_e64 v11, v11, v20, s0
	v_add_nc_u32_e32 v19, 1, v10
	s_delay_alu instid0(VALU_DEP_2) | instskip(NEXT) | instid1(VALU_DEP_1)
	v_cmp_le_u32_e64 s0, s17, v11
	v_cndmask_b32_e64 v20, v10, v19, s0
	s_delay_alu instid0(VALU_DEP_1) | instskip(NEXT) | instid1(VALU_DEP_1)
	v_mul_lo_u32 v10, v20, s17
	v_sub_nc_u32_e32 v10, v18, v10
	s_delay_alu instid0(VALU_DEP_1) | instskip(NEXT) | instid1(VALU_DEP_1)
	v_mul_lo_u32 v19, v10, s3
	v_mad_u64_u32 v[10:11], null, v20, s2, v[19:20]
	v_mov_b32_e32 v11, v4
.LBB92_17:                              ;   in Loop: Header=BB92_3 Depth=1
	s_or_b32 exec_lo, exec_lo, s31
	s_and_saveexec_b32 s0, vcc_lo
	s_cbranch_execz .LBB92_19
; %bb.18:                               ;   in Loop: Header=BB92_3 Depth=1
	v_mul_hi_u32 v16, v18, v31
	s_delay_alu instid0(VALU_DEP_1) | instskip(SKIP_1) | instid1(VALU_DEP_2)
	v_mul_lo_u32 v17, v16, s18
	v_add_nc_u32_e32 v19, 1, v16
	v_sub_nc_u32_e32 v17, v18, v17
	s_delay_alu instid0(VALU_DEP_1) | instskip(SKIP_1) | instid1(VALU_DEP_2)
	v_subrev_nc_u32_e32 v20, s18, v17
	v_cmp_le_u32_e32 vcc_lo, s18, v17
	v_dual_cndmask_b32 v16, v16, v19 :: v_dual_cndmask_b32 v17, v17, v20
	s_delay_alu instid0(VALU_DEP_1) | instskip(NEXT) | instid1(VALU_DEP_2)
	v_add_nc_u32_e32 v19, 1, v16
	v_cmp_le_u32_e32 vcc_lo, s18, v17
	s_delay_alu instid0(VALU_DEP_2) | instskip(NEXT) | instid1(VALU_DEP_1)
	v_cndmask_b32_e32 v19, v16, v19, vcc_lo
	v_mul_lo_u32 v16, v19, s18
	s_delay_alu instid0(VALU_DEP_1) | instskip(NEXT) | instid1(VALU_DEP_1)
	v_sub_nc_u32_e32 v16, v18, v16
	v_mul_lo_u32 v18, v16, s11
	s_delay_alu instid0(VALU_DEP_1)
	v_mad_u64_u32 v[16:17], null, v19, s10, v[18:19]
	v_mov_b32_e32 v17, v4
.LBB92_19:                              ;   in Loop: Header=BB92_3 Depth=1
	s_or_b32 exec_lo, exec_lo, s0
	v_lshlrev_b64 v[18:19], 2, v[3:4]
	v_lshlrev_b64 v[12:13], 2, v[12:13]
	;; [unrolled: 1-line block ×4, first 2 shown]
	s_delay_alu instid0(VALU_DEP_4)
	v_add_co_u32 v18, vcc_lo, s8, v18
	v_add_co_ci_u32_e32 v19, vcc_lo, s9, v19, vcc_lo
	v_add_co_u32 v12, vcc_lo, s8, v12
	v_add_co_ci_u32_e32 v13, vcc_lo, s9, v13, vcc_lo
	;; [unrolled: 2-line block ×4, first 2 shown]
	s_clause 0x3
	global_load_b32 v3, v[18:19], off
	global_load_b32 v33, v[12:13], off
	;; [unrolled: 1-line block ×4, first 2 shown]
	s_waitcnt lgkmcnt(0)
	v_dual_mov_b32 v17, s7 :: v_dual_mov_b32 v16, s6
	v_dual_mov_b32 v19, s5 :: v_dual_mov_b32 v18, s4
	s_and_not1_b32 vcc_lo, exec_lo, s19
	s_cbranch_vccnz .LBB92_21
; %bb.20:                               ;   in Loop: Header=BB92_3 Depth=1
	v_dual_mov_b32 v13, s7 :: v_dual_mov_b32 v12, s6
	v_dual_mov_b32 v15, s5 :: v_dual_mov_b32 v14, s4
	flat_load_b64 v[12:13], v[12:13]
	flat_load_b64 v[18:19], v[14:15]
	s_waitcnt vmcnt(1) lgkmcnt(1)
	v_add_co_u32 v16, vcc_lo, v12, s14
	v_add_co_ci_u32_e32 v17, vcc_lo, s15, v13, vcc_lo
.LBB92_21:                              ;   in Loop: Header=BB92_3 Depth=1
	s_delay_alu instid0(VALU_DEP_1)
	v_alignbit_b32 v15, v17, v16, 2
	v_lshrrev_b32_e32 v14, 2, v17
	s_waitcnt vmcnt(0) lgkmcnt(0)
	v_add_nc_u32_e32 v36, 0x9e3779b9, v18
	v_add_nc_u32_e32 v38, 0x76cf5d0a, v19
	;; [unrolled: 1-line block ×3, first 2 shown]
	v_add_co_u32 v17, vcc_lo, v15, 1
	s_delay_alu instid0(VALU_DEP_1) | instskip(SKIP_4) | instid1(VALU_DEP_4)
	v_cndmask_b32_e64 v12, 0, 1, vcc_lo
	v_add_co_ci_u32_e32 v26, vcc_lo, 0, v14, vcc_lo
	v_xor3_b32 v22, v29, v18, v14
	v_add_nc_u32_e32 v40, 0x32370b8f, v19
	v_add_nc_u32_e32 v41, 0xed9eba14, v19
	v_cmp_eq_u32_e32 vcc_lo, 0, v26
	v_add_nc_u32_e32 v42, 0x1715609d, v18
	v_add_nc_u32_e32 v43, 0xa9066899, v19
	s_mov_b32 s0, exec_lo
	v_dual_cndmask_b32 v20, 0, v12 :: v_dual_add_nc_u32 v37, 0xbb67ae85, v19
	v_mad_u64_u32 v[12:13], null, 0xd2511f53, v17, 0
	s_delay_alu instid0(VALU_DEP_2) | instskip(NEXT) | instid1(VALU_DEP_2)
	v_add_nc_u32_e32 v17, v20, v1
	v_xor_b32_e32 v21, v13, v19
	s_delay_alu instid0(VALU_DEP_2) | instskip(SKIP_2) | instid1(VALU_DEP_1)
	v_cmp_eq_u32_e32 vcc_lo, 0, v17
	v_mad_u64_u32 v[13:14], null, 0xd2511f53, v15, 0
	v_cndmask_b32_e32 v20, 0, v20, vcc_lo
	v_xor_b32_e32 v15, v20, v21
	v_mad_u64_u32 v[20:21], null, 0xd2511f53, v22, 0
	v_mad_u64_u32 v[22:23], null, 0xcd9e8d57, v17, 0
	s_delay_alu instid0(VALU_DEP_3) | instskip(SKIP_3) | instid1(VALU_DEP_3)
	v_mad_u64_u32 v[24:25], null, 0xcd9e8d57, v15, 0
	v_xor_b32_e32 v15, v14, v19
	v_add_nc_u32_e32 v17, 0x3c6ef372, v18
	v_xor3_b32 v27, v37, v21, v13
	v_mad_u64_u32 v[13:14], null, 0xcd9e8d57, v15, 0
	v_xor3_b32 v15, v23, v18, v26
	v_xor3_b32 v23, v36, v25, v22
	s_delay_alu instid0(VALU_DEP_4) | instskip(NEXT) | instid1(VALU_DEP_3)
	v_mad_u64_u32 v[21:22], null, 0xcd9e8d57, v27, 0
	v_mad_u64_u32 v[25:26], null, 0xd2511f53, v15, 0
	s_delay_alu instid0(VALU_DEP_3) | instskip(SKIP_1) | instid1(VALU_DEP_4)
	v_mad_u64_u32 v[27:28], null, 0xd2511f53, v23, 0
	v_xor3_b32 v15, v2, v14, v36
	v_xor3_b32 v36, v17, v22, v13
	s_delay_alu instid0(VALU_DEP_4) | instskip(NEXT) | instid1(VALU_DEP_3)
	v_xor3_b32 v12, v37, v26, v12
	v_mad_u64_u32 v[13:14], null, 0xd2511f53, v15, 0
	v_xor3_b32 v15, v38, v28, v25
	s_delay_alu instid0(VALU_DEP_4) | instskip(NEXT) | instid1(VALU_DEP_4)
	v_mad_u64_u32 v[22:23], null, 0xd2511f53, v36, 0
	v_mad_u64_u32 v[25:26], null, 0xcd9e8d57, v12, 0
	s_delay_alu instid0(VALU_DEP_3) | instskip(SKIP_4) | instid1(VALU_DEP_4)
	v_mad_u64_u32 v[36:37], null, 0xcd9e8d57, v15, 0
	v_xor3_b32 v14, v38, v14, v20
	v_add_nc_u32_e32 v28, 0x78dde6e4, v18
	v_xor3_b32 v20, v40, v23, v13
	v_xor3_b32 v17, v17, v26, v24
	v_mad_u64_u32 v[12:13], null, 0xcd9e8d57, v14, 0
	v_xor3_b32 v37, v39, v37, v25
	s_delay_alu instid0(VALU_DEP_4) | instskip(NEXT) | instid1(VALU_DEP_4)
	v_mad_u64_u32 v[14:15], null, 0xcd9e8d57, v20, 0
	v_mad_u64_u32 v[23:24], null, 0xd2511f53, v17, 0
	s_delay_alu instid0(VALU_DEP_3) | instskip(SKIP_1) | instid1(VALU_DEP_4)
	v_mad_u64_u32 v[25:26], null, 0xd2511f53, v37, 0
	v_xor3_b32 v17, v39, v13, v21
	v_xor3_b32 v15, v28, v15, v12
	s_delay_alu instid0(VALU_DEP_2) | instskip(SKIP_2) | instid1(VALU_DEP_4)
	v_mad_u64_u32 v[12:13], null, 0xd2511f53, v17, 0
	v_xor3_b32 v17, v40, v24, v27
	v_xor3_b32 v23, v41, v26, v23
	v_mad_u64_u32 v[26:27], null, 0xd2511f53, v15, 0
	s_delay_alu instid0(VALU_DEP_3) | instskip(NEXT) | instid1(VALU_DEP_3)
	v_mad_u64_u32 v[20:21], null, 0xcd9e8d57, v17, 0
	v_mad_u64_u32 v[37:38], null, 0xcd9e8d57, v23, 0
	v_xor3_b32 v15, v41, v13, v22
	s_delay_alu instid0(VALU_DEP_4) | instskip(SKIP_2) | instid1(VALU_DEP_4)
	v_xor3_b32 v23, v43, v27, v12
	v_add_nc_u32_e32 v17, 0xb54cda56, v18
	v_add_nc_u32_e32 v22, 0x646e171e, v19
	v_mad_u64_u32 v[12:13], null, 0xcd9e8d57, v15, 0
	v_xor3_b32 v15, v28, v21, v36
	v_xor3_b32 v24, v42, v38, v20
	v_mad_u64_u32 v[38:39], null, 0xcd9e8d57, v23, 0
	v_add_nc_u32_e32 v28, 0x5384540f, v18
	s_delay_alu instid0(VALU_DEP_4) | instskip(NEXT) | instid1(VALU_DEP_4)
	v_mad_u64_u32 v[20:21], null, 0xd2511f53, v15, 0
	v_mad_u64_u32 v[40:41], null, 0xd2511f53, v24, 0
	v_xor3_b32 v14, v42, v13, v14
	v_xor3_b32 v15, v17, v39, v12
	v_add_nc_u32_e32 v42, 0x1fd5c5a3, v19
	v_add_co_u32 v36, null, 0xf1bbcdc8, v18
	v_xor3_b32 v23, v43, v21, v25
	v_xor3_b32 v25, v22, v41, v20
	v_mad_u64_u32 v[12:13], null, 0xd2511f53, v14, 0
	v_mad_u64_u32 v[20:21], null, 0xd2511f53, v15, 0
	s_delay_alu instid0(VALU_DEP_4) | instskip(NEXT) | instid1(VALU_DEP_4)
	v_mad_u64_u32 v[14:15], null, 0xcd9e8d57, v23, 0
	v_mad_u64_u32 v[23:24], null, 0xcd9e8d57, v25, 0
	s_delay_alu instid0(VALU_DEP_4) | instskip(NEXT) | instid1(VALU_DEP_4)
	v_xor3_b32 v22, v22, v13, v26
	v_xor3_b32 v25, v42, v21, v12
	s_delay_alu instid0(VALU_DEP_4) | instskip(NEXT) | instid1(VALU_DEP_3)
	v_xor3_b32 v17, v17, v15, v37
	v_mad_u64_u32 v[12:13], null, 0xcd9e8d57, v22, 0
	v_xor3_b32 v24, v28, v24, v14
	s_delay_alu instid0(VALU_DEP_4) | instskip(NEXT) | instid1(VALU_DEP_4)
	v_mad_u64_u32 v[21:22], null, 0xcd9e8d57, v25, 0
	v_mad_u64_u32 v[14:15], null, 0xd2511f53, v17, 0
	s_delay_alu instid0(VALU_DEP_3)
	v_mad_u64_u32 v[26:27], null, 0xd2511f53, v24, 0
	v_add_nc_u32_e32 v37, 0xdb3d7428, v19
	v_xor3_b32 v13, v28, v13, v38
	v_xor3_b32 v17, v36, v22, v12
	v_add_nc_u32_e32 v38, 0x96a522ad, v19
	v_xor3_b32 v15, v42, v15, v40
	v_and_b32_e32 v19, 3, v16
	v_xor3_b32 v22, v37, v27, v14
	v_mad_u64_u32 v[24:25], null, 0xd2511f53, v13, 0
	v_mad_u64_u32 v[12:13], null, 0xd2511f53, v17, 0
	;; [unrolled: 1-line block ×3, first 2 shown]
	s_delay_alu instid0(VALU_DEP_4) | instskip(SKIP_1) | instid1(VALU_DEP_4)
	v_mad_u64_u32 v[14:15], null, 0xcd9e8d57, v22, 0
	v_add_nc_u32_e32 v22, 0x8ff34781, v18
                                        ; implicit-def: $vgpr17
	v_xor3_b32 v18, v13, v24, v38
	s_delay_alu instid0(VALU_DEP_2)
	v_xor3_b32 v13, v15, v27, v22
	v_cmpx_lt_i32_e32 1, v19
	s_xor_b32 s0, exec_lo, s0
	s_cbranch_execz .LBB92_27
; %bb.22:                               ;   in Loop: Header=BB92_3 Depth=1
	s_mov_b32 s31, exec_lo
                                        ; implicit-def: $vgpr17
	v_cmpx_lt_i32_e32 2, v19
	s_xor_b32 s31, exec_lo, s31
; %bb.23:                               ;   in Loop: Header=BB92_3 Depth=1
	v_xor3_b32 v15, v36, v28, v23
                                        ; implicit-def: $vgpr18
	s_delay_alu instid0(VALU_DEP_1) | instskip(NEXT) | instid1(VALU_DEP_1)
	v_mul_hi_u32 v15, 0xd2511f53, v15
	v_xor3_b32 v17, v15, v26, v38
; %bb.24:                               ;   in Loop: Header=BB92_3 Depth=1
	s_and_not1_saveexec_b32 s31, s31
; %bb.25:                               ;   in Loop: Header=BB92_3 Depth=1
	v_dual_mov_b32 v17, v14 :: v_dual_mov_b32 v14, v13
	v_dual_mov_b32 v13, v12 :: v_dual_mov_b32 v12, v18
; %bb.26:                               ;   in Loop: Header=BB92_3 Depth=1
	s_or_b32 exec_lo, exec_lo, s31
                                        ; implicit-def: $vgpr20_vgpr21
                                        ; implicit-def: $vgpr19
                                        ; implicit-def: $vgpr18
                                        ; implicit-def: $vgpr37
                                        ; implicit-def: $vgpr24_vgpr25
                                        ; implicit-def: $vgpr21_vgpr22
                                        ; implicit-def: $vgpr22
.LBB92_27:                              ;   in Loop: Header=BB92_3 Depth=1
	s_and_not1_saveexec_b32 s0, s0
	s_cbranch_execz .LBB92_31
; %bb.28:                               ;   in Loop: Header=BB92_3 Depth=1
	v_xor3_b32 v14, v37, v25, v20
	v_cmp_eq_u32_e32 vcc_lo, 1, v19
	v_mov_b32_e32 v17, v12
	s_delay_alu instid0(VALU_DEP_3) | instskip(SKIP_1) | instid1(VALU_DEP_2)
	v_mad_u64_u32 v[15:16], null, 0xcd9e8d57, v14, 0
	v_mov_b32_e32 v14, v18
	v_xor3_b32 v19, v16, v21, v22
	s_delay_alu instid0(VALU_DEP_3)
	v_mov_b32_e32 v16, v15
	s_and_saveexec_b32 s31, vcc_lo
; %bb.29:                               ;   in Loop: Header=BB92_3 Depth=1
	v_dual_mov_b32 v17, v13 :: v_dual_mov_b32 v14, v12
	v_dual_mov_b32 v16, v18 :: v_dual_mov_b32 v19, v15
; %bb.30:                               ;   in Loop: Header=BB92_3 Depth=1
	s_or_b32 exec_lo, exec_lo, s31
	s_delay_alu instid0(VALU_DEP_1)
	v_dual_mov_b32 v12, v19 :: v_dual_mov_b32 v13, v16
.LBB92_31:                              ;   in Loop: Header=BB92_3 Depth=1
	s_or_b32 exec_lo, exec_lo, s0
	v_min_i32_e32 v15, 4, v32
	s_mov_b32 s31, 0
	s_mov_b32 s38, 0
                                        ; implicit-def: $sgpr33
                                        ; implicit-def: $sgpr34
                                        ; implicit-def: $sgpr35
	s_mov_b32 s0, exec_lo
	s_delay_alu instid0(VALU_DEP_1)
	v_cmpx_lt_i32_e32 2, v15
	s_xor_b32 s36, exec_lo, s0
	s_cbranch_execz .LBB92_41
; %bb.32:                               ;   in Loop: Header=BB92_3 Depth=1
	s_mov_b32 s35, -1
	s_mov_b32 s34, exec_lo
                                        ; implicit-def: $sgpr33
                                        ; implicit-def: $sgpr37
	v_cmpx_lt_i32_e32 3, v15
	s_cbranch_execz .LBB92_36
; %bb.33:                               ;   in Loop: Header=BB92_3 Depth=1
	v_cmp_le_f32_e32 vcc_lo, 0, v35
	v_cmp_ge_f32_e64 s0, 1.0, v35
	s_mov_b32 s33, 0
	s_delay_alu instid0(VALU_DEP_1)
	s_and_b32 s37, vcc_lo, s0
	s_mov_b32 s0, 0
	s_and_saveexec_b32 s35, s37
	s_cbranch_execz .LBB92_35
; %bb.34:                               ;   in Loop: Header=BB92_3 Depth=1
	v_cvt_f32_u32_e32 v16, v17
	v_lshlrev_b64 v[10:11], 1, v[10:11]
	s_mov_b32 s0, exec_lo
	s_delay_alu instid0(VALU_DEP_2) | instskip(NEXT) | instid1(VALU_DEP_2)
	v_fmaak_f32 v16, 0x2f800000, v16, 0x2f800000
	v_add_co_u32 v10, vcc_lo, s12, v10
	s_delay_alu instid0(VALU_DEP_3) | instskip(NEXT) | instid1(VALU_DEP_3)
	v_add_co_ci_u32_e32 v11, vcc_lo, s13, v11, vcc_lo
	v_cmp_le_f32_e32 vcc_lo, v16, v35
	v_cndmask_b32_e64 v16, 0, 0x3c00, vcc_lo
	global_store_b16 v[10:11], v16, off
.LBB92_35:                              ;   in Loop: Header=BB92_3 Depth=1
	s_or_b32 exec_lo, exec_lo, s35
	s_mov_b32 s37, -1
	s_or_not1_b32 s35, s0, exec_lo
.LBB92_36:                              ;   in Loop: Header=BB92_3 Depth=1
	s_or_b32 exec_lo, exec_lo, s34
	s_mov_b32 s0, 0
	s_mov_b32 s38, s33
	s_and_saveexec_b32 s34, s35
	s_cbranch_execz .LBB92_40
; %bb.37:                               ;   in Loop: Header=BB92_3 Depth=1
	v_cmp_le_f32_e32 vcc_lo, 0, v34
	v_cmp_ge_f32_e64 s0, 1.0, v34
	s_delay_alu instid0(VALU_DEP_1) | instskip(SKIP_2) | instid1(SALU_CYCLE_1)
	s_and_b32 s35, vcc_lo, s0
	s_mov_b32 s0, 0
	s_and_saveexec_b32 s38, s35
	s_xor_b32 s35, exec_lo, s38
	s_cbranch_execz .LBB92_39
; %bb.38:                               ;   in Loop: Header=BB92_3 Depth=1
	v_cvt_f32_u32_e32 v10, v14
	v_lshlrev_b64 v[8:9], 1, v[8:9]
	s_mov_b32 s0, exec_lo
	s_delay_alu instid0(VALU_DEP_2) | instskip(NEXT) | instid1(VALU_DEP_2)
	v_fmaak_f32 v10, 0x2f800000, v10, 0x2f800000
	v_add_co_u32 v8, vcc_lo, s12, v8
	s_delay_alu instid0(VALU_DEP_3) | instskip(NEXT) | instid1(VALU_DEP_3)
	v_add_co_ci_u32_e32 v9, vcc_lo, s13, v9, vcc_lo
	v_cmp_le_f32_e32 vcc_lo, v10, v34
	v_cndmask_b32_e64 v10, 0, 0x3c00, vcc_lo
	global_store_b16 v[8:9], v10, off
.LBB92_39:                              ;   in Loop: Header=BB92_3 Depth=1
	s_or_b32 exec_lo, exec_lo, s35
	s_delay_alu instid0(SALU_CYCLE_1)
	s_and_not1_b32 s38, s33, exec_lo
	s_or_b32 s33, s33, exec_lo
	s_and_not1_b32 s37, s37, exec_lo
	s_and_b32 s0, s0, exec_lo
.LBB92_40:                              ;   in Loop: Header=BB92_3 Depth=1
	s_or_b32 exec_lo, exec_lo, s34
	s_delay_alu instid0(SALU_CYCLE_1)
	s_and_b32 s35, s38, exec_lo
	s_and_b32 s34, s33, exec_lo
	;; [unrolled: 1-line block ×4, first 2 shown]
.LBB92_41:                              ;   in Loop: Header=BB92_3 Depth=1
	s_and_not1_saveexec_b32 s0, s36
; %bb.42:                               ;   in Loop: Header=BB92_3 Depth=1
	v_cmp_lt_i32_e32 vcc_lo, 1, v15
	s_and_not1_b32 s36, s38, exec_lo
	s_mov_b32 s31, exec_lo
	s_and_not1_b32 s35, s35, exec_lo
	s_and_not1_b32 s34, s34, exec_lo
	s_and_b32 s37, vcc_lo, exec_lo
	s_and_not1_b32 s33, s33, exec_lo
	s_or_b32 s38, s36, s37
; %bb.43:                               ;   in Loop: Header=BB92_3 Depth=1
	s_or_b32 exec_lo, exec_lo, s0
	s_mov_b32 s36, 0
	s_mov_b32 s0, 0
	;; [unrolled: 1-line block ×3, first 2 shown]
	s_and_saveexec_b32 s39, s38
	s_cbranch_execnz .LBB92_46
; %bb.44:                               ;   in Loop: Header=BB92_3 Depth=1
	s_or_b32 exec_lo, exec_lo, s39
	s_and_saveexec_b32 s38, s31
	s_cbranch_execnz .LBB92_49
.LBB92_45:                              ;   in Loop: Header=BB92_3 Depth=1
	s_or_b32 exec_lo, exec_lo, s38
	s_and_saveexec_b32 s31, s0
	s_cbranch_execnz .LBB92_50
	s_branch .LBB92_53
.LBB92_46:                              ;   in Loop: Header=BB92_3 Depth=1
	v_cmp_le_f32_e32 vcc_lo, 0, v33
	v_cmp_ge_f32_e64 s0, 1.0, v33
	s_delay_alu instid0(VALU_DEP_1) | instskip(SKIP_2) | instid1(SALU_CYCLE_1)
	s_and_b32 s37, vcc_lo, s0
	s_mov_b32 s0, 0
	s_and_saveexec_b32 s38, s37
	s_xor_b32 s37, exec_lo, s38
	s_cbranch_execz .LBB92_48
; %bb.47:                               ;   in Loop: Header=BB92_3 Depth=1
	v_cvt_f32_u32_e32 v8, v13
	v_lshlrev_b64 v[6:7], 1, v[6:7]
	s_mov_b32 s0, exec_lo
	s_delay_alu instid0(VALU_DEP_2) | instskip(NEXT) | instid1(VALU_DEP_2)
	v_fmaak_f32 v8, 0x2f800000, v8, 0x2f800000
	v_add_co_u32 v6, vcc_lo, s12, v6
	s_delay_alu instid0(VALU_DEP_3) | instskip(NEXT) | instid1(VALU_DEP_3)
	v_add_co_ci_u32_e32 v7, vcc_lo, s13, v7, vcc_lo
	v_cmp_le_f32_e32 vcc_lo, v8, v33
	v_cndmask_b32_e64 v8, 0, 0x3c00, vcc_lo
	global_store_b16 v[6:7], v8, off
.LBB92_48:                              ;   in Loop: Header=BB92_3 Depth=1
	s_or_b32 exec_lo, exec_lo, s37
	s_delay_alu instid0(SALU_CYCLE_1)
	s_and_not1_b32 s37, s35, exec_lo
	s_or_b32 s35, s35, exec_lo
	s_and_not1_b32 s34, s34, exec_lo
	s_and_not1_b32 s33, s33, exec_lo
	s_and_b32 s0, s0, exec_lo
	s_and_not1_b32 s31, s31, exec_lo
	s_or_b32 exec_lo, exec_lo, s39
	s_and_saveexec_b32 s38, s31
	s_cbranch_execz .LBB92_45
.LBB92_49:                              ;   in Loop: Header=BB92_3 Depth=1
	v_cmp_eq_u32_e32 vcc_lo, 1, v15
	s_and_not1_b32 s0, s0, exec_lo
	s_mov_b32 s36, exec_lo
	s_and_not1_b32 s37, s37, exec_lo
	s_and_not1_b32 s35, s35, exec_lo
	s_and_b32 s31, vcc_lo, exec_lo
	s_and_not1_b32 s34, s34, exec_lo
	s_and_not1_b32 s33, s33, exec_lo
	s_or_b32 s0, s0, s31
	s_or_b32 exec_lo, exec_lo, s38
	s_and_saveexec_b32 s31, s0
	s_cbranch_execz .LBB92_53
.LBB92_50:                              ;   in Loop: Header=BB92_3 Depth=1
	v_cmp_le_f32_e32 vcc_lo, 0, v3
	v_cmp_ge_f32_e64 s0, 1.0, v3
	s_delay_alu instid0(VALU_DEP_1)
	s_and_b32 s39, vcc_lo, s0
	s_mov_b32 s0, 0
	s_and_saveexec_b32 s38, s39
	s_cbranch_execz .LBB92_52
; %bb.51:                               ;   in Loop: Header=BB92_3 Depth=1
	v_cvt_f32_u32_e32 v7, v12
	v_mov_b32_e32 v6, v4
	s_mov_b32 s0, exec_lo
	s_delay_alu instid0(VALU_DEP_2) | instskip(NEXT) | instid1(VALU_DEP_2)
	v_fmaak_f32 v7, 0x2f800000, v7, 0x2f800000
	v_lshlrev_b64 v[5:6], 1, v[5:6]
	s_delay_alu instid0(VALU_DEP_1) | instskip(NEXT) | instid1(VALU_DEP_2)
	v_add_co_u32 v5, vcc_lo, s12, v5
	v_add_co_ci_u32_e32 v6, vcc_lo, s13, v6, vcc_lo
	s_delay_alu instid0(VALU_DEP_4)
	v_cmp_le_f32_e32 vcc_lo, v7, v3
	v_cndmask_b32_e64 v3, 0, 0x3c00, vcc_lo
	global_store_b16 v[5:6], v3, off
.LBB92_52:                              ;   in Loop: Header=BB92_3 Depth=1
	s_or_b32 exec_lo, exec_lo, s38
	s_delay_alu instid0(SALU_CYCLE_1)
	s_and_not1_b32 s36, s36, exec_lo
	s_and_b32 s0, s0, exec_lo
	s_or_b32 s37, s37, exec_lo
	s_and_not1_b32 s35, s35, exec_lo
	s_and_not1_b32 s34, s34, exec_lo
	;; [unrolled: 1-line block ×3, first 2 shown]
	s_or_b32 s36, s36, s0
.LBB92_53:                              ;   in Loop: Header=BB92_3 Depth=1
	s_or_b32 exec_lo, exec_lo, s31
	s_delay_alu instid0(SALU_CYCLE_1)
	s_and_not1_b32 s30, s30, exec_lo
	s_and_b32 s31, s37, exec_lo
	s_and_not1_b32 s28, s28, exec_lo
	s_and_b32 s35, s35, exec_lo
	s_or_b32 s30, s30, s31
	s_and_not1_b32 s29, s29, exec_lo
	s_and_b32 s31, s34, exec_lo
	s_and_not1_b32 s27, s27, exec_lo
	s_and_b32 s33, s33, exec_lo
	s_mov_b32 s0, -1
	s_or_b32 s28, s28, s35
	s_or_b32 s29, s29, s31
	;; [unrolled: 1-line block ×3, first 2 shown]
	s_and_saveexec_b32 s31, s36
	s_cbranch_execz .LBB92_2
; %bb.54:                               ;   in Loop: Header=BB92_3 Depth=1
	v_add_nc_u32_e32 v0, s24, v0
	v_subrev_nc_u32_e32 v32, s24, v32
	s_and_not1_b32 s30, s30, exec_lo
	s_and_not1_b32 s28, s28, exec_lo
	;; [unrolled: 1-line block ×3, first 2 shown]
	v_cmp_le_u32_e32 vcc_lo, s16, v0
	s_and_not1_b32 s27, s27, exec_lo
	s_or_not1_b32 s0, vcc_lo, exec_lo
	s_branch .LBB92_2
.LBB92_55:
	s_or_b32 exec_lo, exec_lo, s22
	s_xor_b32 s4, s25, -1
	s_xor_b32 s5, s26, -1
	;; [unrolled: 1-line block ×3, first 2 shown]
	s_mov_b32 s2, 0
	s_and_saveexec_b32 s3, s0
	s_delay_alu instid0(SALU_CYCLE_1)
	s_xor_b32 s0, exec_lo, s3
	s_cbranch_execz .LBB92_64
; %bb.56:
	s_mov_b32 s3, 0
	s_and_saveexec_b32 s2, s5
	s_delay_alu instid0(SALU_CYCLE_1)
	s_xor_b32 s2, exec_lo, s2
	s_cbranch_execz .LBB92_62
; %bb.57:
	s_and_saveexec_b32 s5, s4
	s_delay_alu instid0(SALU_CYCLE_1)
	s_xor_b32 s4, exec_lo, s5
	s_cbranch_execz .LBB92_60
; %bb.58:
	s_and_saveexec_b32 s5, s1
	s_delay_alu instid0(SALU_CYCLE_1)
	s_xor_b32 s1, exec_lo, s5
	s_cbranch_execnz .LBB92_78
.LBB92_59:
	s_or_b32 exec_lo, exec_lo, s1
	s_delay_alu instid0(SALU_CYCLE_1)
	s_and_b32 s3, s3, exec_lo
.LBB92_60:
	s_and_not1_saveexec_b32 s1, s4
	s_cbranch_execnz .LBB92_74
.LBB92_61:
	s_or_b32 exec_lo, exec_lo, s1
	s_delay_alu instid0(SALU_CYCLE_1)
	s_and_b32 s3, s3, exec_lo
.LBB92_62:
	s_and_not1_saveexec_b32 s1, s2
	s_cbranch_execnz .LBB92_70
.LBB92_63:
	s_or_b32 exec_lo, exec_lo, s1
	s_delay_alu instid0(SALU_CYCLE_1)
	s_and_b32 s2, s3, exec_lo
.LBB92_64:
	s_and_not1_saveexec_b32 s0, s0
	s_cbranch_execnz .LBB92_68
; %bb.65:
	s_or_b32 exec_lo, exec_lo, s0
	s_delay_alu instid0(SALU_CYCLE_1)
	s_and_b32 exec_lo, exec_lo, s2
.LBB92_66:
	; divergent unreachable
.LBB92_67:
	s_nop 0
	s_sendmsg sendmsg(MSG_DEALLOC_VGPRS)
	s_endpgm
.LBB92_68:
	s_cbranch_execnz .LBB92_72
; %bb.69:
	s_or_b32 s2, s2, exec_lo
	s_or_b32 exec_lo, exec_lo, s0
	s_delay_alu instid0(SALU_CYCLE_1)
	s_and_b32 exec_lo, exec_lo, s2
	s_cbranch_execnz .LBB92_66
	s_branch .LBB92_67
.LBB92_70:
	s_cbranch_execnz .LBB92_76
; %bb.71:
	s_or_b32 s3, s3, exec_lo
	s_branch .LBB92_63
.LBB92_72:
	s_trap 2
	s_sendmsg_rtn_b32 s0, sendmsg(MSG_RTN_GET_DOORBELL)
	s_mov_b32 ttmp2, m0
	s_waitcnt lgkmcnt(0)
	s_and_b32 s0, s0, 0x3ff
	s_delay_alu instid0(SALU_CYCLE_1) | instskip(NEXT) | instid1(SALU_CYCLE_1)
	s_bitset1_b32 s0, 10
	s_mov_b32 m0, s0
	s_sendmsg sendmsg(MSG_INTERRUPT)
	s_mov_b32 m0, ttmp2
.LBB92_73:                              ; =>This Inner Loop Header: Depth=1
	s_sethalt 5
	s_branch .LBB92_73
.LBB92_74:
	s_cbranch_execnz .LBB92_80
; %bb.75:
	s_or_b32 s3, s3, exec_lo
	s_branch .LBB92_61
.LBB92_76:
	s_trap 2
	s_sendmsg_rtn_b32 s0, sendmsg(MSG_RTN_GET_DOORBELL)
	s_mov_b32 ttmp2, m0
	s_waitcnt lgkmcnt(0)
	s_and_b32 s0, s0, 0x3ff
	s_delay_alu instid0(SALU_CYCLE_1) | instskip(NEXT) | instid1(SALU_CYCLE_1)
	s_bitset1_b32 s0, 10
	s_mov_b32 m0, s0
	s_sendmsg sendmsg(MSG_INTERRUPT)
	s_mov_b32 m0, ttmp2
.LBB92_77:                              ; =>This Inner Loop Header: Depth=1
	s_sethalt 5
	s_branch .LBB92_77
.LBB92_78:
	s_cbranch_execnz .LBB92_82
; %bb.79:
	s_mov_b32 s3, exec_lo
	s_branch .LBB92_59
.LBB92_80:
	s_trap 2
	s_sendmsg_rtn_b32 s0, sendmsg(MSG_RTN_GET_DOORBELL)
	s_mov_b32 ttmp2, m0
	s_waitcnt lgkmcnt(0)
	s_and_b32 s0, s0, 0x3ff
	s_delay_alu instid0(SALU_CYCLE_1) | instskip(NEXT) | instid1(SALU_CYCLE_1)
	s_bitset1_b32 s0, 10
	s_mov_b32 m0, s0
	s_sendmsg sendmsg(MSG_INTERRUPT)
	s_mov_b32 m0, ttmp2
.LBB92_81:                              ; =>This Inner Loop Header: Depth=1
	s_sethalt 5
	s_branch .LBB92_81
.LBB92_82:
	s_trap 2
	s_sendmsg_rtn_b32 s0, sendmsg(MSG_RTN_GET_DOORBELL)
	s_mov_b32 ttmp2, m0
	s_waitcnt lgkmcnt(0)
	s_and_b32 s0, s0, 0x3ff
	s_delay_alu instid0(SALU_CYCLE_1) | instskip(NEXT) | instid1(SALU_CYCLE_1)
	s_bitset1_b32 s0, 10
	s_mov_b32 m0, s0
	s_sendmsg sendmsg(MSG_INTERRUPT)
	s_mov_b32 m0, ttmp2
.LBB92_83:                              ; =>This Inner Loop Header: Depth=1
	s_sethalt 5
	s_branch .LBB92_83
	.section	.rodata,"a",@progbits
	.p2align	6, 0x0
	.amdhsa_kernel _ZN2at4cuda12_GLOBAL__N_121kernelPointwiseApply2IZNS_6native9templates4cuda28bernoulli_tensor_cuda_kernelIN3c104HalfEfEEvRKNS_10TensorBaseESB_NS_15PhiloxCudaStateEEUliRS8_SD_SD_SD_RKfSF_SF_SF_E_S8_SE_jLi2ELi2ELi4ELi512ELi2EEEvNS0_6detail10TensorInfoIT0_T2_EENSI_IT1_SK_EESK_T_
		.amdhsa_group_segment_fixed_size 0
		.amdhsa_private_segment_fixed_size 0
		.amdhsa_kernarg_size 728
		.amdhsa_user_sgpr_count 15
		.amdhsa_user_sgpr_dispatch_ptr 0
		.amdhsa_user_sgpr_queue_ptr 0
		.amdhsa_user_sgpr_kernarg_segment_ptr 1
		.amdhsa_user_sgpr_dispatch_id 0
		.amdhsa_user_sgpr_private_segment_size 0
		.amdhsa_wavefront_size32 1
		.amdhsa_uses_dynamic_stack 0
		.amdhsa_enable_private_segment 0
		.amdhsa_system_sgpr_workgroup_id_x 1
		.amdhsa_system_sgpr_workgroup_id_y 0
		.amdhsa_system_sgpr_workgroup_id_z 0
		.amdhsa_system_sgpr_workgroup_info 0
		.amdhsa_system_vgpr_workitem_id 0
		.amdhsa_next_free_vgpr 44
		.amdhsa_next_free_sgpr 40
		.amdhsa_reserve_vcc 1
		.amdhsa_float_round_mode_32 0
		.amdhsa_float_round_mode_16_64 0
		.amdhsa_float_denorm_mode_32 3
		.amdhsa_float_denorm_mode_16_64 3
		.amdhsa_dx10_clamp 1
		.amdhsa_ieee_mode 1
		.amdhsa_fp16_overflow 0
		.amdhsa_workgroup_processor_mode 1
		.amdhsa_memory_ordered 1
		.amdhsa_forward_progress 0
		.amdhsa_shared_vgpr_count 0
		.amdhsa_exception_fp_ieee_invalid_op 0
		.amdhsa_exception_fp_denorm_src 0
		.amdhsa_exception_fp_ieee_div_zero 0
		.amdhsa_exception_fp_ieee_overflow 0
		.amdhsa_exception_fp_ieee_underflow 0
		.amdhsa_exception_fp_ieee_inexact 0
		.amdhsa_exception_int_div_zero 0
	.end_amdhsa_kernel
	.section	.text._ZN2at4cuda12_GLOBAL__N_121kernelPointwiseApply2IZNS_6native9templates4cuda28bernoulli_tensor_cuda_kernelIN3c104HalfEfEEvRKNS_10TensorBaseESB_NS_15PhiloxCudaStateEEUliRS8_SD_SD_SD_RKfSF_SF_SF_E_S8_SE_jLi2ELi2ELi4ELi512ELi2EEEvNS0_6detail10TensorInfoIT0_T2_EENSI_IT1_SK_EESK_T_,"axG",@progbits,_ZN2at4cuda12_GLOBAL__N_121kernelPointwiseApply2IZNS_6native9templates4cuda28bernoulli_tensor_cuda_kernelIN3c104HalfEfEEvRKNS_10TensorBaseESB_NS_15PhiloxCudaStateEEUliRS8_SD_SD_SD_RKfSF_SF_SF_E_S8_SE_jLi2ELi2ELi4ELi512ELi2EEEvNS0_6detail10TensorInfoIT0_T2_EENSI_IT1_SK_EESK_T_,comdat
.Lfunc_end92:
	.size	_ZN2at4cuda12_GLOBAL__N_121kernelPointwiseApply2IZNS_6native9templates4cuda28bernoulli_tensor_cuda_kernelIN3c104HalfEfEEvRKNS_10TensorBaseESB_NS_15PhiloxCudaStateEEUliRS8_SD_SD_SD_RKfSF_SF_SF_E_S8_SE_jLi2ELi2ELi4ELi512ELi2EEEvNS0_6detail10TensorInfoIT0_T2_EENSI_IT1_SK_EESK_T_, .Lfunc_end92-_ZN2at4cuda12_GLOBAL__N_121kernelPointwiseApply2IZNS_6native9templates4cuda28bernoulli_tensor_cuda_kernelIN3c104HalfEfEEvRKNS_10TensorBaseESB_NS_15PhiloxCudaStateEEUliRS8_SD_SD_SD_RKfSF_SF_SF_E_S8_SE_jLi2ELi2ELi4ELi512ELi2EEEvNS0_6detail10TensorInfoIT0_T2_EENSI_IT1_SK_EESK_T_
                                        ; -- End function
	.section	.AMDGPU.csdata,"",@progbits
; Kernel info:
; codeLenInByte = 4252
; NumSgprs: 42
; NumVgprs: 44
; ScratchSize: 0
; MemoryBound: 0
; FloatMode: 240
; IeeeMode: 1
; LDSByteSize: 0 bytes/workgroup (compile time only)
; SGPRBlocks: 5
; VGPRBlocks: 5
; NumSGPRsForWavesPerEU: 42
; NumVGPRsForWavesPerEU: 44
; Occupancy: 16
; WaveLimiterHint : 1
; COMPUTE_PGM_RSRC2:SCRATCH_EN: 0
; COMPUTE_PGM_RSRC2:USER_SGPR: 15
; COMPUTE_PGM_RSRC2:TRAP_HANDLER: 0
; COMPUTE_PGM_RSRC2:TGID_X_EN: 1
; COMPUTE_PGM_RSRC2:TGID_Y_EN: 0
; COMPUTE_PGM_RSRC2:TGID_Z_EN: 0
; COMPUTE_PGM_RSRC2:TIDIG_COMP_CNT: 0
	.section	.text._ZN2at4cuda12_GLOBAL__N_121kernelPointwiseApply2IZNS_6native9templates4cuda28bernoulli_tensor_cuda_kernelIN3c104HalfEfEEvRKNS_10TensorBaseESB_NS_15PhiloxCudaStateEEUliRS8_SD_SD_SD_RKfSF_SF_SF_E_S8_SE_jLi2ELin1ELi4ELi512ELi2EEEvNS0_6detail10TensorInfoIT0_T2_EENSI_IT1_SK_EESK_T_,"axG",@progbits,_ZN2at4cuda12_GLOBAL__N_121kernelPointwiseApply2IZNS_6native9templates4cuda28bernoulli_tensor_cuda_kernelIN3c104HalfEfEEvRKNS_10TensorBaseESB_NS_15PhiloxCudaStateEEUliRS8_SD_SD_SD_RKfSF_SF_SF_E_S8_SE_jLi2ELin1ELi4ELi512ELi2EEEvNS0_6detail10TensorInfoIT0_T2_EENSI_IT1_SK_EESK_T_,comdat
	.globl	_ZN2at4cuda12_GLOBAL__N_121kernelPointwiseApply2IZNS_6native9templates4cuda28bernoulli_tensor_cuda_kernelIN3c104HalfEfEEvRKNS_10TensorBaseESB_NS_15PhiloxCudaStateEEUliRS8_SD_SD_SD_RKfSF_SF_SF_E_S8_SE_jLi2ELin1ELi4ELi512ELi2EEEvNS0_6detail10TensorInfoIT0_T2_EENSI_IT1_SK_EESK_T_ ; -- Begin function _ZN2at4cuda12_GLOBAL__N_121kernelPointwiseApply2IZNS_6native9templates4cuda28bernoulli_tensor_cuda_kernelIN3c104HalfEfEEvRKNS_10TensorBaseESB_NS_15PhiloxCudaStateEEUliRS8_SD_SD_SD_RKfSF_SF_SF_E_S8_SE_jLi2ELin1ELi4ELi512ELi2EEEvNS0_6detail10TensorInfoIT0_T2_EENSI_IT1_SK_EESK_T_
	.p2align	8
	.type	_ZN2at4cuda12_GLOBAL__N_121kernelPointwiseApply2IZNS_6native9templates4cuda28bernoulli_tensor_cuda_kernelIN3c104HalfEfEEvRKNS_10TensorBaseESB_NS_15PhiloxCudaStateEEUliRS8_SD_SD_SD_RKfSF_SF_SF_E_S8_SE_jLi2ELin1ELi4ELi512ELi2EEEvNS0_6detail10TensorInfoIT0_T2_EENSI_IT1_SK_EESK_T_,@function
_ZN2at4cuda12_GLOBAL__N_121kernelPointwiseApply2IZNS_6native9templates4cuda28bernoulli_tensor_cuda_kernelIN3c104HalfEfEEvRKNS_10TensorBaseESB_NS_15PhiloxCudaStateEEUliRS8_SD_SD_SD_RKfSF_SF_SF_E_S8_SE_jLi2ELin1ELi4ELi512ELi2EEEvNS0_6detail10TensorInfoIT0_T2_EENSI_IT1_SK_EESK_T_: ; @_ZN2at4cuda12_GLOBAL__N_121kernelPointwiseApply2IZNS_6native9templates4cuda28bernoulli_tensor_cuda_kernelIN3c104HalfEfEEvRKNS_10TensorBaseESB_NS_15PhiloxCudaStateEEUliRS8_SD_SD_SD_RKfSF_SF_SF_E_S8_SE_jLi2ELin1ELi4ELi512ELi2EEEvNS0_6detail10TensorInfoIT0_T2_EENSI_IT1_SK_EESK_T_
; %bb.0:
	s_clause 0x1
	s_load_b32 s2, s[0:1], 0x1e4
	s_load_b32 s18, s[0:1], 0x1b0
	s_add_u32 s4, s0, 0x1d8
	s_addc_u32 s5, s1, 0
	s_waitcnt lgkmcnt(0)
	s_and_b32 s14, s2, 0xffff
	s_mov_b32 s2, exec_lo
	v_mad_u64_u32 v[1:2], null, s15, s14, v[0:1]
	s_delay_alu instid0(VALU_DEP_1) | instskip(NEXT) | instid1(VALU_DEP_1)
	v_lshlrev_b32_e32 v27, 2, v1
	v_cmpx_gt_u32_e64 s18, v27
	s_cbranch_execz .LBB93_81
; %bb.1:
	s_clause 0x4
	s_load_b32 s19, s[0:1], 0xc
	s_load_b32 s16, s[0:1], 0x1a8
	;; [unrolled: 1-line block ×3, first 2 shown]
	s_load_b64 s[2:3], s[0:1], 0x6c
	s_load_b64 s[8:9], s[0:1], 0xd8
	s_add_u32 s17, s0, 0xd8
	s_load_b32 s15, s[4:5], 0x0
	s_load_b32 s20, s[0:1], 0x144
	s_addc_u32 s23, s1, 0
	s_load_b64 s[10:11], s[0:1], 0x0
	v_mad_u64_u32 v[2:3], null, 0xcd9e8d57, v1, 0
                                        ; implicit-def: $sgpr26
                                        ; implicit-def: $sgpr28
                                        ; implicit-def: $sgpr27
                                        ; implicit-def: $sgpr29
                                        ; implicit-def: $sgpr31
                                        ; implicit-def: $sgpr30
                                        ; implicit-def: $sgpr33
	s_delay_alu instid0(VALU_DEP_1)
	v_mov_b32_e32 v28, v3
	s_waitcnt lgkmcnt(0)
	v_cvt_f32_u32_e32 v0, s19
	s_cmp_gt_i32 s16, 1
	s_cselect_b32 s21, -1, 0
	s_bitcmp1_b32 s6, 0
	s_delay_alu instid0(VALU_DEP_1)
	v_rcp_iflag_f32_e32 v0, v0
	s_cselect_b32 s22, -1, 0
	s_sub_i32 s4, 0, s19
	s_mul_i32 s15, s15, s14
	s_add_i32 s25, s16, 1
	s_lshl_b32 s24, s15, 2
	s_waitcnt_depctr 0xfff
	v_mul_f32_e32 v0, 0x4f7ffffe, v0
	s_delay_alu instid0(VALU_DEP_1) | instskip(NEXT) | instid1(VALU_DEP_1)
	v_cvt_u32_f32_e32 v0, v0
	v_mul_lo_u32 v5, s4, v0
	s_clause 0x1
	s_load_b64 s[12:13], s[0:1], 0x1c8
	s_load_b128 s[4:7], s[0:1], 0x1b8
	s_mov_b32 s1, 0
	s_add_i32 s0, s16, -1
	s_delay_alu instid0(SALU_CYCLE_1) | instskip(NEXT) | instid1(SALU_CYCLE_1)
	s_lshl_b64 s[14:15], s[0:1], 2
	s_add_u32 s0, s14, s17
	v_mul_hi_u32 v5, v0, v5
	v_mov_b32_e32 v4, 0
	s_addc_u32 s15, s15, s23
	s_add_u32 s14, s0, 8
	s_addc_u32 s15, s15, 0
                                        ; implicit-def: $sgpr23
	s_delay_alu instid0(VALU_DEP_2)
	v_add_nc_u32_e32 v29, v0, v5
	s_branch .LBB93_3
.LBB93_2:                               ;   in Loop: Header=BB93_3 Depth=1
	s_or_b32 exec_lo, exec_lo, s16
	s_delay_alu instid0(SALU_CYCLE_1) | instskip(NEXT) | instid1(SALU_CYCLE_1)
	s_and_b32 s0, exec_lo, s0
	s_or_b32 s1, s0, s1
	s_and_not1_b32 s0, s23, exec_lo
	s_and_b32 s16, s33, exec_lo
	s_and_not1_b32 s17, s27, exec_lo
	s_and_b32 s27, s30, exec_lo
	s_or_b32 s23, s0, s16
	s_or_b32 s27, s17, s27
	s_and_not1_b32 s0, s28, exec_lo
	s_and_b32 s16, s31, exec_lo
	s_and_not1_b32 s17, s26, exec_lo
	s_and_b32 s26, s29, exec_lo
	s_or_b32 s28, s0, s16
	s_or_b32 s26, s17, s26
	s_and_not1_b32 exec_lo, exec_lo, s1
	s_cbranch_execz .LBB93_69
.LBB93_3:                               ; =>This Loop Header: Depth=1
                                        ;     Child Loop BB93_8 Depth 2
                                        ;     Child Loop BB93_15 Depth 2
	;; [unrolled: 1-line block ×4, first 2 shown]
	v_sub_nc_u32_e32 v30, s18, v27
	v_mov_b32_e32 v5, 0
	s_delay_alu instid0(VALU_DEP_2)
	v_cmp_lt_i32_e32 vcc_lo, 0, v30
	s_and_saveexec_b32 s16, vcc_lo
	s_cbranch_execz .LBB93_5
; %bb.4:                                ;   in Loop: Header=BB93_3 Depth=1
	v_mul_hi_u32 v0, v27, v29
	s_delay_alu instid0(VALU_DEP_1) | instskip(SKIP_1) | instid1(VALU_DEP_2)
	v_mul_lo_u32 v3, v0, s19
	v_add_nc_u32_e32 v5, 1, v0
	v_sub_nc_u32_e32 v3, v27, v3
	s_delay_alu instid0(VALU_DEP_1) | instskip(SKIP_1) | instid1(VALU_DEP_1)
	v_subrev_nc_u32_e32 v6, s19, v3
	v_cmp_le_u32_e64 s0, s19, v3
	v_cndmask_b32_e64 v0, v0, v5, s0
	s_delay_alu instid0(VALU_DEP_3) | instskip(NEXT) | instid1(VALU_DEP_2)
	v_cndmask_b32_e64 v3, v3, v6, s0
	v_add_nc_u32_e32 v5, 1, v0
	s_delay_alu instid0(VALU_DEP_2) | instskip(NEXT) | instid1(VALU_DEP_1)
	v_cmp_le_u32_e64 s0, s19, v3
	v_cndmask_b32_e64 v3, v0, v5, s0
	s_delay_alu instid0(VALU_DEP_1) | instskip(NEXT) | instid1(VALU_DEP_1)
	v_mul_lo_u32 v0, v3, s19
	v_sub_nc_u32_e32 v0, v27, v0
	s_delay_alu instid0(VALU_DEP_1) | instskip(NEXT) | instid1(VALU_DEP_1)
	v_mul_lo_u32 v0, v0, s3
	v_mad_u64_u32 v[5:6], null, v3, s2, v[0:1]
.LBB93_5:                               ;   in Loop: Header=BB93_3 Depth=1
	s_or_b32 exec_lo, exec_lo, s16
	v_mov_b32_e32 v3, 0
	s_and_saveexec_b32 s0, vcc_lo
	s_cbranch_execz .LBB93_10
; %bb.6:                                ;   in Loop: Header=BB93_3 Depth=1
	v_dual_mov_b32 v0, 0 :: v_dual_mov_b32 v3, v27
	s_and_not1_b32 vcc_lo, exec_lo, s21
	s_cbranch_vccnz .LBB93_9
; %bb.7:                                ;   in Loop: Header=BB93_3 Depth=1
	v_dual_mov_b32 v0, 0 :: v_dual_mov_b32 v3, v27
	s_mov_b64 s[16:17], s[14:15]
	s_mov_b32 s34, s25
	s_set_inst_prefetch_distance 0x1
	.p2align	6
.LBB93_8:                               ;   Parent Loop BB93_3 Depth=1
                                        ; =>  This Inner Loop Header: Depth=2
	s_clause 0x1
	s_load_b32 s35, s[16:17], 0x0
	s_load_b32 s36, s[16:17], 0x64
	s_add_i32 s34, s34, -1
	s_waitcnt lgkmcnt(0)
	v_cvt_f32_u32_e32 v6, s35
	s_sub_i32 s37, 0, s35
	s_add_u32 s16, s16, -4
	s_addc_u32 s17, s17, -1
	s_cmp_gt_u32 s34, 2
	v_rcp_iflag_f32_e32 v6, v6
	s_waitcnt_depctr 0xfff
	v_mul_f32_e32 v6, 0x4f7ffffe, v6
	s_delay_alu instid0(VALU_DEP_1) | instskip(NEXT) | instid1(VALU_DEP_1)
	v_cvt_u32_f32_e32 v6, v6
	v_mul_lo_u32 v7, s37, v6
	s_delay_alu instid0(VALU_DEP_1) | instskip(NEXT) | instid1(VALU_DEP_1)
	v_mul_hi_u32 v7, v6, v7
	v_dual_mov_b32 v8, v3 :: v_dual_add_nc_u32 v3, v6, v7
	s_delay_alu instid0(VALU_DEP_1) | instskip(NEXT) | instid1(VALU_DEP_1)
	v_mul_hi_u32 v3, v8, v3
	v_mul_lo_u32 v6, v3, s35
	v_add_nc_u32_e32 v7, 1, v3
	s_delay_alu instid0(VALU_DEP_2) | instskip(NEXT) | instid1(VALU_DEP_1)
	v_sub_nc_u32_e32 v6, v8, v6
	v_subrev_nc_u32_e32 v9, s35, v6
	v_cmp_le_u32_e32 vcc_lo, s35, v6
	s_delay_alu instid0(VALU_DEP_2) | instskip(NEXT) | instid1(VALU_DEP_1)
	v_dual_cndmask_b32 v3, v3, v7 :: v_dual_cndmask_b32 v6, v6, v9
	v_add_nc_u32_e32 v7, 1, v3
	s_delay_alu instid0(VALU_DEP_2) | instskip(NEXT) | instid1(VALU_DEP_2)
	v_cmp_le_u32_e32 vcc_lo, s35, v6
	v_cndmask_b32_e32 v3, v3, v7, vcc_lo
	s_delay_alu instid0(VALU_DEP_1) | instskip(NEXT) | instid1(VALU_DEP_1)
	v_mul_lo_u32 v6, v3, s35
	v_sub_nc_u32_e32 v8, v8, v6
	s_delay_alu instid0(VALU_DEP_1) | instskip(NEXT) | instid1(VALU_DEP_1)
	v_mad_u64_u32 v[6:7], null, s36, v8, v[0:1]
	v_mov_b32_e32 v0, v6
	s_cbranch_scc1 .LBB93_8
.LBB93_9:                               ;   in Loop: Header=BB93_3 Depth=1
	s_set_inst_prefetch_distance 0x2
	s_delay_alu instid0(VALU_DEP_1) | instskip(NEXT) | instid1(VALU_DEP_1)
	v_mad_u64_u32 v[6:7], null, s20, v3, v[0:1]
	v_mov_b32_e32 v3, v6
.LBB93_10:                              ;   in Loop: Header=BB93_3 Depth=1
	s_or_b32 exec_lo, exec_lo, s0
	v_or_b32_e32 v8, 1, v27
	v_cmp_lt_i32_e32 vcc_lo, 1, v30
	v_mov_b32_e32 v10, 0
	v_mov_b32_e32 v6, 0
	s_and_saveexec_b32 s16, vcc_lo
	s_cbranch_execz .LBB93_12
; %bb.11:                               ;   in Loop: Header=BB93_3 Depth=1
	v_mul_hi_u32 v0, v8, v29
	s_delay_alu instid0(VALU_DEP_1) | instskip(SKIP_1) | instid1(VALU_DEP_2)
	v_mul_lo_u32 v6, v0, s19
	v_add_nc_u32_e32 v7, 1, v0
	v_sub_nc_u32_e32 v6, v8, v6
	s_delay_alu instid0(VALU_DEP_1) | instskip(SKIP_1) | instid1(VALU_DEP_1)
	v_subrev_nc_u32_e32 v9, s19, v6
	v_cmp_le_u32_e64 s0, s19, v6
	v_cndmask_b32_e64 v0, v0, v7, s0
	s_delay_alu instid0(VALU_DEP_3) | instskip(NEXT) | instid1(VALU_DEP_2)
	v_cndmask_b32_e64 v6, v6, v9, s0
	v_add_nc_u32_e32 v7, 1, v0
	s_delay_alu instid0(VALU_DEP_2) | instskip(NEXT) | instid1(VALU_DEP_1)
	v_cmp_le_u32_e64 s0, s19, v6
	v_cndmask_b32_e64 v9, v0, v7, s0
	s_delay_alu instid0(VALU_DEP_1) | instskip(NEXT) | instid1(VALU_DEP_1)
	v_mul_lo_u32 v0, v9, s19
	v_sub_nc_u32_e32 v0, v8, v0
	s_delay_alu instid0(VALU_DEP_1) | instskip(NEXT) | instid1(VALU_DEP_1)
	v_mul_lo_u32 v0, v0, s3
	v_mad_u64_u32 v[6:7], null, v9, s2, v[0:1]
.LBB93_12:                              ;   in Loop: Header=BB93_3 Depth=1
	s_or_b32 exec_lo, exec_lo, s16
	s_and_saveexec_b32 s0, vcc_lo
	s_cbranch_execz .LBB93_17
; %bb.13:                               ;   in Loop: Header=BB93_3 Depth=1
	v_mov_b32_e32 v0, 0
	s_and_not1_b32 vcc_lo, exec_lo, s21
	s_cbranch_vccnz .LBB93_16
; %bb.14:                               ;   in Loop: Header=BB93_3 Depth=1
	v_mov_b32_e32 v0, 0
	s_mov_b64 s[16:17], s[14:15]
	s_mov_b32 s34, s25
	s_set_inst_prefetch_distance 0x1
	.p2align	6
.LBB93_15:                              ;   Parent Loop BB93_3 Depth=1
                                        ; =>  This Inner Loop Header: Depth=2
	s_clause 0x1
	s_load_b32 s35, s[16:17], 0x0
	s_load_b32 s36, s[16:17], 0x64
	s_add_i32 s34, s34, -1
	v_mov_b32_e32 v10, v8
	s_waitcnt lgkmcnt(0)
	v_cvt_f32_u32_e32 v7, s35
	s_sub_i32 s37, 0, s35
	s_add_u32 s16, s16, -4
	s_addc_u32 s17, s17, -1
	s_cmp_gt_u32 s34, 2
	v_rcp_iflag_f32_e32 v7, v7
	s_waitcnt_depctr 0xfff
	v_mul_f32_e32 v7, 0x4f7ffffe, v7
	s_delay_alu instid0(VALU_DEP_1) | instskip(NEXT) | instid1(VALU_DEP_1)
	v_cvt_u32_f32_e32 v7, v7
	v_mul_lo_u32 v9, s37, v7
	s_delay_alu instid0(VALU_DEP_1) | instskip(NEXT) | instid1(VALU_DEP_1)
	v_mul_hi_u32 v9, v7, v9
	v_add_nc_u32_e32 v7, v7, v9
	s_delay_alu instid0(VALU_DEP_1) | instskip(NEXT) | instid1(VALU_DEP_1)
	v_mul_hi_u32 v7, v10, v7
	v_mul_lo_u32 v8, v7, s35
	v_add_nc_u32_e32 v9, 1, v7
	s_delay_alu instid0(VALU_DEP_2) | instskip(NEXT) | instid1(VALU_DEP_1)
	v_sub_nc_u32_e32 v8, v10, v8
	v_subrev_nc_u32_e32 v11, s35, v8
	v_cmp_le_u32_e32 vcc_lo, s35, v8
	s_delay_alu instid0(VALU_DEP_2) | instskip(NEXT) | instid1(VALU_DEP_1)
	v_dual_cndmask_b32 v8, v8, v11 :: v_dual_cndmask_b32 v7, v7, v9
	v_cmp_le_u32_e32 vcc_lo, s35, v8
	s_delay_alu instid0(VALU_DEP_2) | instskip(NEXT) | instid1(VALU_DEP_1)
	v_add_nc_u32_e32 v9, 1, v7
	v_cndmask_b32_e32 v8, v7, v9, vcc_lo
	s_delay_alu instid0(VALU_DEP_1) | instskip(NEXT) | instid1(VALU_DEP_1)
	v_mul_lo_u32 v7, v8, s35
	v_sub_nc_u32_e32 v7, v10, v7
	s_delay_alu instid0(VALU_DEP_1) | instskip(NEXT) | instid1(VALU_DEP_1)
	v_mad_u64_u32 v[9:10], null, s36, v7, v[0:1]
	v_mov_b32_e32 v0, v9
	s_cbranch_scc1 .LBB93_15
.LBB93_16:                              ;   in Loop: Header=BB93_3 Depth=1
	s_set_inst_prefetch_distance 0x2
	s_delay_alu instid0(VALU_DEP_1)
	v_mad_u64_u32 v[10:11], null, s20, v8, v[0:1]
.LBB93_17:                              ;   in Loop: Header=BB93_3 Depth=1
	s_or_b32 exec_lo, exec_lo, s0
	v_or_b32_e32 v9, 2, v27
	v_cmp_lt_i32_e32 vcc_lo, 2, v30
	v_mov_b32_e32 v7, 0
	s_and_saveexec_b32 s16, vcc_lo
	s_cbranch_execz .LBB93_19
; %bb.18:                               ;   in Loop: Header=BB93_3 Depth=1
	v_mul_hi_u32 v0, v9, v29
	s_delay_alu instid0(VALU_DEP_1) | instskip(SKIP_1) | instid1(VALU_DEP_2)
	v_mul_lo_u32 v7, v0, s19
	v_add_nc_u32_e32 v8, 1, v0
	v_sub_nc_u32_e32 v7, v9, v7
	s_delay_alu instid0(VALU_DEP_1) | instskip(SKIP_1) | instid1(VALU_DEP_1)
	v_subrev_nc_u32_e32 v11, s19, v7
	v_cmp_le_u32_e64 s0, s19, v7
	v_cndmask_b32_e64 v0, v0, v8, s0
	s_delay_alu instid0(VALU_DEP_3) | instskip(NEXT) | instid1(VALU_DEP_2)
	v_cndmask_b32_e64 v7, v7, v11, s0
	v_add_nc_u32_e32 v8, 1, v0
	s_delay_alu instid0(VALU_DEP_2) | instskip(NEXT) | instid1(VALU_DEP_1)
	v_cmp_le_u32_e64 s0, s19, v7
	v_cndmask_b32_e64 v11, v0, v8, s0
	s_delay_alu instid0(VALU_DEP_1) | instskip(NEXT) | instid1(VALU_DEP_1)
	v_mul_lo_u32 v0, v11, s19
	v_sub_nc_u32_e32 v0, v9, v0
	s_delay_alu instid0(VALU_DEP_1) | instskip(NEXT) | instid1(VALU_DEP_1)
	v_mul_lo_u32 v0, v0, s3
	v_mad_u64_u32 v[7:8], null, v11, s2, v[0:1]
.LBB93_19:                              ;   in Loop: Header=BB93_3 Depth=1
	s_or_b32 exec_lo, exec_lo, s16
	v_mov_b32_e32 v12, 0
	v_mov_b32_e32 v13, 0
	s_and_saveexec_b32 s0, vcc_lo
	s_cbranch_execz .LBB93_24
; %bb.20:                               ;   in Loop: Header=BB93_3 Depth=1
	v_mov_b32_e32 v0, 0
	s_and_not1_b32 vcc_lo, exec_lo, s21
	s_cbranch_vccnz .LBB93_23
; %bb.21:                               ;   in Loop: Header=BB93_3 Depth=1
	v_mov_b32_e32 v0, 0
	s_mov_b64 s[16:17], s[14:15]
	s_mov_b32 s34, s25
	s_set_inst_prefetch_distance 0x1
	.p2align	6
.LBB93_22:                              ;   Parent Loop BB93_3 Depth=1
                                        ; =>  This Inner Loop Header: Depth=2
	s_clause 0x1
	s_load_b32 s35, s[16:17], 0x0
	s_load_b32 s36, s[16:17], 0x64
	v_mov_b32_e32 v12, v9
	s_add_i32 s34, s34, -1
	s_waitcnt lgkmcnt(0)
	v_cvt_f32_u32_e32 v8, s35
	s_sub_i32 s37, 0, s35
	s_add_u32 s16, s16, -4
	s_addc_u32 s17, s17, -1
	s_cmp_gt_u32 s34, 2
	v_rcp_iflag_f32_e32 v8, v8
	s_waitcnt_depctr 0xfff
	v_mul_f32_e32 v8, 0x4f7ffffe, v8
	s_delay_alu instid0(VALU_DEP_1) | instskip(NEXT) | instid1(VALU_DEP_1)
	v_cvt_u32_f32_e32 v8, v8
	v_mul_lo_u32 v11, s37, v8
	s_delay_alu instid0(VALU_DEP_1) | instskip(NEXT) | instid1(VALU_DEP_1)
	v_mul_hi_u32 v11, v8, v11
	v_add_nc_u32_e32 v8, v8, v11
	s_delay_alu instid0(VALU_DEP_1) | instskip(NEXT) | instid1(VALU_DEP_1)
	v_mul_hi_u32 v8, v12, v8
	v_mul_lo_u32 v9, v8, s35
	v_add_nc_u32_e32 v11, 1, v8
	s_delay_alu instid0(VALU_DEP_2) | instskip(NEXT) | instid1(VALU_DEP_1)
	v_sub_nc_u32_e32 v9, v12, v9
	v_subrev_nc_u32_e32 v13, s35, v9
	v_cmp_le_u32_e32 vcc_lo, s35, v9
	s_delay_alu instid0(VALU_DEP_2) | instskip(NEXT) | instid1(VALU_DEP_1)
	v_dual_cndmask_b32 v9, v9, v13 :: v_dual_cndmask_b32 v8, v8, v11
	v_cmp_le_u32_e32 vcc_lo, s35, v9
	s_delay_alu instid0(VALU_DEP_2) | instskip(NEXT) | instid1(VALU_DEP_1)
	v_add_nc_u32_e32 v11, 1, v8
	v_cndmask_b32_e32 v9, v8, v11, vcc_lo
	s_delay_alu instid0(VALU_DEP_1) | instskip(NEXT) | instid1(VALU_DEP_1)
	v_mul_lo_u32 v8, v9, s35
	v_sub_nc_u32_e32 v8, v12, v8
	s_delay_alu instid0(VALU_DEP_1) | instskip(NEXT) | instid1(VALU_DEP_1)
	v_mad_u64_u32 v[11:12], null, s36, v8, v[0:1]
	v_mov_b32_e32 v0, v11
	s_cbranch_scc1 .LBB93_22
.LBB93_23:                              ;   in Loop: Header=BB93_3 Depth=1
	s_set_inst_prefetch_distance 0x2
	s_delay_alu instid0(VALU_DEP_1)
	v_mad_u64_u32 v[12:13], null, s20, v9, v[0:1]
	v_mov_b32_e32 v13, v4
.LBB93_24:                              ;   in Loop: Header=BB93_3 Depth=1
	s_or_b32 exec_lo, exec_lo, s0
	v_mov_b32_e32 v14, 0
	v_mov_b32_e32 v15, 0
	v_or_b32_e32 v11, 3, v27
	v_cmp_lt_i32_e32 vcc_lo, 3, v30
	s_delay_alu instid0(VALU_DEP_3)
	v_dual_mov_b32 v8, v14 :: v_dual_mov_b32 v9, v15
	s_and_saveexec_b32 s16, vcc_lo
	s_cbranch_execz .LBB93_26
; %bb.25:                               ;   in Loop: Header=BB93_3 Depth=1
	v_mul_hi_u32 v0, v11, v29
	s_delay_alu instid0(VALU_DEP_1) | instskip(SKIP_1) | instid1(VALU_DEP_2)
	v_mul_lo_u32 v8, v0, s19
	v_add_nc_u32_e32 v9, 1, v0
	v_sub_nc_u32_e32 v8, v11, v8
	s_delay_alu instid0(VALU_DEP_1) | instskip(SKIP_1) | instid1(VALU_DEP_1)
	v_subrev_nc_u32_e32 v16, s19, v8
	v_cmp_le_u32_e64 s0, s19, v8
	v_cndmask_b32_e64 v0, v0, v9, s0
	s_delay_alu instid0(VALU_DEP_3) | instskip(NEXT) | instid1(VALU_DEP_2)
	v_cndmask_b32_e64 v8, v8, v16, s0
	v_add_nc_u32_e32 v9, 1, v0
	s_delay_alu instid0(VALU_DEP_2) | instskip(NEXT) | instid1(VALU_DEP_1)
	v_cmp_le_u32_e64 s0, s19, v8
	v_cndmask_b32_e64 v16, v0, v9, s0
	s_delay_alu instid0(VALU_DEP_1) | instskip(NEXT) | instid1(VALU_DEP_1)
	v_mul_lo_u32 v0, v16, s19
	v_sub_nc_u32_e32 v0, v11, v0
	s_delay_alu instid0(VALU_DEP_1) | instskip(NEXT) | instid1(VALU_DEP_1)
	v_mul_lo_u32 v0, v0, s3
	v_mad_u64_u32 v[8:9], null, v16, s2, v[0:1]
	v_mov_b32_e32 v9, v4
.LBB93_26:                              ;   in Loop: Header=BB93_3 Depth=1
	s_or_b32 exec_lo, exec_lo, s16
	s_and_saveexec_b32 s0, vcc_lo
	s_cbranch_execz .LBB93_31
; %bb.27:                               ;   in Loop: Header=BB93_3 Depth=1
	v_mov_b32_e32 v0, 0
	s_and_not1_b32 vcc_lo, exec_lo, s21
	s_cbranch_vccnz .LBB93_30
; %bb.28:                               ;   in Loop: Header=BB93_3 Depth=1
	v_mov_b32_e32 v0, 0
	s_mov_b64 s[16:17], s[14:15]
	s_mov_b32 s34, s25
	s_set_inst_prefetch_distance 0x1
	.p2align	6
.LBB93_29:                              ;   Parent Loop BB93_3 Depth=1
                                        ; =>  This Inner Loop Header: Depth=2
	s_clause 0x1
	s_load_b32 s35, s[16:17], 0x0
	s_load_b32 s36, s[16:17], 0x64
	s_add_i32 s34, s34, -1
	s_waitcnt lgkmcnt(0)
	v_cvt_f32_u32_e32 v14, s35
	s_sub_i32 s37, 0, s35
	s_add_u32 s16, s16, -4
	s_addc_u32 s17, s17, -1
	s_cmp_gt_u32 s34, 2
	v_rcp_iflag_f32_e32 v14, v14
	s_waitcnt_depctr 0xfff
	v_mul_f32_e32 v14, 0x4f7ffffe, v14
	s_delay_alu instid0(VALU_DEP_1) | instskip(NEXT) | instid1(VALU_DEP_1)
	v_cvt_u32_f32_e32 v14, v14
	v_mul_lo_u32 v15, s37, v14
	s_delay_alu instid0(VALU_DEP_1) | instskip(NEXT) | instid1(VALU_DEP_1)
	v_mul_hi_u32 v15, v14, v15
	v_dual_mov_b32 v16, v11 :: v_dual_add_nc_u32 v11, v14, v15
	s_delay_alu instid0(VALU_DEP_1) | instskip(NEXT) | instid1(VALU_DEP_1)
	v_mul_hi_u32 v11, v16, v11
	v_mul_lo_u32 v14, v11, s35
	v_add_nc_u32_e32 v15, 1, v11
	s_delay_alu instid0(VALU_DEP_2) | instskip(NEXT) | instid1(VALU_DEP_1)
	v_sub_nc_u32_e32 v14, v16, v14
	v_subrev_nc_u32_e32 v17, s35, v14
	v_cmp_le_u32_e32 vcc_lo, s35, v14
	s_delay_alu instid0(VALU_DEP_2) | instskip(NEXT) | instid1(VALU_DEP_1)
	v_dual_cndmask_b32 v11, v11, v15 :: v_dual_cndmask_b32 v14, v14, v17
	v_add_nc_u32_e32 v15, 1, v11
	s_delay_alu instid0(VALU_DEP_2) | instskip(NEXT) | instid1(VALU_DEP_2)
	v_cmp_le_u32_e32 vcc_lo, s35, v14
	v_cndmask_b32_e32 v11, v11, v15, vcc_lo
	s_delay_alu instid0(VALU_DEP_1) | instskip(NEXT) | instid1(VALU_DEP_1)
	v_mul_lo_u32 v14, v11, s35
	v_sub_nc_u32_e32 v16, v16, v14
	s_delay_alu instid0(VALU_DEP_1) | instskip(NEXT) | instid1(VALU_DEP_1)
	v_mad_u64_u32 v[14:15], null, s36, v16, v[0:1]
	v_mov_b32_e32 v0, v14
	s_cbranch_scc1 .LBB93_29
.LBB93_30:                              ;   in Loop: Header=BB93_3 Depth=1
	s_set_inst_prefetch_distance 0x2
	s_delay_alu instid0(VALU_DEP_1)
	v_mad_u64_u32 v[14:15], null, s20, v11, v[0:1]
	v_mov_b32_e32 v15, v4
.LBB93_31:                              ;   in Loop: Header=BB93_3 Depth=1
	s_or_b32 exec_lo, exec_lo, s0
	v_mov_b32_e32 v11, v4
	v_lshlrev_b64 v[16:17], 2, v[3:4]
	v_lshlrev_b64 v[12:13], 2, v[12:13]
	;; [unrolled: 1-line block ×3, first 2 shown]
	s_delay_alu instid0(VALU_DEP_4) | instskip(NEXT) | instid1(VALU_DEP_4)
	v_lshlrev_b64 v[10:11], 2, v[10:11]
	v_add_co_u32 v16, vcc_lo, s8, v16
	v_add_co_ci_u32_e32 v17, vcc_lo, s9, v17, vcc_lo
	s_delay_alu instid0(VALU_DEP_3) | instskip(NEXT) | instid1(VALU_DEP_4)
	v_add_co_u32 v10, vcc_lo, s8, v10
	v_add_co_ci_u32_e32 v11, vcc_lo, s9, v11, vcc_lo
	v_add_co_u32 v12, vcc_lo, s8, v12
	v_add_co_ci_u32_e32 v13, vcc_lo, s9, v13, vcc_lo
	;; [unrolled: 2-line block ×3, first 2 shown]
	s_clause 0x3
	global_load_b32 v0, v[16:17], off
	global_load_b32 v3, v[10:11], off
	;; [unrolled: 1-line block ×4, first 2 shown]
	s_waitcnt lgkmcnt(0)
	v_mov_b32_e32 v15, s7
	v_dual_mov_b32 v17, s5 :: v_dual_mov_b32 v16, s4
	v_mov_b32_e32 v14, s6
	s_and_not1_b32 vcc_lo, exec_lo, s22
	s_cbranch_vccnz .LBB93_33
; %bb.32:                               ;   in Loop: Header=BB93_3 Depth=1
	v_dual_mov_b32 v11, s7 :: v_dual_mov_b32 v10, s6
	v_dual_mov_b32 v13, s5 :: v_dual_mov_b32 v12, s4
	flat_load_b64 v[10:11], v[10:11]
	flat_load_b64 v[16:17], v[12:13]
	s_waitcnt vmcnt(1) lgkmcnt(1)
	v_add_co_u32 v14, vcc_lo, v10, s12
	v_add_co_ci_u32_e32 v15, vcc_lo, s13, v11, vcc_lo
.LBB93_33:                              ;   in Loop: Header=BB93_3 Depth=1
	s_delay_alu instid0(VALU_DEP_1)
	v_alignbit_b32 v13, v15, v14, 2
	v_lshrrev_b32_e32 v12, 2, v15
	s_waitcnt vmcnt(0) lgkmcnt(0)
	v_add_nc_u32_e32 v34, 0xbb67ae85, v17
	v_add_nc_u32_e32 v35, 0x76cf5d0a, v17
	;; [unrolled: 1-line block ×3, first 2 shown]
	v_add_co_u32 v15, vcc_lo, v13, 1
	s_delay_alu instid0(VALU_DEP_1) | instskip(SKIP_4) | instid1(VALU_DEP_4)
	v_cndmask_b32_e64 v10, 0, 1, vcc_lo
	v_add_co_ci_u32_e32 v24, vcc_lo, 0, v12, vcc_lo
	v_xor3_b32 v20, v28, v16, v12
	v_add_nc_u32_e32 v37, 0x32370b8f, v17
	v_add_nc_u32_e32 v38, 0xed9eba14, v17
	v_cmp_eq_u32_e32 vcc_lo, 0, v24
	v_add_nc_u32_e32 v39, 0x1715609d, v16
	v_add_nc_u32_e32 v40, 0xa9066899, v17
	s_mov_b32 s0, exec_lo
	v_dual_cndmask_b32 v18, 0, v10 :: v_dual_add_nc_u32 v33, 0x9e3779b9, v16
	v_mad_u64_u32 v[10:11], null, 0xd2511f53, v15, 0
	s_delay_alu instid0(VALU_DEP_2) | instskip(NEXT) | instid1(VALU_DEP_2)
	v_add_nc_u32_e32 v15, v18, v1
	v_xor_b32_e32 v19, v11, v17
	s_delay_alu instid0(VALU_DEP_2) | instskip(SKIP_2) | instid1(VALU_DEP_1)
	v_cmp_eq_u32_e32 vcc_lo, 0, v15
	v_mad_u64_u32 v[11:12], null, 0xd2511f53, v13, 0
	v_cndmask_b32_e32 v18, 0, v18, vcc_lo
	v_xor_b32_e32 v13, v18, v19
	v_mad_u64_u32 v[18:19], null, 0xd2511f53, v20, 0
	v_mad_u64_u32 v[20:21], null, 0xcd9e8d57, v15, 0
	s_delay_alu instid0(VALU_DEP_3) | instskip(SKIP_3) | instid1(VALU_DEP_3)
	v_mad_u64_u32 v[22:23], null, 0xcd9e8d57, v13, 0
	v_xor_b32_e32 v13, v12, v17
	v_add_nc_u32_e32 v15, 0x3c6ef372, v16
	v_xor3_b32 v25, v34, v19, v11
	v_mad_u64_u32 v[11:12], null, 0xcd9e8d57, v13, 0
	v_xor3_b32 v13, v21, v16, v24
	v_xor3_b32 v21, v33, v23, v20
	s_delay_alu instid0(VALU_DEP_4) | instskip(NEXT) | instid1(VALU_DEP_3)
	v_mad_u64_u32 v[19:20], null, 0xcd9e8d57, v25, 0
	v_mad_u64_u32 v[23:24], null, 0xd2511f53, v13, 0
	s_delay_alu instid0(VALU_DEP_3) | instskip(SKIP_1) | instid1(VALU_DEP_4)
	v_mad_u64_u32 v[25:26], null, 0xd2511f53, v21, 0
	v_xor3_b32 v13, v2, v12, v33
	v_xor3_b32 v33, v15, v20, v11
	s_delay_alu instid0(VALU_DEP_4) | instskip(NEXT) | instid1(VALU_DEP_3)
	v_xor3_b32 v10, v34, v24, v10
	v_mad_u64_u32 v[11:12], null, 0xd2511f53, v13, 0
	v_xor3_b32 v13, v35, v26, v23
	s_delay_alu instid0(VALU_DEP_4) | instskip(NEXT) | instid1(VALU_DEP_4)
	v_mad_u64_u32 v[20:21], null, 0xd2511f53, v33, 0
	v_mad_u64_u32 v[23:24], null, 0xcd9e8d57, v10, 0
	s_delay_alu instid0(VALU_DEP_3) | instskip(SKIP_4) | instid1(VALU_DEP_4)
	v_mad_u64_u32 v[33:34], null, 0xcd9e8d57, v13, 0
	v_xor3_b32 v12, v35, v12, v18
	v_add_nc_u32_e32 v26, 0x78dde6e4, v16
	v_xor3_b32 v18, v37, v21, v11
	v_xor3_b32 v15, v15, v24, v22
	v_mad_u64_u32 v[10:11], null, 0xcd9e8d57, v12, 0
	v_xor3_b32 v34, v36, v34, v23
	s_delay_alu instid0(VALU_DEP_4) | instskip(NEXT) | instid1(VALU_DEP_4)
	v_mad_u64_u32 v[12:13], null, 0xcd9e8d57, v18, 0
	v_mad_u64_u32 v[21:22], null, 0xd2511f53, v15, 0
	s_delay_alu instid0(VALU_DEP_3) | instskip(SKIP_1) | instid1(VALU_DEP_4)
	v_mad_u64_u32 v[23:24], null, 0xd2511f53, v34, 0
	v_xor3_b32 v15, v36, v11, v19
	v_xor3_b32 v13, v26, v13, v10
	s_delay_alu instid0(VALU_DEP_2) | instskip(SKIP_2) | instid1(VALU_DEP_4)
	v_mad_u64_u32 v[10:11], null, 0xd2511f53, v15, 0
	v_xor3_b32 v15, v37, v22, v25
	v_xor3_b32 v21, v38, v24, v21
	v_mad_u64_u32 v[24:25], null, 0xd2511f53, v13, 0
	s_delay_alu instid0(VALU_DEP_3) | instskip(NEXT) | instid1(VALU_DEP_3)
	v_mad_u64_u32 v[18:19], null, 0xcd9e8d57, v15, 0
	v_mad_u64_u32 v[34:35], null, 0xcd9e8d57, v21, 0
	v_xor3_b32 v13, v38, v11, v20
	s_delay_alu instid0(VALU_DEP_4) | instskip(SKIP_2) | instid1(VALU_DEP_4)
	v_xor3_b32 v21, v40, v25, v10
	v_add_nc_u32_e32 v15, 0xb54cda56, v16
	v_add_nc_u32_e32 v20, 0x646e171e, v17
	v_mad_u64_u32 v[10:11], null, 0xcd9e8d57, v13, 0
	v_xor3_b32 v13, v26, v19, v33
	v_xor3_b32 v22, v39, v35, v18
	v_mad_u64_u32 v[35:36], null, 0xcd9e8d57, v21, 0
	v_add_nc_u32_e32 v26, 0x5384540f, v16
	s_delay_alu instid0(VALU_DEP_4) | instskip(NEXT) | instid1(VALU_DEP_4)
	v_mad_u64_u32 v[18:19], null, 0xd2511f53, v13, 0
	v_mad_u64_u32 v[37:38], null, 0xd2511f53, v22, 0
	v_xor3_b32 v12, v39, v11, v12
	v_xor3_b32 v13, v15, v36, v10
	v_add_nc_u32_e32 v39, 0x1fd5c5a3, v17
	v_add_co_u32 v33, null, 0xf1bbcdc8, v16
	v_xor3_b32 v21, v40, v19, v23
	v_xor3_b32 v23, v20, v38, v18
	v_mad_u64_u32 v[10:11], null, 0xd2511f53, v12, 0
	v_mad_u64_u32 v[18:19], null, 0xd2511f53, v13, 0
	s_delay_alu instid0(VALU_DEP_4) | instskip(NEXT) | instid1(VALU_DEP_4)
	v_mad_u64_u32 v[12:13], null, 0xcd9e8d57, v21, 0
	v_mad_u64_u32 v[21:22], null, 0xcd9e8d57, v23, 0
	s_delay_alu instid0(VALU_DEP_4) | instskip(NEXT) | instid1(VALU_DEP_4)
	v_xor3_b32 v20, v20, v11, v24
	v_xor3_b32 v23, v39, v19, v10
	s_delay_alu instid0(VALU_DEP_4) | instskip(NEXT) | instid1(VALU_DEP_3)
	v_xor3_b32 v15, v15, v13, v34
	v_mad_u64_u32 v[10:11], null, 0xcd9e8d57, v20, 0
	v_xor3_b32 v22, v26, v22, v12
	s_delay_alu instid0(VALU_DEP_4) | instskip(NEXT) | instid1(VALU_DEP_4)
	v_mad_u64_u32 v[19:20], null, 0xcd9e8d57, v23, 0
	v_mad_u64_u32 v[12:13], null, 0xd2511f53, v15, 0
	s_delay_alu instid0(VALU_DEP_3)
	v_mad_u64_u32 v[24:25], null, 0xd2511f53, v22, 0
	v_add_nc_u32_e32 v34, 0xdb3d7428, v17
	v_xor3_b32 v11, v26, v11, v35
	v_xor3_b32 v15, v33, v20, v10
	v_add_nc_u32_e32 v35, 0x96a522ad, v17
	v_xor3_b32 v13, v39, v13, v37
	v_and_b32_e32 v17, 3, v14
	v_xor3_b32 v20, v34, v25, v12
	v_mad_u64_u32 v[22:23], null, 0xd2511f53, v11, 0
	v_mad_u64_u32 v[10:11], null, 0xd2511f53, v15, 0
	;; [unrolled: 1-line block ×3, first 2 shown]
	s_delay_alu instid0(VALU_DEP_4) | instskip(SKIP_1) | instid1(VALU_DEP_4)
	v_mad_u64_u32 v[12:13], null, 0xcd9e8d57, v20, 0
	v_add_nc_u32_e32 v20, 0x8ff34781, v16
                                        ; implicit-def: $vgpr15
	v_xor3_b32 v16, v11, v22, v35
	s_delay_alu instid0(VALU_DEP_2)
	v_xor3_b32 v11, v13, v25, v20
	v_cmpx_lt_i32_e32 1, v17
	s_xor_b32 s0, exec_lo, s0
	s_cbranch_execz .LBB93_39
; %bb.34:                               ;   in Loop: Header=BB93_3 Depth=1
	s_mov_b32 s16, exec_lo
                                        ; implicit-def: $vgpr15
	v_cmpx_lt_i32_e32 2, v17
	s_xor_b32 s16, exec_lo, s16
; %bb.35:                               ;   in Loop: Header=BB93_3 Depth=1
	v_xor3_b32 v13, v33, v26, v21
                                        ; implicit-def: $vgpr16
	s_delay_alu instid0(VALU_DEP_1) | instskip(NEXT) | instid1(VALU_DEP_1)
	v_mul_hi_u32 v13, 0xd2511f53, v13
	v_xor3_b32 v15, v13, v24, v35
; %bb.36:                               ;   in Loop: Header=BB93_3 Depth=1
	s_and_not1_saveexec_b32 s16, s16
; %bb.37:                               ;   in Loop: Header=BB93_3 Depth=1
	v_dual_mov_b32 v15, v12 :: v_dual_mov_b32 v12, v11
	v_dual_mov_b32 v11, v10 :: v_dual_mov_b32 v10, v16
; %bb.38:                               ;   in Loop: Header=BB93_3 Depth=1
	s_or_b32 exec_lo, exec_lo, s16
                                        ; implicit-def: $vgpr18_vgpr19
                                        ; implicit-def: $vgpr17
                                        ; implicit-def: $vgpr16
                                        ; implicit-def: $vgpr34
                                        ; implicit-def: $vgpr22_vgpr23
                                        ; implicit-def: $vgpr19_vgpr20
                                        ; implicit-def: $vgpr20
.LBB93_39:                              ;   in Loop: Header=BB93_3 Depth=1
	s_and_not1_saveexec_b32 s0, s0
	s_cbranch_execz .LBB93_43
; %bb.40:                               ;   in Loop: Header=BB93_3 Depth=1
	v_xor3_b32 v12, v34, v23, v18
	v_cmp_eq_u32_e32 vcc_lo, 1, v17
	v_mov_b32_e32 v15, v10
	s_delay_alu instid0(VALU_DEP_3) | instskip(SKIP_1) | instid1(VALU_DEP_2)
	v_mad_u64_u32 v[13:14], null, 0xcd9e8d57, v12, 0
	v_mov_b32_e32 v12, v16
	v_xor3_b32 v17, v14, v19, v20
	s_delay_alu instid0(VALU_DEP_3)
	v_mov_b32_e32 v14, v13
	s_and_saveexec_b32 s16, vcc_lo
; %bb.41:                               ;   in Loop: Header=BB93_3 Depth=1
	v_dual_mov_b32 v15, v11 :: v_dual_mov_b32 v12, v10
	v_dual_mov_b32 v14, v16 :: v_dual_mov_b32 v17, v13
; %bb.42:                               ;   in Loop: Header=BB93_3 Depth=1
	s_or_b32 exec_lo, exec_lo, s16
	s_delay_alu instid0(VALU_DEP_1)
	v_dual_mov_b32 v10, v17 :: v_dual_mov_b32 v11, v14
.LBB93_43:                              ;   in Loop: Header=BB93_3 Depth=1
	s_or_b32 exec_lo, exec_lo, s0
	v_min_i32_e32 v13, 4, v30
	s_mov_b32 s16, 0
	s_mov_b32 s38, 0
	;; [unrolled: 1-line block ×3, first 2 shown]
                                        ; implicit-def: $sgpr34
                                        ; implicit-def: $sgpr35
                                        ; implicit-def: $sgpr36
	s_mov_b32 s0, exec_lo
	v_cmpx_lt_i32_e32 2, v13
	s_xor_b32 s37, exec_lo, s0
	s_cbranch_execz .LBB93_55
; %bb.44:                               ;   in Loop: Header=BB93_3 Depth=1
	s_mov_b32 s0, -1
	s_mov_b32 s39, 0
	s_mov_b32 s35, exec_lo
                                        ; implicit-def: $sgpr17
                                        ; implicit-def: $sgpr34
	v_cmpx_lt_i32_e32 3, v13
	s_cbranch_execz .LBB93_50
; %bb.45:                               ;   in Loop: Header=BB93_3 Depth=1
	s_mov_b32 s0, 0
	s_mov_b32 s39, -1
	s_mov_b32 s36, exec_lo
                                        ; implicit-def: $sgpr17
                                        ; implicit-def: $sgpr34
	v_cmpx_eq_u32_e32 4, v13
	s_cbranch_execz .LBB93_49
; %bb.46:                               ;   in Loop: Header=BB93_3 Depth=1
	v_cmp_le_f32_e32 vcc_lo, 0, v32
	v_cmp_ge_f32_e64 s0, 1.0, v32
	s_mov_b32 s17, 0
	s_delay_alu instid0(VALU_DEP_1)
	s_and_b32 s39, vcc_lo, s0
	s_mov_b32 s0, 0
	s_and_saveexec_b32 s34, s39
	s_cbranch_execz .LBB93_48
; %bb.47:                               ;   in Loop: Header=BB93_3 Depth=1
	v_cvt_f32_u32_e32 v14, v15
	v_lshlrev_b64 v[8:9], 1, v[8:9]
	s_mov_b32 s0, exec_lo
	s_delay_alu instid0(VALU_DEP_2) | instskip(NEXT) | instid1(VALU_DEP_2)
	v_fmaak_f32 v14, 0x2f800000, v14, 0x2f800000
	v_add_co_u32 v8, vcc_lo, s10, v8
	s_delay_alu instid0(VALU_DEP_3) | instskip(NEXT) | instid1(VALU_DEP_3)
	v_add_co_ci_u32_e32 v9, vcc_lo, s11, v9, vcc_lo
	v_cmp_le_f32_e32 vcc_lo, v14, v32
	v_cndmask_b32_e64 v14, 0, 0x3c00, vcc_lo
	global_store_b16 v[8:9], v14, off
.LBB93_48:                              ;   in Loop: Header=BB93_3 Depth=1
	s_or_b32 exec_lo, exec_lo, s34
	s_mov_b32 s34, -1
	s_xor_b32 s39, exec_lo, -1
	s_and_b32 s0, s0, exec_lo
.LBB93_49:                              ;   in Loop: Header=BB93_3 Depth=1
	s_or_b32 exec_lo, exec_lo, s36
	s_delay_alu instid0(SALU_CYCLE_1)
	s_and_b32 s39, s39, exec_lo
	s_or_not1_b32 s0, s0, exec_lo
.LBB93_50:                              ;   in Loop: Header=BB93_3 Depth=1
	s_or_b32 exec_lo, exec_lo, s35
	s_mov_b32 s36, s17
	s_and_saveexec_b32 s35, s0
	s_cbranch_execz .LBB93_54
; %bb.51:                               ;   in Loop: Header=BB93_3 Depth=1
	v_cmp_le_f32_e32 vcc_lo, 0, v31
	v_cmp_ge_f32_e64 s0, 1.0, v31
	s_delay_alu instid0(VALU_DEP_1) | instskip(SKIP_2) | instid1(SALU_CYCLE_1)
	s_and_b32 s36, vcc_lo, s0
	s_mov_b32 s0, 0
	s_and_saveexec_b32 s38, s36
	s_xor_b32 s36, exec_lo, s38
	s_cbranch_execz .LBB93_53
; %bb.52:                               ;   in Loop: Header=BB93_3 Depth=1
	v_cvt_f32_u32_e32 v9, v12
	v_mov_b32_e32 v8, v4
	s_mov_b32 s0, exec_lo
	s_delay_alu instid0(VALU_DEP_2) | instskip(NEXT) | instid1(VALU_DEP_2)
	v_fmaak_f32 v9, 0x2f800000, v9, 0x2f800000
	v_lshlrev_b64 v[7:8], 1, v[7:8]
	s_delay_alu instid0(VALU_DEP_1) | instskip(NEXT) | instid1(VALU_DEP_2)
	v_add_co_u32 v7, vcc_lo, s10, v7
	v_add_co_ci_u32_e32 v8, vcc_lo, s11, v8, vcc_lo
	s_delay_alu instid0(VALU_DEP_4)
	v_cmp_le_f32_e32 vcc_lo, v9, v31
	v_cndmask_b32_e64 v9, 0, 0x3c00, vcc_lo
	global_store_b16 v[7:8], v9, off
.LBB93_53:                              ;   in Loop: Header=BB93_3 Depth=1
	s_or_b32 exec_lo, exec_lo, s36
	s_delay_alu instid0(SALU_CYCLE_1)
	s_and_not1_b32 s36, s17, exec_lo
	s_or_b32 s17, s17, exec_lo
	s_and_not1_b32 s34, s34, exec_lo
	s_and_b32 s38, s0, exec_lo
.LBB93_54:                              ;   in Loop: Header=BB93_3 Depth=1
	s_or_b32 exec_lo, exec_lo, s35
	s_delay_alu instid0(SALU_CYCLE_1)
	s_and_b32 s36, s36, exec_lo
	s_and_b32 s35, s17, exec_lo
	;; [unrolled: 1-line block ×5, first 2 shown]
.LBB93_55:                              ;   in Loop: Header=BB93_3 Depth=1
	s_and_not1_saveexec_b32 s0, s37
; %bb.56:                               ;   in Loop: Header=BB93_3 Depth=1
	v_cmp_lt_i32_e32 vcc_lo, 1, v13
	s_and_not1_b32 s37, s38, exec_lo
	s_mov_b32 s16, exec_lo
	s_and_not1_b32 s36, s36, exec_lo
	s_and_not1_b32 s35, s35, exec_lo
	s_and_b32 s38, vcc_lo, exec_lo
	s_and_not1_b32 s34, s34, exec_lo
	s_or_b32 s38, s37, s38
; %bb.57:                               ;   in Loop: Header=BB93_3 Depth=1
	s_or_b32 exec_lo, exec_lo, s0
	s_mov_b32 s0, 0
	s_mov_b32 s37, s36
	s_and_saveexec_b32 s39, s38
	s_cbranch_execnz .LBB93_60
; %bb.58:                               ;   in Loop: Header=BB93_3 Depth=1
	s_or_b32 exec_lo, exec_lo, s39
	s_and_saveexec_b32 s38, s16
	s_cbranch_execnz .LBB93_63
.LBB93_59:                              ;   in Loop: Header=BB93_3 Depth=1
	s_or_b32 exec_lo, exec_lo, s38
	s_and_saveexec_b32 s16, s0
	s_cbranch_execnz .LBB93_64
	s_branch .LBB93_67
.LBB93_60:                              ;   in Loop: Header=BB93_3 Depth=1
	v_cmp_le_f32_e32 vcc_lo, 0, v3
	v_cmp_ge_f32_e64 s0, 1.0, v3
	s_delay_alu instid0(VALU_DEP_1) | instskip(SKIP_2) | instid1(SALU_CYCLE_1)
	s_and_b32 s37, vcc_lo, s0
	s_mov_b32 s0, 0
	s_and_saveexec_b32 s38, s37
	s_xor_b32 s37, exec_lo, s38
	s_cbranch_execz .LBB93_62
; %bb.61:                               ;   in Loop: Header=BB93_3 Depth=1
	v_cvt_f32_u32_e32 v8, v11
	v_mov_b32_e32 v7, v4
	s_mov_b32 s0, exec_lo
	s_delay_alu instid0(VALU_DEP_2) | instskip(NEXT) | instid1(VALU_DEP_2)
	v_fmaak_f32 v8, 0x2f800000, v8, 0x2f800000
	v_lshlrev_b64 v[6:7], 1, v[6:7]
	s_delay_alu instid0(VALU_DEP_1) | instskip(NEXT) | instid1(VALU_DEP_2)
	v_add_co_u32 v6, vcc_lo, s10, v6
	v_add_co_ci_u32_e32 v7, vcc_lo, s11, v7, vcc_lo
	s_delay_alu instid0(VALU_DEP_4)
	v_cmp_le_f32_e32 vcc_lo, v8, v3
	v_cndmask_b32_e64 v3, 0, 0x3c00, vcc_lo
	global_store_b16 v[6:7], v3, off
.LBB93_62:                              ;   in Loop: Header=BB93_3 Depth=1
	s_or_b32 exec_lo, exec_lo, s37
	s_delay_alu instid0(SALU_CYCLE_1)
	s_and_not1_b32 s37, s36, exec_lo
	s_or_b32 s36, s36, exec_lo
	s_and_not1_b32 s35, s35, exec_lo
	s_and_not1_b32 s34, s34, exec_lo
	s_and_b32 s0, s0, exec_lo
	s_and_not1_b32 s16, s16, exec_lo
	s_or_b32 exec_lo, exec_lo, s39
	s_and_saveexec_b32 s38, s16
	s_cbranch_execz .LBB93_59
.LBB93_63:                              ;   in Loop: Header=BB93_3 Depth=1
	v_cmp_eq_u32_e32 vcc_lo, 1, v13
	s_and_not1_b32 s0, s0, exec_lo
	s_and_not1_b32 s37, s37, exec_lo
	;; [unrolled: 1-line block ×4, first 2 shown]
	s_and_b32 s16, vcc_lo, exec_lo
	s_and_not1_b32 s34, s34, exec_lo
	s_or_b32 s17, s17, exec_lo
	s_or_b32 s0, s0, s16
	s_or_b32 exec_lo, exec_lo, s38
	s_and_saveexec_b32 s16, s0
	s_cbranch_execz .LBB93_67
.LBB93_64:                              ;   in Loop: Header=BB93_3 Depth=1
	v_cmp_le_f32_e32 vcc_lo, 0, v0
	v_cmp_ge_f32_e64 s0, 1.0, v0
	s_delay_alu instid0(VALU_DEP_1)
	s_and_b32 s39, vcc_lo, s0
	s_mov_b32 s0, 0
	s_and_saveexec_b32 s38, s39
	s_cbranch_execz .LBB93_66
; %bb.65:                               ;   in Loop: Header=BB93_3 Depth=1
	v_cvt_f32_u32_e32 v3, v10
	v_mov_b32_e32 v6, v4
	s_mov_b32 s0, exec_lo
	s_delay_alu instid0(VALU_DEP_2) | instskip(NEXT) | instid1(VALU_DEP_2)
	v_fmaak_f32 v3, 0x2f800000, v3, 0x2f800000
	v_lshlrev_b64 v[5:6], 1, v[5:6]
	s_delay_alu instid0(VALU_DEP_1) | instskip(NEXT) | instid1(VALU_DEP_2)
	v_add_co_u32 v5, vcc_lo, s10, v5
	v_add_co_ci_u32_e32 v6, vcc_lo, s11, v6, vcc_lo
	s_delay_alu instid0(VALU_DEP_4)
	v_cmp_le_f32_e32 vcc_lo, v3, v0
	v_cndmask_b32_e64 v0, 0, 0x3c00, vcc_lo
	global_store_b16 v[5:6], v0, off
.LBB93_66:                              ;   in Loop: Header=BB93_3 Depth=1
	s_or_b32 exec_lo, exec_lo, s38
	s_delay_alu instid0(SALU_CYCLE_1)
	s_and_not1_b32 s17, s17, exec_lo
	s_and_b32 s0, s0, exec_lo
	s_or_b32 s37, s37, exec_lo
	s_and_not1_b32 s36, s36, exec_lo
	s_and_not1_b32 s35, s35, exec_lo
	;; [unrolled: 1-line block ×3, first 2 shown]
	s_or_b32 s17, s17, s0
.LBB93_67:                              ;   in Loop: Header=BB93_3 Depth=1
	s_or_b32 exec_lo, exec_lo, s16
	s_delay_alu instid0(SALU_CYCLE_1)
	s_and_not1_b32 s16, s33, exec_lo
	s_and_b32 s33, s37, exec_lo
	s_and_not1_b32 s30, s30, exec_lo
	s_and_b32 s36, s36, exec_lo
	s_or_b32 s33, s16, s33
	s_and_not1_b32 s16, s31, exec_lo
	s_and_b32 s31, s35, exec_lo
	s_and_not1_b32 s29, s29, exec_lo
	s_and_b32 s34, s34, exec_lo
	s_mov_b32 s0, -1
	s_or_b32 s30, s30, s36
	s_or_b32 s31, s16, s31
	;; [unrolled: 1-line block ×3, first 2 shown]
	s_and_saveexec_b32 s16, s17
	s_cbranch_execz .LBB93_2
; %bb.68:                               ;   in Loop: Header=BB93_3 Depth=1
	v_add_nc_u32_e32 v27, s24, v27
	s_and_not1_b32 s33, s33, exec_lo
	s_and_not1_b32 s30, s30, exec_lo
	;; [unrolled: 1-line block ×4, first 2 shown]
	v_cmp_le_u32_e32 vcc_lo, s18, v27
	s_or_not1_b32 s0, vcc_lo, exec_lo
	s_branch .LBB93_2
.LBB93_69:
	s_or_b32 exec_lo, exec_lo, s1
	s_xor_b32 s3, s27, -1
	s_xor_b32 s4, s28, -1
	;; [unrolled: 1-line block ×3, first 2 shown]
	s_mov_b32 s1, 0
	s_and_saveexec_b32 s2, s0
	s_delay_alu instid0(SALU_CYCLE_1)
	s_xor_b32 s0, exec_lo, s2
	s_cbranch_execz .LBB93_78
; %bb.70:
	s_mov_b32 s2, 0
	s_and_saveexec_b32 s1, s4
	s_delay_alu instid0(SALU_CYCLE_1)
	s_xor_b32 s1, exec_lo, s1
	s_cbranch_execz .LBB93_76
; %bb.71:
	s_and_saveexec_b32 s4, s3
	s_delay_alu instid0(SALU_CYCLE_1)
	s_xor_b32 s3, exec_lo, s4
	s_cbranch_execz .LBB93_74
; %bb.72:
	s_and_saveexec_b32 s4, s23
	s_delay_alu instid0(SALU_CYCLE_1)
	s_xor_b32 s4, exec_lo, s4
	s_cbranch_execnz .LBB93_92
.LBB93_73:
	s_or_b32 exec_lo, exec_lo, s4
	s_delay_alu instid0(SALU_CYCLE_1)
	s_and_b32 s2, s2, exec_lo
.LBB93_74:
	s_and_not1_saveexec_b32 s3, s3
	s_cbranch_execnz .LBB93_88
.LBB93_75:
	s_or_b32 exec_lo, exec_lo, s3
	s_delay_alu instid0(SALU_CYCLE_1)
	s_and_b32 s2, s2, exec_lo
.LBB93_76:
	s_and_not1_saveexec_b32 s1, s1
	s_cbranch_execnz .LBB93_84
.LBB93_77:
	s_or_b32 exec_lo, exec_lo, s1
	s_delay_alu instid0(SALU_CYCLE_1)
	s_and_b32 s1, s2, exec_lo
.LBB93_78:
	s_and_not1_saveexec_b32 s0, s0
	s_cbranch_execnz .LBB93_82
; %bb.79:
	s_or_b32 exec_lo, exec_lo, s0
	s_delay_alu instid0(SALU_CYCLE_1)
	s_and_b32 exec_lo, exec_lo, s1
.LBB93_80:
	; divergent unreachable
.LBB93_81:
	s_nop 0
	s_sendmsg sendmsg(MSG_DEALLOC_VGPRS)
	s_endpgm
.LBB93_82:
	s_cbranch_execnz .LBB93_86
; %bb.83:
	s_or_b32 s1, s1, exec_lo
	s_or_b32 exec_lo, exec_lo, s0
	s_delay_alu instid0(SALU_CYCLE_1)
	s_and_b32 exec_lo, exec_lo, s1
	s_cbranch_execnz .LBB93_80
	s_branch .LBB93_81
.LBB93_84:
	s_cbranch_execnz .LBB93_90
; %bb.85:
	s_or_b32 s2, s2, exec_lo
	s_branch .LBB93_77
.LBB93_86:
	s_trap 2
	s_sendmsg_rtn_b32 s0, sendmsg(MSG_RTN_GET_DOORBELL)
	s_mov_b32 ttmp2, m0
	s_waitcnt lgkmcnt(0)
	s_and_b32 s0, s0, 0x3ff
	s_delay_alu instid0(SALU_CYCLE_1) | instskip(NEXT) | instid1(SALU_CYCLE_1)
	s_bitset1_b32 s0, 10
	s_mov_b32 m0, s0
	s_sendmsg sendmsg(MSG_INTERRUPT)
	s_mov_b32 m0, ttmp2
.LBB93_87:                              ; =>This Inner Loop Header: Depth=1
	s_sethalt 5
	s_branch .LBB93_87
.LBB93_88:
	s_cbranch_execnz .LBB93_94
; %bb.89:
	s_or_b32 s2, s2, exec_lo
	s_branch .LBB93_75
.LBB93_90:
	s_trap 2
	s_sendmsg_rtn_b32 s0, sendmsg(MSG_RTN_GET_DOORBELL)
	s_mov_b32 ttmp2, m0
	s_waitcnt lgkmcnt(0)
	s_and_b32 s0, s0, 0x3ff
	s_delay_alu instid0(SALU_CYCLE_1) | instskip(NEXT) | instid1(SALU_CYCLE_1)
	s_bitset1_b32 s0, 10
	s_mov_b32 m0, s0
	s_sendmsg sendmsg(MSG_INTERRUPT)
	s_mov_b32 m0, ttmp2
.LBB93_91:                              ; =>This Inner Loop Header: Depth=1
	s_sethalt 5
	s_branch .LBB93_91
.LBB93_92:
	s_cbranch_execnz .LBB93_96
; %bb.93:
	s_mov_b32 s2, exec_lo
	s_branch .LBB93_73
.LBB93_94:
	s_trap 2
	s_sendmsg_rtn_b32 s0, sendmsg(MSG_RTN_GET_DOORBELL)
	s_mov_b32 ttmp2, m0
	s_waitcnt lgkmcnt(0)
	s_and_b32 s0, s0, 0x3ff
	s_delay_alu instid0(SALU_CYCLE_1) | instskip(NEXT) | instid1(SALU_CYCLE_1)
	s_bitset1_b32 s0, 10
	s_mov_b32 m0, s0
	s_sendmsg sendmsg(MSG_INTERRUPT)
	s_mov_b32 m0, ttmp2
.LBB93_95:                              ; =>This Inner Loop Header: Depth=1
	s_sethalt 5
	s_branch .LBB93_95
.LBB93_96:
	s_trap 2
	s_sendmsg_rtn_b32 s0, sendmsg(MSG_RTN_GET_DOORBELL)
	s_mov_b32 ttmp2, m0
	s_waitcnt lgkmcnt(0)
	s_and_b32 s0, s0, 0x3ff
	s_delay_alu instid0(SALU_CYCLE_1) | instskip(NEXT) | instid1(SALU_CYCLE_1)
	s_bitset1_b32 s0, 10
	s_mov_b32 m0, s0
	s_sendmsg sendmsg(MSG_INTERRUPT)
	s_mov_b32 m0, ttmp2
.LBB93_97:                              ; =>This Inner Loop Header: Depth=1
	s_sethalt 5
	s_branch .LBB93_97
	.section	.rodata,"a",@progbits
	.p2align	6, 0x0
	.amdhsa_kernel _ZN2at4cuda12_GLOBAL__N_121kernelPointwiseApply2IZNS_6native9templates4cuda28bernoulli_tensor_cuda_kernelIN3c104HalfEfEEvRKNS_10TensorBaseESB_NS_15PhiloxCudaStateEEUliRS8_SD_SD_SD_RKfSF_SF_SF_E_S8_SE_jLi2ELin1ELi4ELi512ELi2EEEvNS0_6detail10TensorInfoIT0_T2_EENSI_IT1_SK_EESK_T_
		.amdhsa_group_segment_fixed_size 0
		.amdhsa_private_segment_fixed_size 0
		.amdhsa_kernarg_size 728
		.amdhsa_user_sgpr_count 15
		.amdhsa_user_sgpr_dispatch_ptr 0
		.amdhsa_user_sgpr_queue_ptr 0
		.amdhsa_user_sgpr_kernarg_segment_ptr 1
		.amdhsa_user_sgpr_dispatch_id 0
		.amdhsa_user_sgpr_private_segment_size 0
		.amdhsa_wavefront_size32 1
		.amdhsa_uses_dynamic_stack 0
		.amdhsa_enable_private_segment 0
		.amdhsa_system_sgpr_workgroup_id_x 1
		.amdhsa_system_sgpr_workgroup_id_y 0
		.amdhsa_system_sgpr_workgroup_id_z 0
		.amdhsa_system_sgpr_workgroup_info 0
		.amdhsa_system_vgpr_workitem_id 0
		.amdhsa_next_free_vgpr 41
		.amdhsa_next_free_sgpr 40
		.amdhsa_reserve_vcc 1
		.amdhsa_float_round_mode_32 0
		.amdhsa_float_round_mode_16_64 0
		.amdhsa_float_denorm_mode_32 3
		.amdhsa_float_denorm_mode_16_64 3
		.amdhsa_dx10_clamp 1
		.amdhsa_ieee_mode 1
		.amdhsa_fp16_overflow 0
		.amdhsa_workgroup_processor_mode 1
		.amdhsa_memory_ordered 1
		.amdhsa_forward_progress 0
		.amdhsa_shared_vgpr_count 0
		.amdhsa_exception_fp_ieee_invalid_op 0
		.amdhsa_exception_fp_denorm_src 0
		.amdhsa_exception_fp_ieee_div_zero 0
		.amdhsa_exception_fp_ieee_overflow 0
		.amdhsa_exception_fp_ieee_underflow 0
		.amdhsa_exception_fp_ieee_inexact 0
		.amdhsa_exception_int_div_zero 0
	.end_amdhsa_kernel
	.section	.text._ZN2at4cuda12_GLOBAL__N_121kernelPointwiseApply2IZNS_6native9templates4cuda28bernoulli_tensor_cuda_kernelIN3c104HalfEfEEvRKNS_10TensorBaseESB_NS_15PhiloxCudaStateEEUliRS8_SD_SD_SD_RKfSF_SF_SF_E_S8_SE_jLi2ELin1ELi4ELi512ELi2EEEvNS0_6detail10TensorInfoIT0_T2_EENSI_IT1_SK_EESK_T_,"axG",@progbits,_ZN2at4cuda12_GLOBAL__N_121kernelPointwiseApply2IZNS_6native9templates4cuda28bernoulli_tensor_cuda_kernelIN3c104HalfEfEEvRKNS_10TensorBaseESB_NS_15PhiloxCudaStateEEUliRS8_SD_SD_SD_RKfSF_SF_SF_E_S8_SE_jLi2ELin1ELi4ELi512ELi2EEEvNS0_6detail10TensorInfoIT0_T2_EENSI_IT1_SK_EESK_T_,comdat
.Lfunc_end93:
	.size	_ZN2at4cuda12_GLOBAL__N_121kernelPointwiseApply2IZNS_6native9templates4cuda28bernoulli_tensor_cuda_kernelIN3c104HalfEfEEvRKNS_10TensorBaseESB_NS_15PhiloxCudaStateEEUliRS8_SD_SD_SD_RKfSF_SF_SF_E_S8_SE_jLi2ELin1ELi4ELi512ELi2EEEvNS0_6detail10TensorInfoIT0_T2_EENSI_IT1_SK_EESK_T_, .Lfunc_end93-_ZN2at4cuda12_GLOBAL__N_121kernelPointwiseApply2IZNS_6native9templates4cuda28bernoulli_tensor_cuda_kernelIN3c104HalfEfEEvRKNS_10TensorBaseESB_NS_15PhiloxCudaStateEEUliRS8_SD_SD_SD_RKfSF_SF_SF_E_S8_SE_jLi2ELin1ELi4ELi512ELi2EEEvNS0_6detail10TensorInfoIT0_T2_EENSI_IT1_SK_EESK_T_
                                        ; -- End function
	.section	.AMDGPU.csdata,"",@progbits
; Kernel info:
; codeLenInByte = 4872
; NumSgprs: 42
; NumVgprs: 41
; ScratchSize: 0
; MemoryBound: 0
; FloatMode: 240
; IeeeMode: 1
; LDSByteSize: 0 bytes/workgroup (compile time only)
; SGPRBlocks: 5
; VGPRBlocks: 5
; NumSGPRsForWavesPerEU: 42
; NumVGPRsForWavesPerEU: 41
; Occupancy: 16
; WaveLimiterHint : 1
; COMPUTE_PGM_RSRC2:SCRATCH_EN: 0
; COMPUTE_PGM_RSRC2:USER_SGPR: 15
; COMPUTE_PGM_RSRC2:TRAP_HANDLER: 0
; COMPUTE_PGM_RSRC2:TGID_X_EN: 1
; COMPUTE_PGM_RSRC2:TGID_Y_EN: 0
; COMPUTE_PGM_RSRC2:TGID_Z_EN: 0
; COMPUTE_PGM_RSRC2:TIDIG_COMP_CNT: 0
	.section	.text._ZN2at4cuda12_GLOBAL__N_121kernelPointwiseApply2IZNS_6native9templates4cuda28bernoulli_tensor_cuda_kernelIN3c104HalfEfEEvRKNS_10TensorBaseESB_NS_15PhiloxCudaStateEEUliRS8_SD_SD_SD_RKfSF_SF_SF_E_S8_SE_jLin1ELi1ELi4ELi512ELi2EEEvNS0_6detail10TensorInfoIT0_T2_EENSI_IT1_SK_EESK_T_,"axG",@progbits,_ZN2at4cuda12_GLOBAL__N_121kernelPointwiseApply2IZNS_6native9templates4cuda28bernoulli_tensor_cuda_kernelIN3c104HalfEfEEvRKNS_10TensorBaseESB_NS_15PhiloxCudaStateEEUliRS8_SD_SD_SD_RKfSF_SF_SF_E_S8_SE_jLin1ELi1ELi4ELi512ELi2EEEvNS0_6detail10TensorInfoIT0_T2_EENSI_IT1_SK_EESK_T_,comdat
	.globl	_ZN2at4cuda12_GLOBAL__N_121kernelPointwiseApply2IZNS_6native9templates4cuda28bernoulli_tensor_cuda_kernelIN3c104HalfEfEEvRKNS_10TensorBaseESB_NS_15PhiloxCudaStateEEUliRS8_SD_SD_SD_RKfSF_SF_SF_E_S8_SE_jLin1ELi1ELi4ELi512ELi2EEEvNS0_6detail10TensorInfoIT0_T2_EENSI_IT1_SK_EESK_T_ ; -- Begin function _ZN2at4cuda12_GLOBAL__N_121kernelPointwiseApply2IZNS_6native9templates4cuda28bernoulli_tensor_cuda_kernelIN3c104HalfEfEEvRKNS_10TensorBaseESB_NS_15PhiloxCudaStateEEUliRS8_SD_SD_SD_RKfSF_SF_SF_E_S8_SE_jLin1ELi1ELi4ELi512ELi2EEEvNS0_6detail10TensorInfoIT0_T2_EENSI_IT1_SK_EESK_T_
	.p2align	8
	.type	_ZN2at4cuda12_GLOBAL__N_121kernelPointwiseApply2IZNS_6native9templates4cuda28bernoulli_tensor_cuda_kernelIN3c104HalfEfEEvRKNS_10TensorBaseESB_NS_15PhiloxCudaStateEEUliRS8_SD_SD_SD_RKfSF_SF_SF_E_S8_SE_jLin1ELi1ELi4ELi512ELi2EEEvNS0_6detail10TensorInfoIT0_T2_EENSI_IT1_SK_EESK_T_,@function
_ZN2at4cuda12_GLOBAL__N_121kernelPointwiseApply2IZNS_6native9templates4cuda28bernoulli_tensor_cuda_kernelIN3c104HalfEfEEvRKNS_10TensorBaseESB_NS_15PhiloxCudaStateEEUliRS8_SD_SD_SD_RKfSF_SF_SF_E_S8_SE_jLin1ELi1ELi4ELi512ELi2EEEvNS0_6detail10TensorInfoIT0_T2_EENSI_IT1_SK_EESK_T_: ; @_ZN2at4cuda12_GLOBAL__N_121kernelPointwiseApply2IZNS_6native9templates4cuda28bernoulli_tensor_cuda_kernelIN3c104HalfEfEEvRKNS_10TensorBaseESB_NS_15PhiloxCudaStateEEUliRS8_SD_SD_SD_RKfSF_SF_SF_E_S8_SE_jLin1ELi1ELi4ELi512ELi2EEEvNS0_6detail10TensorInfoIT0_T2_EENSI_IT1_SK_EESK_T_
; %bb.0:
	s_clause 0x1
	s_load_b32 s4, s[0:1], 0x1e4
	s_load_b32 s20, s[0:1], 0x1b0
	s_add_u32 s2, s0, 0x1d8
	s_addc_u32 s3, s1, 0
	s_waitcnt lgkmcnt(0)
	s_and_b32 s14, s4, 0xffff
	s_mov_b32 s4, exec_lo
	v_mad_u64_u32 v[1:2], null, s15, s14, v[0:1]
	s_delay_alu instid0(VALU_DEP_1) | instskip(NEXT) | instid1(VALU_DEP_1)
	v_lshlrev_b32_e32 v29, 2, v1
	v_cmpx_gt_u32_e64 s20, v29
	s_cbranch_execz .LBB94_73
; %bb.1:
	s_load_b32 s16, s[0:1], 0xd0
	s_load_b32 s2, s[2:3], 0x0
	s_clause 0x6
	s_load_b32 s3, s[0:1], 0x1d0
	s_load_b64 s[8:9], s[0:1], 0xd8
	s_load_b64 s[10:11], s[0:1], 0x1c8
	s_load_b32 s21, s[0:1], 0x144
	s_load_b128 s[4:7], s[0:1], 0x1b8
	s_load_b32 s22, s[0:1], 0x6c
	s_load_b64 s[12:13], s[0:1], 0x0
	v_mad_u64_u32 v[2:3], null, 0xcd9e8d57, v1, 0
	s_mov_b32 s15, 0
	v_mov_b32_e32 v4, 0
                                        ; implicit-def: $sgpr27
                                        ; implicit-def: $sgpr29
                                        ; implicit-def: $sgpr28
                                        ; implicit-def: $sgpr30
                                        ; implicit-def: $sgpr33
                                        ; implicit-def: $sgpr31
                                        ; implicit-def: $sgpr34
	s_delay_alu instid0(VALU_DEP_2)
	v_mov_b32_e32 v30, v3
	s_waitcnt lgkmcnt(0)
	s_cmp_gt_i32 s16, 1
	s_mul_i32 s2, s2, s14
	s_cselect_b32 s23, -1, 0
	s_bitcmp1_b32 s3, 0
	s_cselect_b32 s24, -1, 0
	s_add_i32 s14, s16, -1
	s_lshl_b32 s25, s2, 2
	s_lshl_b64 s[2:3], s[14:15], 2
	s_add_i32 s26, s16, 1
	s_add_u32 s0, s2, s0
	s_addc_u32 s1, s3, s1
	s_add_u32 s16, s0, 8
	s_addc_u32 s17, s1, 0
                                        ; implicit-def: $sgpr14
	s_branch .LBB94_3
.LBB94_2:                               ;   in Loop: Header=BB94_3 Depth=1
	s_or_b32 exec_lo, exec_lo, s1
	s_delay_alu instid0(SALU_CYCLE_1) | instskip(NEXT) | instid1(SALU_CYCLE_1)
	s_and_b32 s0, exec_lo, s0
	s_or_b32 s15, s0, s15
	s_and_not1_b32 s0, s14, exec_lo
	s_and_b32 s1, s34, exec_lo
	s_and_not1_b32 s2, s28, exec_lo
	s_and_b32 s3, s31, exec_lo
	s_or_b32 s14, s0, s1
	s_or_b32 s28, s2, s3
	s_and_not1_b32 s0, s29, exec_lo
	s_and_b32 s1, s33, exec_lo
	s_and_not1_b32 s2, s27, exec_lo
	s_and_b32 s3, s30, exec_lo
	s_or_b32 s29, s0, s1
	s_or_b32 s27, s2, s3
	s_and_not1_b32 exec_lo, exec_lo, s15
	s_cbranch_execz .LBB94_61
.LBB94_3:                               ; =>This Loop Header: Depth=1
                                        ;     Child Loop BB94_6 Depth 2
                                        ;     Child Loop BB94_11 Depth 2
	;; [unrolled: 1-line block ×4, first 2 shown]
	v_sub_nc_u32_e32 v31, s20, v29
	v_mov_b32_e32 v5, 0
	s_delay_alu instid0(VALU_DEP_2) | instskip(NEXT) | instid1(VALU_DEP_1)
	v_cmp_lt_i32_e64 s0, 0, v31
	s_and_saveexec_b32 s1, s0
	s_cbranch_execz .LBB94_8
; %bb.4:                                ;   in Loop: Header=BB94_3 Depth=1
	v_dual_mov_b32 v0, 0 :: v_dual_mov_b32 v3, v29
	s_and_not1_b32 vcc_lo, exec_lo, s23
	s_cbranch_vccnz .LBB94_7
; %bb.5:                                ;   in Loop: Header=BB94_3 Depth=1
	v_dual_mov_b32 v0, 0 :: v_dual_mov_b32 v3, v29
	s_mov_b64 s[2:3], s[16:17]
	s_mov_b32 s18, s26
	s_set_inst_prefetch_distance 0x1
	.p2align	6
.LBB94_6:                               ;   Parent Loop BB94_3 Depth=1
                                        ; =>  This Inner Loop Header: Depth=2
	s_clause 0x1
	s_load_b32 s19, s[2:3], 0x0
	s_load_b32 s35, s[2:3], 0x64
	v_mov_b32_e32 v7, v3
	s_add_i32 s18, s18, -1
	s_waitcnt lgkmcnt(0)
	v_cvt_f32_u32_e32 v5, s19
	s_sub_i32 s36, 0, s19
	s_add_u32 s2, s2, -4
	s_addc_u32 s3, s3, -1
	s_cmp_gt_u32 s18, 2
	v_rcp_iflag_f32_e32 v5, v5
	s_waitcnt_depctr 0xfff
	v_mul_f32_e32 v5, 0x4f7ffffe, v5
	s_delay_alu instid0(VALU_DEP_1) | instskip(NEXT) | instid1(VALU_DEP_1)
	v_cvt_u32_f32_e32 v5, v5
	v_mul_lo_u32 v6, s36, v5
	s_delay_alu instid0(VALU_DEP_1) | instskip(NEXT) | instid1(VALU_DEP_1)
	v_mul_hi_u32 v6, v5, v6
	v_add_nc_u32_e32 v3, v5, v6
	s_delay_alu instid0(VALU_DEP_1) | instskip(NEXT) | instid1(VALU_DEP_1)
	v_mul_hi_u32 v3, v7, v3
	v_add_nc_u32_e32 v6, 1, v3
	v_mul_lo_u32 v5, v3, s19
	s_delay_alu instid0(VALU_DEP_1) | instskip(NEXT) | instid1(VALU_DEP_1)
	v_sub_nc_u32_e32 v5, v7, v5
	v_subrev_nc_u32_e32 v8, s19, v5
	v_cmp_le_u32_e32 vcc_lo, s19, v5
	v_cndmask_b32_e32 v3, v3, v6, vcc_lo
	s_delay_alu instid0(VALU_DEP_1) | instskip(NEXT) | instid1(VALU_DEP_1)
	v_dual_cndmask_b32 v5, v5, v8 :: v_dual_add_nc_u32 v6, 1, v3
	v_cmp_le_u32_e32 vcc_lo, s19, v5
	s_delay_alu instid0(VALU_DEP_2) | instskip(NEXT) | instid1(VALU_DEP_1)
	v_cndmask_b32_e32 v3, v3, v6, vcc_lo
	v_mul_lo_u32 v5, v3, s19
	s_delay_alu instid0(VALU_DEP_1) | instskip(NEXT) | instid1(VALU_DEP_1)
	v_sub_nc_u32_e32 v7, v7, v5
	v_mad_u64_u32 v[5:6], null, s35, v7, v[0:1]
	s_delay_alu instid0(VALU_DEP_1)
	v_mov_b32_e32 v0, v5
	s_cbranch_scc1 .LBB94_6
.LBB94_7:                               ;   in Loop: Header=BB94_3 Depth=1
	s_set_inst_prefetch_distance 0x2
	s_delay_alu instid0(VALU_DEP_1)
	v_mad_u64_u32 v[5:6], null, s22, v3, v[0:1]
.LBB94_8:                               ;   in Loop: Header=BB94_3 Depth=1
	s_or_b32 exec_lo, exec_lo, s1
	v_mov_b32_e32 v6, 0
	v_mov_b32_e32 v7, 0
	v_cmp_lt_i32_e64 s1, 1, v31
	s_delay_alu instid0(VALU_DEP_1)
	s_and_saveexec_b32 s18, s1
	s_cbranch_execz .LBB94_13
; %bb.9:                                ;   in Loop: Header=BB94_3 Depth=1
	v_or_b32_e32 v3, 1, v29
	v_mov_b32_e32 v0, 0
	s_and_not1_b32 vcc_lo, exec_lo, s23
	s_cbranch_vccnz .LBB94_12
; %bb.10:                               ;   in Loop: Header=BB94_3 Depth=1
	v_mov_b32_e32 v0, 0
	s_mov_b64 s[2:3], s[16:17]
	s_mov_b32 s19, s26
	s_set_inst_prefetch_distance 0x1
	.p2align	6
.LBB94_11:                              ;   Parent Loop BB94_3 Depth=1
                                        ; =>  This Inner Loop Header: Depth=2
	s_clause 0x1
	s_load_b32 s35, s[2:3], 0x0
	s_load_b32 s36, s[2:3], 0x64
	s_add_i32 s19, s19, -1
	s_waitcnt lgkmcnt(0)
	v_cvt_f32_u32_e32 v6, s35
	s_sub_i32 s37, 0, s35
	s_add_u32 s2, s2, -4
	s_addc_u32 s3, s3, -1
	s_cmp_gt_u32 s19, 2
	v_rcp_iflag_f32_e32 v6, v6
	s_waitcnt_depctr 0xfff
	v_mul_f32_e32 v6, 0x4f7ffffe, v6
	s_delay_alu instid0(VALU_DEP_1) | instskip(NEXT) | instid1(VALU_DEP_1)
	v_cvt_u32_f32_e32 v6, v6
	v_mul_lo_u32 v7, s37, v6
	s_delay_alu instid0(VALU_DEP_1) | instskip(NEXT) | instid1(VALU_DEP_1)
	v_mul_hi_u32 v7, v6, v7
	v_dual_mov_b32 v8, v3 :: v_dual_add_nc_u32 v3, v6, v7
	s_delay_alu instid0(VALU_DEP_1) | instskip(NEXT) | instid1(VALU_DEP_1)
	v_mul_hi_u32 v3, v8, v3
	v_mul_lo_u32 v6, v3, s35
	v_add_nc_u32_e32 v7, 1, v3
	s_delay_alu instid0(VALU_DEP_2) | instskip(NEXT) | instid1(VALU_DEP_1)
	v_sub_nc_u32_e32 v6, v8, v6
	v_subrev_nc_u32_e32 v9, s35, v6
	v_cmp_le_u32_e32 vcc_lo, s35, v6
	s_delay_alu instid0(VALU_DEP_2) | instskip(NEXT) | instid1(VALU_DEP_1)
	v_dual_cndmask_b32 v3, v3, v7 :: v_dual_cndmask_b32 v6, v6, v9
	v_add_nc_u32_e32 v7, 1, v3
	s_delay_alu instid0(VALU_DEP_2) | instskip(NEXT) | instid1(VALU_DEP_2)
	v_cmp_le_u32_e32 vcc_lo, s35, v6
	v_cndmask_b32_e32 v3, v3, v7, vcc_lo
	s_delay_alu instid0(VALU_DEP_1) | instskip(NEXT) | instid1(VALU_DEP_1)
	v_mul_lo_u32 v6, v3, s35
	v_sub_nc_u32_e32 v8, v8, v6
	s_delay_alu instid0(VALU_DEP_1) | instskip(NEXT) | instid1(VALU_DEP_1)
	v_mad_u64_u32 v[6:7], null, s36, v8, v[0:1]
	v_mov_b32_e32 v0, v6
	s_cbranch_scc1 .LBB94_11
.LBB94_12:                              ;   in Loop: Header=BB94_3 Depth=1
	s_set_inst_prefetch_distance 0x2
	s_delay_alu instid0(VALU_DEP_1)
	v_mad_u64_u32 v[6:7], null, s22, v3, v[0:1]
	v_mov_b32_e32 v7, v4
.LBB94_13:                              ;   in Loop: Header=BB94_3 Depth=1
	s_or_b32 exec_lo, exec_lo, s18
	v_mov_b32_e32 v8, 0
	v_mov_b32_e32 v9, 0
	v_cmp_lt_i32_e64 s2, 2, v31
	s_delay_alu instid0(VALU_DEP_1)
	s_and_saveexec_b32 s3, s2
	s_cbranch_execz .LBB94_18
; %bb.14:                               ;   in Loop: Header=BB94_3 Depth=1
	v_or_b32_e32 v3, 2, v29
	v_mov_b32_e32 v0, 0
	s_and_not1_b32 vcc_lo, exec_lo, s23
	s_cbranch_vccnz .LBB94_17
; %bb.15:                               ;   in Loop: Header=BB94_3 Depth=1
	v_mov_b32_e32 v0, 0
	s_mov_b64 s[18:19], s[16:17]
	s_mov_b32 s35, s26
	s_set_inst_prefetch_distance 0x1
	.p2align	6
.LBB94_16:                              ;   Parent Loop BB94_3 Depth=1
                                        ; =>  This Inner Loop Header: Depth=2
	s_clause 0x1
	s_load_b32 s36, s[18:19], 0x0
	s_load_b32 s37, s[18:19], 0x64
	s_add_i32 s35, s35, -1
	s_waitcnt lgkmcnt(0)
	v_cvt_f32_u32_e32 v8, s36
	s_sub_i32 s38, 0, s36
	s_add_u32 s18, s18, -4
	s_addc_u32 s19, s19, -1
	s_cmp_gt_u32 s35, 2
	v_rcp_iflag_f32_e32 v8, v8
	s_waitcnt_depctr 0xfff
	v_mul_f32_e32 v8, 0x4f7ffffe, v8
	s_delay_alu instid0(VALU_DEP_1) | instskip(NEXT) | instid1(VALU_DEP_1)
	v_cvt_u32_f32_e32 v8, v8
	v_mul_lo_u32 v9, s38, v8
	s_delay_alu instid0(VALU_DEP_1) | instskip(NEXT) | instid1(VALU_DEP_1)
	v_mul_hi_u32 v9, v8, v9
	v_dual_mov_b32 v10, v3 :: v_dual_add_nc_u32 v3, v8, v9
	s_delay_alu instid0(VALU_DEP_1) | instskip(NEXT) | instid1(VALU_DEP_1)
	v_mul_hi_u32 v3, v10, v3
	v_mul_lo_u32 v8, v3, s36
	v_add_nc_u32_e32 v9, 1, v3
	s_delay_alu instid0(VALU_DEP_2) | instskip(NEXT) | instid1(VALU_DEP_1)
	v_sub_nc_u32_e32 v8, v10, v8
	v_subrev_nc_u32_e32 v11, s36, v8
	v_cmp_le_u32_e32 vcc_lo, s36, v8
	s_delay_alu instid0(VALU_DEP_2) | instskip(NEXT) | instid1(VALU_DEP_1)
	v_dual_cndmask_b32 v3, v3, v9 :: v_dual_cndmask_b32 v8, v8, v11
	v_add_nc_u32_e32 v9, 1, v3
	s_delay_alu instid0(VALU_DEP_2) | instskip(NEXT) | instid1(VALU_DEP_2)
	v_cmp_le_u32_e32 vcc_lo, s36, v8
	v_cndmask_b32_e32 v3, v3, v9, vcc_lo
	s_delay_alu instid0(VALU_DEP_1) | instskip(NEXT) | instid1(VALU_DEP_1)
	v_mul_lo_u32 v8, v3, s36
	v_sub_nc_u32_e32 v10, v10, v8
	s_delay_alu instid0(VALU_DEP_1) | instskip(NEXT) | instid1(VALU_DEP_1)
	v_mad_u64_u32 v[8:9], null, s37, v10, v[0:1]
	v_mov_b32_e32 v0, v8
	s_cbranch_scc1 .LBB94_16
.LBB94_17:                              ;   in Loop: Header=BB94_3 Depth=1
	s_set_inst_prefetch_distance 0x2
	s_delay_alu instid0(VALU_DEP_1)
	v_mad_u64_u32 v[8:9], null, s22, v3, v[0:1]
	v_mov_b32_e32 v9, v4
.LBB94_18:                              ;   in Loop: Header=BB94_3 Depth=1
	s_or_b32 exec_lo, exec_lo, s3
	v_mov_b32_e32 v12, 0
	v_mov_b32_e32 v13, 0
	v_cmp_lt_i32_e64 s3, 3, v31
	s_delay_alu instid0(VALU_DEP_1)
	s_and_saveexec_b32 s35, s3
	s_cbranch_execz .LBB94_23
; %bb.19:                               ;   in Loop: Header=BB94_3 Depth=1
	v_or_b32_e32 v3, 3, v29
	v_mov_b32_e32 v0, 0
	s_and_not1_b32 vcc_lo, exec_lo, s23
	s_cbranch_vccnz .LBB94_22
; %bb.20:                               ;   in Loop: Header=BB94_3 Depth=1
	v_mov_b32_e32 v0, 0
	s_mov_b64 s[18:19], s[16:17]
	s_mov_b32 s36, s26
	s_set_inst_prefetch_distance 0x1
	.p2align	6
.LBB94_21:                              ;   Parent Loop BB94_3 Depth=1
                                        ; =>  This Inner Loop Header: Depth=2
	s_clause 0x1
	s_load_b32 s37, s[18:19], 0x0
	s_load_b32 s38, s[18:19], 0x64
	s_add_i32 s36, s36, -1
	s_waitcnt lgkmcnt(0)
	v_cvt_f32_u32_e32 v10, s37
	s_sub_i32 s39, 0, s37
	s_add_u32 s18, s18, -4
	s_addc_u32 s19, s19, -1
	s_cmp_gt_u32 s36, 2
	v_rcp_iflag_f32_e32 v10, v10
	s_waitcnt_depctr 0xfff
	v_mul_f32_e32 v10, 0x4f7ffffe, v10
	s_delay_alu instid0(VALU_DEP_1) | instskip(NEXT) | instid1(VALU_DEP_1)
	v_cvt_u32_f32_e32 v10, v10
	v_mul_lo_u32 v11, s39, v10
	s_delay_alu instid0(VALU_DEP_1) | instskip(NEXT) | instid1(VALU_DEP_1)
	v_mul_hi_u32 v11, v10, v11
	v_dual_mov_b32 v12, v3 :: v_dual_add_nc_u32 v3, v10, v11
	s_delay_alu instid0(VALU_DEP_1) | instskip(NEXT) | instid1(VALU_DEP_1)
	v_mul_hi_u32 v3, v12, v3
	v_mul_lo_u32 v10, v3, s37
	v_add_nc_u32_e32 v11, 1, v3
	s_delay_alu instid0(VALU_DEP_2) | instskip(NEXT) | instid1(VALU_DEP_1)
	v_sub_nc_u32_e32 v10, v12, v10
	v_subrev_nc_u32_e32 v13, s37, v10
	v_cmp_le_u32_e32 vcc_lo, s37, v10
	s_delay_alu instid0(VALU_DEP_2) | instskip(NEXT) | instid1(VALU_DEP_1)
	v_dual_cndmask_b32 v3, v3, v11 :: v_dual_cndmask_b32 v10, v10, v13
	v_add_nc_u32_e32 v11, 1, v3
	s_delay_alu instid0(VALU_DEP_2) | instskip(NEXT) | instid1(VALU_DEP_2)
	v_cmp_le_u32_e32 vcc_lo, s37, v10
	v_cndmask_b32_e32 v3, v3, v11, vcc_lo
	s_delay_alu instid0(VALU_DEP_1) | instskip(NEXT) | instid1(VALU_DEP_1)
	v_mul_lo_u32 v10, v3, s37
	v_sub_nc_u32_e32 v12, v12, v10
	s_delay_alu instid0(VALU_DEP_1) | instskip(NEXT) | instid1(VALU_DEP_1)
	v_mad_u64_u32 v[10:11], null, s38, v12, v[0:1]
	v_mov_b32_e32 v0, v10
	s_cbranch_scc1 .LBB94_21
.LBB94_22:                              ;   in Loop: Header=BB94_3 Depth=1
	s_set_inst_prefetch_distance 0x2
	s_delay_alu instid0(VALU_DEP_1)
	v_mad_u64_u32 v[12:13], null, s22, v3, v[0:1]
	v_mov_b32_e32 v13, v4
.LBB94_23:                              ;   in Loop: Header=BB94_3 Depth=1
	s_or_b32 exec_lo, exec_lo, s35
	v_mul_lo_u32 v0, v29, s21
	s_delay_alu instid0(VALU_DEP_1) | instskip(SKIP_1) | instid1(VALU_DEP_2)
	v_add_nc_u32_e32 v14, s21, v0
	v_cndmask_b32_e64 v3, 0, v0, s0
	v_add_nc_u32_e32 v0, s21, v14
	s_delay_alu instid0(VALU_DEP_2) | instskip(SKIP_1) | instid1(VALU_DEP_3)
	v_lshlrev_b64 v[10:11], 2, v[3:4]
	v_cndmask_b32_e64 v3, 0, v14, s1
	v_add_nc_u32_e32 v18, s21, v0
	s_delay_alu instid0(VALU_DEP_2) | instskip(SKIP_3) | instid1(VALU_DEP_3)
	v_lshlrev_b64 v[14:15], 2, v[3:4]
	v_cndmask_b32_e64 v3, 0, v0, s2
	v_add_co_u32 v10, vcc_lo, s8, v10
	v_add_co_ci_u32_e32 v11, vcc_lo, s9, v11, vcc_lo
	v_lshlrev_b64 v[16:17], 2, v[3:4]
	v_cndmask_b32_e64 v3, 0, v18, s3
	v_add_co_u32 v14, vcc_lo, s8, v14
	v_add_co_ci_u32_e32 v15, vcc_lo, s9, v15, vcc_lo
	s_delay_alu instid0(VALU_DEP_3) | instskip(SKIP_2) | instid1(VALU_DEP_3)
	v_lshlrev_b64 v[18:19], 2, v[3:4]
	v_add_co_u32 v16, vcc_lo, s8, v16
	v_add_co_ci_u32_e32 v17, vcc_lo, s9, v17, vcc_lo
	v_add_co_u32 v18, vcc_lo, s8, v18
	s_delay_alu instid0(VALU_DEP_4)
	v_add_co_ci_u32_e32 v19, vcc_lo, s9, v19, vcc_lo
	s_clause 0x3
	global_load_b32 v0, v[10:11], off
	global_load_b32 v3, v[14:15], off
	;; [unrolled: 1-line block ×4, first 2 shown]
	v_mov_b32_e32 v19, s5
	v_dual_mov_b32 v17, s7 :: v_dual_mov_b32 v16, s6
	v_mov_b32_e32 v18, s4
	s_and_not1_b32 vcc_lo, exec_lo, s24
	s_cbranch_vccnz .LBB94_25
; %bb.24:                               ;   in Loop: Header=BB94_3 Depth=1
	v_dual_mov_b32 v11, s7 :: v_dual_mov_b32 v10, s6
	v_dual_mov_b32 v15, s5 :: v_dual_mov_b32 v14, s4
	flat_load_b64 v[10:11], v[10:11]
	flat_load_b64 v[18:19], v[14:15]
	s_waitcnt vmcnt(1) lgkmcnt(1)
	v_add_co_u32 v16, vcc_lo, v10, s10
	v_add_co_ci_u32_e32 v17, vcc_lo, s11, v11, vcc_lo
.LBB94_25:                              ;   in Loop: Header=BB94_3 Depth=1
	s_delay_alu instid0(VALU_DEP_1)
	v_alignbit_b32 v20, v17, v16, 2
	v_lshrrev_b32_e32 v14, 2, v17
	s_waitcnt vmcnt(0) lgkmcnt(0)
	v_add_nc_u32_e32 v35, 0xbb67ae85, v19
	v_add_nc_u32_e32 v36, 0x3c6ef372, v18
	;; [unrolled: 1-line block ×3, first 2 shown]
	v_add_co_u32 v15, vcc_lo, v20, 1
	s_delay_alu instid0(VALU_DEP_1) | instskip(SKIP_4) | instid1(VALU_DEP_4)
	v_cndmask_b32_e64 v10, 0, 1, vcc_lo
	v_add_co_ci_u32_e32 v17, vcc_lo, 0, v14, vcc_lo
	v_xor3_b32 v22, v30, v18, v14
	v_add_nc_u32_e32 v39, 0xed9eba14, v19
	v_add_nc_u32_e32 v40, 0x1fd5c5a3, v19
	v_cmp_eq_u32_e32 vcc_lo, 0, v17
	s_mov_b32 s0, exec_lo
	v_dual_cndmask_b32 v21, 0, v10 :: v_dual_add_nc_u32 v38, 0x32370b8f, v19
	v_mad_u64_u32 v[10:11], null, 0xd2511f53, v15, 0
	v_mad_u64_u32 v[14:15], null, 0xd2511f53, v20, 0
	s_delay_alu instid0(VALU_DEP_3) | instskip(NEXT) | instid1(VALU_DEP_3)
	v_add_nc_u32_e32 v24, v21, v1
	v_xor_b32_e32 v11, v11, v19
	s_delay_alu instid0(VALU_DEP_2) | instskip(SKIP_1) | instid1(VALU_DEP_1)
	v_cmp_eq_u32_e32 vcc_lo, 0, v24
	v_dual_cndmask_b32 v21, 0, v21 :: v_dual_add_nc_u32 v34, 0x9e3779b9, v18
	v_xor_b32_e32 v11, v21, v11
	v_mad_u64_u32 v[20:21], null, 0xd2511f53, v22, 0
	v_mad_u64_u32 v[22:23], null, 0xcd9e8d57, v24, 0
	s_delay_alu instid0(VALU_DEP_3) | instskip(SKIP_1) | instid1(VALU_DEP_4)
	v_mad_u64_u32 v[24:25], null, 0xcd9e8d57, v11, 0
	v_xor_b32_e32 v11, v15, v19
	v_xor3_b32 v26, v35, v21, v14
	s_delay_alu instid0(VALU_DEP_2) | instskip(SKIP_2) | instid1(VALU_DEP_4)
	v_mad_u64_u32 v[14:15], null, 0xcd9e8d57, v11, 0
	v_xor3_b32 v11, v23, v18, v17
	v_xor3_b32 v17, v34, v25, v22
	v_mad_u64_u32 v[21:22], null, 0xcd9e8d57, v26, 0
	s_delay_alu instid0(VALU_DEP_3) | instskip(NEXT) | instid1(VALU_DEP_3)
	v_mad_u64_u32 v[25:26], null, 0xd2511f53, v11, 0
	v_mad_u64_u32 v[27:28], null, 0xd2511f53, v17, 0
	v_xor3_b32 v11, v2, v15, v34
	s_delay_alu instid0(VALU_DEP_4) | instskip(SKIP_2) | instid1(VALU_DEP_4)
	v_xor3_b32 v22, v36, v22, v14
	v_add_nc_u32_e32 v17, 0xdaa66d2b, v18
	v_xor3_b32 v26, v35, v26, v10
	v_mad_u64_u32 v[14:15], null, 0xd2511f53, v11, 0
	v_xor3_b32 v28, v37, v28, v25
	v_mad_u64_u32 v[10:11], null, 0xd2511f53, v22, 0
	s_delay_alu instid0(VALU_DEP_4) | instskip(NEXT) | instid1(VALU_DEP_3)
	v_mad_u64_u32 v[22:23], null, 0xcd9e8d57, v26, 0
	v_mad_u64_u32 v[25:26], null, 0xcd9e8d57, v28, 0
	v_xor3_b32 v20, v37, v15, v20
	v_add_nc_u32_e32 v28, 0x78dde6e4, v18
	v_xor3_b32 v11, v38, v11, v14
	s_delay_alu instid0(VALU_DEP_3) | instskip(SKIP_2) | instid1(VALU_DEP_4)
	v_mad_u64_u32 v[14:15], null, 0xcd9e8d57, v20, 0
	v_xor3_b32 v20, v36, v23, v24
	v_xor3_b32 v24, v17, v26, v22
	v_mad_u64_u32 v[22:23], null, 0xcd9e8d57, v11, 0
	s_delay_alu instid0(VALU_DEP_3) | instskip(NEXT) | instid1(VALU_DEP_3)
	v_mad_u64_u32 v[34:35], null, 0xd2511f53, v20, 0
	v_mad_u64_u32 v[36:37], null, 0xd2511f53, v24, 0
	v_xor3_b32 v11, v17, v15, v21
	s_delay_alu instid0(VALU_DEP_4) | instskip(SKIP_2) | instid1(VALU_DEP_4)
	v_xor3_b32 v20, v28, v23, v14
	v_add_nc_u32_e32 v17, 0x1715609d, v18
	v_add_nc_u32_e32 v24, 0xa9066899, v19
	v_mad_u64_u32 v[14:15], null, 0xd2511f53, v11, 0
	v_xor3_b32 v11, v38, v35, v27
	v_xor3_b32 v23, v39, v37, v34
	v_mad_u64_u32 v[26:27], null, 0xd2511f53, v20, 0
	v_add_nc_u32_e32 v35, 0xb54cda56, v18
	s_delay_alu instid0(VALU_DEP_4) | instskip(NEXT) | instid1(VALU_DEP_4)
	v_mad_u64_u32 v[20:21], null, 0xcd9e8d57, v11, 0
	v_mad_u64_u32 v[37:38], null, 0xcd9e8d57, v23, 0
	v_xor3_b32 v15, v39, v15, v10
	v_xor3_b32 v23, v24, v27, v14
	v_add_nc_u32_e32 v34, 0x646e171e, v19
	v_xor3_b32 v25, v28, v21, v25
	s_delay_alu instid0(VALU_DEP_4) | instskip(SKIP_2) | instid1(VALU_DEP_4)
	v_mad_u64_u32 v[10:11], null, 0xcd9e8d57, v15, 0
	v_xor3_b32 v27, v17, v38, v20
	v_mad_u64_u32 v[14:15], null, 0xcd9e8d57, v23, 0
	v_mad_u64_u32 v[20:21], null, 0xd2511f53, v25, 0
	s_delay_alu instid0(VALU_DEP_3) | instskip(SKIP_3) | instid1(VALU_DEP_3)
	v_mad_u64_u32 v[38:39], null, 0xd2511f53, v27, 0
	v_xor3_b32 v17, v17, v11, v22
	v_add_nc_u32_e32 v25, 0x5384540f, v18
	v_xor3_b32 v15, v35, v15, v10
	v_mad_u64_u32 v[10:11], null, 0xd2511f53, v17, 0
	v_xor3_b32 v17, v24, v21, v36
	v_xor3_b32 v22, v34, v39, v20
	s_delay_alu instid0(VALU_DEP_4) | instskip(NEXT) | instid1(VALU_DEP_3)
	v_mad_u64_u32 v[20:21], null, 0xd2511f53, v15, 0
	v_mad_u64_u32 v[27:28], null, 0xcd9e8d57, v17, 0
	s_delay_alu instid0(VALU_DEP_3) | instskip(SKIP_1) | instid1(VALU_DEP_4)
	v_mad_u64_u32 v[23:24], null, 0xcd9e8d57, v22, 0
	v_xor3_b32 v15, v34, v11, v26
	v_xor3_b32 v17, v40, v21, v10
	v_add_co_u32 v34, null, 0xf1bbcdc8, v18
	s_delay_alu instid0(VALU_DEP_3) | instskip(SKIP_4) | instid1(VALU_DEP_4)
	v_mad_u64_u32 v[10:11], null, 0xcd9e8d57, v15, 0
	v_xor3_b32 v15, v35, v28, v37
	v_xor3_b32 v24, v25, v24, v27
	v_mad_u64_u32 v[21:22], null, 0xcd9e8d57, v17, 0
	v_add_nc_u32_e32 v35, 0xdb3d7428, v19
	v_mad_u64_u32 v[36:37], null, 0xd2511f53, v15, 0
	s_delay_alu instid0(VALU_DEP_4) | instskip(SKIP_4) | instid1(VALU_DEP_4)
	v_mad_u64_u32 v[26:27], null, 0xd2511f53, v24, 0
	v_xor3_b32 v11, v25, v11, v14
	v_xor3_b32 v14, v34, v22, v10
	v_add_nc_u32_e32 v22, 0x8ff34781, v18
	v_xor3_b32 v15, v40, v37, v38
	v_mad_u64_u32 v[24:25], null, 0xd2511f53, v11, 0
	v_xor3_b32 v17, v35, v27, v36
	v_mad_u64_u32 v[10:11], null, 0xd2511f53, v14, 0
	s_delay_alu instid0(VALU_DEP_4) | instskip(NEXT) | instid1(VALU_DEP_3)
	v_mad_u64_u32 v[27:28], null, 0xcd9e8d57, v15, 0
	v_mad_u64_u32 v[14:15], null, 0xcd9e8d57, v17, 0
	v_add_nc_u32_e32 v36, 0x96a522ad, v19
	v_and_b32_e32 v19, 3, v16
                                        ; implicit-def: $vgpr17
	s_delay_alu instid0(VALU_DEP_2) | instskip(NEXT) | instid1(VALU_DEP_4)
	v_xor3_b32 v18, v11, v24, v36
	v_xor3_b32 v11, v15, v27, v22
	s_delay_alu instid0(VALU_DEP_3)
	v_cmpx_lt_i32_e32 1, v19
	s_xor_b32 s0, exec_lo, s0
	s_cbranch_execz .LBB94_31
; %bb.26:                               ;   in Loop: Header=BB94_3 Depth=1
	s_mov_b32 s1, exec_lo
                                        ; implicit-def: $vgpr17
	v_cmpx_lt_i32_e32 2, v19
	s_xor_b32 s1, exec_lo, s1
; %bb.27:                               ;   in Loop: Header=BB94_3 Depth=1
	v_xor3_b32 v15, v34, v28, v23
                                        ; implicit-def: $vgpr18
	s_delay_alu instid0(VALU_DEP_1) | instskip(NEXT) | instid1(VALU_DEP_1)
	v_mul_hi_u32 v15, 0xd2511f53, v15
	v_xor3_b32 v17, v15, v26, v36
; %bb.28:                               ;   in Loop: Header=BB94_3 Depth=1
	s_and_not1_saveexec_b32 s1, s1
; %bb.29:                               ;   in Loop: Header=BB94_3 Depth=1
	v_dual_mov_b32 v17, v14 :: v_dual_mov_b32 v14, v11
	v_mov_b32_e32 v11, v10
	v_mov_b32_e32 v10, v18
; %bb.30:                               ;   in Loop: Header=BB94_3 Depth=1
	s_or_b32 exec_lo, exec_lo, s1
                                        ; implicit-def: $vgpr20_vgpr21
                                        ; implicit-def: $vgpr19
                                        ; implicit-def: $vgpr18
                                        ; implicit-def: $vgpr35
                                        ; implicit-def: $vgpr24_vgpr25
                                        ; implicit-def: $vgpr21_vgpr22
                                        ; implicit-def: $vgpr22
.LBB94_31:                              ;   in Loop: Header=BB94_3 Depth=1
	s_and_not1_saveexec_b32 s0, s0
	s_cbranch_execz .LBB94_35
; %bb.32:                               ;   in Loop: Header=BB94_3 Depth=1
	v_xor3_b32 v14, v35, v25, v20
	v_cmp_eq_u32_e32 vcc_lo, 1, v19
	s_delay_alu instid0(VALU_DEP_2) | instskip(SKIP_2) | instid1(VALU_DEP_3)
	v_mad_u64_u32 v[15:16], null, 0xcd9e8d57, v14, 0
	v_mov_b32_e32 v17, v10
	v_mov_b32_e32 v14, v18
	v_xor3_b32 v19, v16, v21, v22
	s_delay_alu instid0(VALU_DEP_4)
	v_mov_b32_e32 v16, v15
	s_and_saveexec_b32 s1, vcc_lo
; %bb.33:                               ;   in Loop: Header=BB94_3 Depth=1
	v_dual_mov_b32 v17, v11 :: v_dual_mov_b32 v14, v10
	v_dual_mov_b32 v16, v18 :: v_dual_mov_b32 v19, v15
; %bb.34:                               ;   in Loop: Header=BB94_3 Depth=1
	s_or_b32 exec_lo, exec_lo, s1
	s_delay_alu instid0(VALU_DEP_1)
	v_dual_mov_b32 v10, v19 :: v_dual_mov_b32 v11, v16
.LBB94_35:                              ;   in Loop: Header=BB94_3 Depth=1
	s_or_b32 exec_lo, exec_lo, s0
	v_min_i32_e32 v15, 4, v31
	s_mov_b32 s1, 0
	s_mov_b32 s36, 0
	;; [unrolled: 1-line block ×3, first 2 shown]
                                        ; implicit-def: $sgpr3
                                        ; implicit-def: $sgpr18
                                        ; implicit-def: $sgpr19
	s_mov_b32 s0, exec_lo
	v_cmpx_lt_i32_e32 2, v15
	s_xor_b32 s35, exec_lo, s0
	s_cbranch_execz .LBB94_47
; %bb.36:                               ;   in Loop: Header=BB94_3 Depth=1
	s_mov_b32 s0, -1
	s_mov_b32 s37, 0
	s_mov_b32 s18, exec_lo
                                        ; implicit-def: $sgpr2
                                        ; implicit-def: $sgpr3
	v_cmpx_lt_i32_e32 3, v15
	s_cbranch_execz .LBB94_42
; %bb.37:                               ;   in Loop: Header=BB94_3 Depth=1
	s_mov_b32 s0, 0
	s_mov_b32 s37, -1
	s_mov_b32 s19, exec_lo
                                        ; implicit-def: $sgpr2
                                        ; implicit-def: $sgpr3
	v_cmpx_eq_u32_e32 4, v15
	s_cbranch_execz .LBB94_41
; %bb.38:                               ;   in Loop: Header=BB94_3 Depth=1
	v_cmp_le_f32_e32 vcc_lo, 0, v33
	v_cmp_ge_f32_e64 s0, 1.0, v33
	s_mov_b32 s2, 0
	s_delay_alu instid0(VALU_DEP_1)
	s_and_b32 s37, vcc_lo, s0
	s_mov_b32 s0, 0
	s_and_saveexec_b32 s3, s37
	s_cbranch_execz .LBB94_40
; %bb.39:                               ;   in Loop: Header=BB94_3 Depth=1
	v_cvt_f32_u32_e32 v16, v17
	v_lshlrev_b64 v[12:13], 1, v[12:13]
	s_mov_b32 s0, exec_lo
	s_delay_alu instid0(VALU_DEP_2) | instskip(NEXT) | instid1(VALU_DEP_2)
	v_fmaak_f32 v16, 0x2f800000, v16, 0x2f800000
	v_add_co_u32 v12, vcc_lo, s12, v12
	s_delay_alu instid0(VALU_DEP_3) | instskip(NEXT) | instid1(VALU_DEP_3)
	v_add_co_ci_u32_e32 v13, vcc_lo, s13, v13, vcc_lo
	v_cmp_le_f32_e32 vcc_lo, v16, v33
	v_cndmask_b32_e64 v16, 0, 0x3c00, vcc_lo
	global_store_b16 v[12:13], v16, off
.LBB94_40:                              ;   in Loop: Header=BB94_3 Depth=1
	s_or_b32 exec_lo, exec_lo, s3
	s_mov_b32 s3, -1
	s_xor_b32 s37, exec_lo, -1
	s_and_b32 s0, s0, exec_lo
.LBB94_41:                              ;   in Loop: Header=BB94_3 Depth=1
	s_or_b32 exec_lo, exec_lo, s19
	s_delay_alu instid0(SALU_CYCLE_1)
	s_and_b32 s37, s37, exec_lo
	s_or_not1_b32 s0, s0, exec_lo
.LBB94_42:                              ;   in Loop: Header=BB94_3 Depth=1
	s_or_b32 exec_lo, exec_lo, s18
	s_mov_b32 s19, s2
	s_and_saveexec_b32 s18, s0
	s_cbranch_execz .LBB94_46
; %bb.43:                               ;   in Loop: Header=BB94_3 Depth=1
	v_cmp_le_f32_e32 vcc_lo, 0, v32
	v_cmp_ge_f32_e64 s0, 1.0, v32
	s_delay_alu instid0(VALU_DEP_1) | instskip(SKIP_2) | instid1(SALU_CYCLE_1)
	s_and_b32 s19, vcc_lo, s0
	s_mov_b32 s0, 0
	s_and_saveexec_b32 s36, s19
	s_xor_b32 s19, exec_lo, s36
	s_cbranch_execz .LBB94_45
; %bb.44:                               ;   in Loop: Header=BB94_3 Depth=1
	v_cvt_f32_u32_e32 v12, v14
	v_lshlrev_b64 v[8:9], 1, v[8:9]
	s_mov_b32 s0, exec_lo
	s_delay_alu instid0(VALU_DEP_2) | instskip(NEXT) | instid1(VALU_DEP_2)
	v_fmaak_f32 v12, 0x2f800000, v12, 0x2f800000
	v_add_co_u32 v8, vcc_lo, s12, v8
	s_delay_alu instid0(VALU_DEP_3) | instskip(NEXT) | instid1(VALU_DEP_3)
	v_add_co_ci_u32_e32 v9, vcc_lo, s13, v9, vcc_lo
	v_cmp_le_f32_e32 vcc_lo, v12, v32
	v_cndmask_b32_e64 v12, 0, 0x3c00, vcc_lo
	global_store_b16 v[8:9], v12, off
.LBB94_45:                              ;   in Loop: Header=BB94_3 Depth=1
	s_or_b32 exec_lo, exec_lo, s19
	s_delay_alu instid0(SALU_CYCLE_1)
	s_and_not1_b32 s19, s2, exec_lo
	s_or_b32 s2, s2, exec_lo
	s_and_not1_b32 s3, s3, exec_lo
	s_and_b32 s36, s0, exec_lo
.LBB94_46:                              ;   in Loop: Header=BB94_3 Depth=1
	s_or_b32 exec_lo, exec_lo, s18
	s_delay_alu instid0(SALU_CYCLE_1)
	s_and_b32 s19, s19, exec_lo
	s_and_b32 s18, s2, exec_lo
	s_and_b32 s3, s3, exec_lo
	s_and_b32 s2, s37, exec_lo
	s_and_b32 s36, s36, exec_lo
.LBB94_47:                              ;   in Loop: Header=BB94_3 Depth=1
	s_and_not1_saveexec_b32 s0, s35
; %bb.48:                               ;   in Loop: Header=BB94_3 Depth=1
	v_cmp_lt_i32_e32 vcc_lo, 1, v15
	s_and_not1_b32 s35, s36, exec_lo
	s_mov_b32 s1, exec_lo
	s_and_not1_b32 s19, s19, exec_lo
	s_and_not1_b32 s18, s18, exec_lo
	s_and_b32 s36, vcc_lo, exec_lo
	s_and_not1_b32 s3, s3, exec_lo
	s_or_b32 s36, s35, s36
; %bb.49:                               ;   in Loop: Header=BB94_3 Depth=1
	s_or_b32 exec_lo, exec_lo, s0
	s_mov_b32 s0, 0
	s_mov_b32 s35, s19
	s_and_saveexec_b32 s37, s36
	s_cbranch_execnz .LBB94_52
; %bb.50:                               ;   in Loop: Header=BB94_3 Depth=1
	s_or_b32 exec_lo, exec_lo, s37
	s_and_saveexec_b32 s36, s1
	s_cbranch_execnz .LBB94_55
.LBB94_51:                              ;   in Loop: Header=BB94_3 Depth=1
	s_or_b32 exec_lo, exec_lo, s36
	s_and_saveexec_b32 s1, s0
	s_cbranch_execnz .LBB94_56
	s_branch .LBB94_59
.LBB94_52:                              ;   in Loop: Header=BB94_3 Depth=1
	v_cmp_le_f32_e32 vcc_lo, 0, v3
	v_cmp_ge_f32_e64 s0, 1.0, v3
	s_delay_alu instid0(VALU_DEP_1) | instskip(SKIP_2) | instid1(SALU_CYCLE_1)
	s_and_b32 s35, vcc_lo, s0
	s_mov_b32 s0, 0
	s_and_saveexec_b32 s36, s35
	s_xor_b32 s35, exec_lo, s36
	s_cbranch_execz .LBB94_54
; %bb.53:                               ;   in Loop: Header=BB94_3 Depth=1
	v_cvt_f32_u32_e32 v8, v11
	v_lshlrev_b64 v[6:7], 1, v[6:7]
	s_mov_b32 s0, exec_lo
	s_delay_alu instid0(VALU_DEP_2) | instskip(NEXT) | instid1(VALU_DEP_2)
	v_fmaak_f32 v8, 0x2f800000, v8, 0x2f800000
	v_add_co_u32 v6, vcc_lo, s12, v6
	s_delay_alu instid0(VALU_DEP_3) | instskip(NEXT) | instid1(VALU_DEP_3)
	v_add_co_ci_u32_e32 v7, vcc_lo, s13, v7, vcc_lo
	v_cmp_le_f32_e32 vcc_lo, v8, v3
	v_cndmask_b32_e64 v3, 0, 0x3c00, vcc_lo
	global_store_b16 v[6:7], v3, off
.LBB94_54:                              ;   in Loop: Header=BB94_3 Depth=1
	s_or_b32 exec_lo, exec_lo, s35
	s_delay_alu instid0(SALU_CYCLE_1)
	s_and_not1_b32 s35, s19, exec_lo
	s_or_b32 s19, s19, exec_lo
	s_and_not1_b32 s18, s18, exec_lo
	s_and_not1_b32 s3, s3, exec_lo
	s_and_b32 s0, s0, exec_lo
	s_and_not1_b32 s1, s1, exec_lo
	s_or_b32 exec_lo, exec_lo, s37
	s_and_saveexec_b32 s36, s1
	s_cbranch_execz .LBB94_51
.LBB94_55:                              ;   in Loop: Header=BB94_3 Depth=1
	v_cmp_eq_u32_e32 vcc_lo, 1, v15
	s_and_not1_b32 s0, s0, exec_lo
	s_and_not1_b32 s35, s35, exec_lo
	;; [unrolled: 1-line block ×4, first 2 shown]
	s_and_b32 s1, vcc_lo, exec_lo
	s_and_not1_b32 s3, s3, exec_lo
	s_or_b32 s2, s2, exec_lo
	s_or_b32 s0, s0, s1
	s_or_b32 exec_lo, exec_lo, s36
	s_and_saveexec_b32 s1, s0
	s_cbranch_execz .LBB94_59
.LBB94_56:                              ;   in Loop: Header=BB94_3 Depth=1
	v_cmp_le_f32_e32 vcc_lo, 0, v0
	v_cmp_ge_f32_e64 s0, 1.0, v0
	s_delay_alu instid0(VALU_DEP_1)
	s_and_b32 s37, vcc_lo, s0
	s_mov_b32 s0, 0
	s_and_saveexec_b32 s36, s37
	s_cbranch_execz .LBB94_58
; %bb.57:                               ;   in Loop: Header=BB94_3 Depth=1
	v_cvt_f32_u32_e32 v3, v10
	v_mov_b32_e32 v6, v4
	s_mov_b32 s0, exec_lo
	s_delay_alu instid0(VALU_DEP_2) | instskip(NEXT) | instid1(VALU_DEP_2)
	v_fmaak_f32 v3, 0x2f800000, v3, 0x2f800000
	v_lshlrev_b64 v[5:6], 1, v[5:6]
	s_delay_alu instid0(VALU_DEP_1) | instskip(NEXT) | instid1(VALU_DEP_2)
	v_add_co_u32 v5, vcc_lo, s12, v5
	v_add_co_ci_u32_e32 v6, vcc_lo, s13, v6, vcc_lo
	s_delay_alu instid0(VALU_DEP_4)
	v_cmp_le_f32_e32 vcc_lo, v3, v0
	v_cndmask_b32_e64 v0, 0, 0x3c00, vcc_lo
	global_store_b16 v[5:6], v0, off
.LBB94_58:                              ;   in Loop: Header=BB94_3 Depth=1
	s_or_b32 exec_lo, exec_lo, s36
	s_delay_alu instid0(SALU_CYCLE_1)
	s_and_not1_b32 s2, s2, exec_lo
	s_and_b32 s0, s0, exec_lo
	s_or_b32 s35, s35, exec_lo
	s_and_not1_b32 s19, s19, exec_lo
	s_and_not1_b32 s18, s18, exec_lo
	;; [unrolled: 1-line block ×3, first 2 shown]
	s_or_b32 s2, s2, s0
.LBB94_59:                              ;   in Loop: Header=BB94_3 Depth=1
	s_or_b32 exec_lo, exec_lo, s1
	s_delay_alu instid0(SALU_CYCLE_1)
	s_and_not1_b32 s1, s34, exec_lo
	s_and_b32 s34, s35, exec_lo
	s_and_not1_b32 s31, s31, exec_lo
	s_and_b32 s19, s19, exec_lo
	s_or_b32 s34, s1, s34
	s_or_b32 s31, s31, s19
	s_and_not1_b32 s1, s33, exec_lo
	s_and_b32 s18, s18, exec_lo
	s_and_not1_b32 s19, s30, exec_lo
	s_and_b32 s3, s3, exec_lo
	s_mov_b32 s0, -1
	s_or_b32 s33, s1, s18
	s_or_b32 s30, s19, s3
	s_and_saveexec_b32 s1, s2
	s_cbranch_execz .LBB94_2
; %bb.60:                               ;   in Loop: Header=BB94_3 Depth=1
	v_add_nc_u32_e32 v29, s25, v29
	s_and_not1_b32 s34, s34, exec_lo
	s_and_not1_b32 s31, s31, exec_lo
	s_and_not1_b32 s33, s33, exec_lo
	s_and_not1_b32 s30, s30, exec_lo
	v_cmp_le_u32_e32 vcc_lo, s20, v29
	s_or_not1_b32 s0, vcc_lo, exec_lo
	s_branch .LBB94_2
.LBB94_61:
	s_or_b32 exec_lo, exec_lo, s15
	s_xor_b32 s3, s28, -1
	s_xor_b32 s4, s29, -1
	s_xor_b32 s0, s27, -1
	s_mov_b32 s1, 0
	s_and_saveexec_b32 s2, s0
	s_delay_alu instid0(SALU_CYCLE_1)
	s_xor_b32 s0, exec_lo, s2
	s_cbranch_execz .LBB94_70
; %bb.62:
	s_mov_b32 s2, 0
	s_and_saveexec_b32 s1, s4
	s_delay_alu instid0(SALU_CYCLE_1)
	s_xor_b32 s1, exec_lo, s1
	s_cbranch_execz .LBB94_68
; %bb.63:
	s_and_saveexec_b32 s4, s3
	s_delay_alu instid0(SALU_CYCLE_1)
	s_xor_b32 s3, exec_lo, s4
	s_cbranch_execz .LBB94_66
; %bb.64:
	s_and_saveexec_b32 s4, s14
	s_delay_alu instid0(SALU_CYCLE_1)
	s_xor_b32 s4, exec_lo, s4
	s_cbranch_execnz .LBB94_84
.LBB94_65:
	s_or_b32 exec_lo, exec_lo, s4
	s_delay_alu instid0(SALU_CYCLE_1)
	s_and_b32 s2, s2, exec_lo
.LBB94_66:
	s_and_not1_saveexec_b32 s3, s3
	s_cbranch_execnz .LBB94_80
.LBB94_67:
	s_or_b32 exec_lo, exec_lo, s3
	s_delay_alu instid0(SALU_CYCLE_1)
	s_and_b32 s2, s2, exec_lo
.LBB94_68:
	s_and_not1_saveexec_b32 s1, s1
	s_cbranch_execnz .LBB94_76
.LBB94_69:
	s_or_b32 exec_lo, exec_lo, s1
	s_delay_alu instid0(SALU_CYCLE_1)
	s_and_b32 s1, s2, exec_lo
.LBB94_70:
	s_and_not1_saveexec_b32 s0, s0
	s_cbranch_execnz .LBB94_74
; %bb.71:
	s_or_b32 exec_lo, exec_lo, s0
	s_delay_alu instid0(SALU_CYCLE_1)
	s_and_b32 exec_lo, exec_lo, s1
.LBB94_72:
	; divergent unreachable
.LBB94_73:
	s_nop 0
	s_sendmsg sendmsg(MSG_DEALLOC_VGPRS)
	s_endpgm
.LBB94_74:
	s_cbranch_execnz .LBB94_78
; %bb.75:
	s_or_b32 s1, s1, exec_lo
	s_or_b32 exec_lo, exec_lo, s0
	s_delay_alu instid0(SALU_CYCLE_1)
	s_and_b32 exec_lo, exec_lo, s1
	s_cbranch_execnz .LBB94_72
	s_branch .LBB94_73
.LBB94_76:
	s_cbranch_execnz .LBB94_82
; %bb.77:
	s_or_b32 s2, s2, exec_lo
	s_branch .LBB94_69
.LBB94_78:
	s_trap 2
	s_sendmsg_rtn_b32 s0, sendmsg(MSG_RTN_GET_DOORBELL)
	s_mov_b32 ttmp2, m0
	s_waitcnt lgkmcnt(0)
	s_and_b32 s0, s0, 0x3ff
	s_delay_alu instid0(SALU_CYCLE_1) | instskip(NEXT) | instid1(SALU_CYCLE_1)
	s_bitset1_b32 s0, 10
	s_mov_b32 m0, s0
	s_sendmsg sendmsg(MSG_INTERRUPT)
	s_mov_b32 m0, ttmp2
.LBB94_79:                              ; =>This Inner Loop Header: Depth=1
	s_sethalt 5
	s_branch .LBB94_79
.LBB94_80:
	s_cbranch_execnz .LBB94_86
; %bb.81:
	s_or_b32 s2, s2, exec_lo
	s_branch .LBB94_67
.LBB94_82:
	s_trap 2
	s_sendmsg_rtn_b32 s0, sendmsg(MSG_RTN_GET_DOORBELL)
	s_mov_b32 ttmp2, m0
	s_waitcnt lgkmcnt(0)
	s_and_b32 s0, s0, 0x3ff
	s_delay_alu instid0(SALU_CYCLE_1) | instskip(NEXT) | instid1(SALU_CYCLE_1)
	s_bitset1_b32 s0, 10
	s_mov_b32 m0, s0
	s_sendmsg sendmsg(MSG_INTERRUPT)
	s_mov_b32 m0, ttmp2
.LBB94_83:                              ; =>This Inner Loop Header: Depth=1
	s_sethalt 5
	s_branch .LBB94_83
.LBB94_84:
	s_cbranch_execnz .LBB94_88
; %bb.85:
	s_mov_b32 s2, exec_lo
	s_branch .LBB94_65
.LBB94_86:
	s_trap 2
	s_sendmsg_rtn_b32 s0, sendmsg(MSG_RTN_GET_DOORBELL)
	s_mov_b32 ttmp2, m0
	s_waitcnt lgkmcnt(0)
	s_and_b32 s0, s0, 0x3ff
	s_delay_alu instid0(SALU_CYCLE_1) | instskip(NEXT) | instid1(SALU_CYCLE_1)
	s_bitset1_b32 s0, 10
	s_mov_b32 m0, s0
	s_sendmsg sendmsg(MSG_INTERRUPT)
	s_mov_b32 m0, ttmp2
.LBB94_87:                              ; =>This Inner Loop Header: Depth=1
	s_sethalt 5
	s_branch .LBB94_87
.LBB94_88:
	s_trap 2
	s_sendmsg_rtn_b32 s0, sendmsg(MSG_RTN_GET_DOORBELL)
	s_mov_b32 ttmp2, m0
	s_waitcnt lgkmcnt(0)
	s_and_b32 s0, s0, 0x3ff
	s_delay_alu instid0(SALU_CYCLE_1) | instskip(NEXT) | instid1(SALU_CYCLE_1)
	s_bitset1_b32 s0, 10
	s_mov_b32 m0, s0
	s_sendmsg sendmsg(MSG_INTERRUPT)
	s_mov_b32 m0, ttmp2
.LBB94_89:                              ; =>This Inner Loop Header: Depth=1
	s_sethalt 5
	s_branch .LBB94_89
	.section	.rodata,"a",@progbits
	.p2align	6, 0x0
	.amdhsa_kernel _ZN2at4cuda12_GLOBAL__N_121kernelPointwiseApply2IZNS_6native9templates4cuda28bernoulli_tensor_cuda_kernelIN3c104HalfEfEEvRKNS_10TensorBaseESB_NS_15PhiloxCudaStateEEUliRS8_SD_SD_SD_RKfSF_SF_SF_E_S8_SE_jLin1ELi1ELi4ELi512ELi2EEEvNS0_6detail10TensorInfoIT0_T2_EENSI_IT1_SK_EESK_T_
		.amdhsa_group_segment_fixed_size 0
		.amdhsa_private_segment_fixed_size 0
		.amdhsa_kernarg_size 728
		.amdhsa_user_sgpr_count 15
		.amdhsa_user_sgpr_dispatch_ptr 0
		.amdhsa_user_sgpr_queue_ptr 0
		.amdhsa_user_sgpr_kernarg_segment_ptr 1
		.amdhsa_user_sgpr_dispatch_id 0
		.amdhsa_user_sgpr_private_segment_size 0
		.amdhsa_wavefront_size32 1
		.amdhsa_uses_dynamic_stack 0
		.amdhsa_enable_private_segment 0
		.amdhsa_system_sgpr_workgroup_id_x 1
		.amdhsa_system_sgpr_workgroup_id_y 0
		.amdhsa_system_sgpr_workgroup_id_z 0
		.amdhsa_system_sgpr_workgroup_info 0
		.amdhsa_system_vgpr_workitem_id 0
		.amdhsa_next_free_vgpr 41
		.amdhsa_next_free_sgpr 40
		.amdhsa_reserve_vcc 1
		.amdhsa_float_round_mode_32 0
		.amdhsa_float_round_mode_16_64 0
		.amdhsa_float_denorm_mode_32 3
		.amdhsa_float_denorm_mode_16_64 3
		.amdhsa_dx10_clamp 1
		.amdhsa_ieee_mode 1
		.amdhsa_fp16_overflow 0
		.amdhsa_workgroup_processor_mode 1
		.amdhsa_memory_ordered 1
		.amdhsa_forward_progress 0
		.amdhsa_shared_vgpr_count 0
		.amdhsa_exception_fp_ieee_invalid_op 0
		.amdhsa_exception_fp_denorm_src 0
		.amdhsa_exception_fp_ieee_div_zero 0
		.amdhsa_exception_fp_ieee_overflow 0
		.amdhsa_exception_fp_ieee_underflow 0
		.amdhsa_exception_fp_ieee_inexact 0
		.amdhsa_exception_int_div_zero 0
	.end_amdhsa_kernel
	.section	.text._ZN2at4cuda12_GLOBAL__N_121kernelPointwiseApply2IZNS_6native9templates4cuda28bernoulli_tensor_cuda_kernelIN3c104HalfEfEEvRKNS_10TensorBaseESB_NS_15PhiloxCudaStateEEUliRS8_SD_SD_SD_RKfSF_SF_SF_E_S8_SE_jLin1ELi1ELi4ELi512ELi2EEEvNS0_6detail10TensorInfoIT0_T2_EENSI_IT1_SK_EESK_T_,"axG",@progbits,_ZN2at4cuda12_GLOBAL__N_121kernelPointwiseApply2IZNS_6native9templates4cuda28bernoulli_tensor_cuda_kernelIN3c104HalfEfEEvRKNS_10TensorBaseESB_NS_15PhiloxCudaStateEEUliRS8_SD_SD_SD_RKfSF_SF_SF_E_S8_SE_jLin1ELi1ELi4ELi512ELi2EEEvNS0_6detail10TensorInfoIT0_T2_EENSI_IT1_SK_EESK_T_,comdat
.Lfunc_end94:
	.size	_ZN2at4cuda12_GLOBAL__N_121kernelPointwiseApply2IZNS_6native9templates4cuda28bernoulli_tensor_cuda_kernelIN3c104HalfEfEEvRKNS_10TensorBaseESB_NS_15PhiloxCudaStateEEUliRS8_SD_SD_SD_RKfSF_SF_SF_E_S8_SE_jLin1ELi1ELi4ELi512ELi2EEEvNS0_6detail10TensorInfoIT0_T2_EENSI_IT1_SK_EESK_T_, .Lfunc_end94-_ZN2at4cuda12_GLOBAL__N_121kernelPointwiseApply2IZNS_6native9templates4cuda28bernoulli_tensor_cuda_kernelIN3c104HalfEfEEvRKNS_10TensorBaseESB_NS_15PhiloxCudaStateEEUliRS8_SD_SD_SD_RKfSF_SF_SF_E_S8_SE_jLin1ELi1ELi4ELi512ELi2EEEvNS0_6detail10TensorInfoIT0_T2_EENSI_IT1_SK_EESK_T_
                                        ; -- End function
	.section	.AMDGPU.csdata,"",@progbits
; Kernel info:
; codeLenInByte = 4280
; NumSgprs: 42
; NumVgprs: 41
; ScratchSize: 0
; MemoryBound: 0
; FloatMode: 240
; IeeeMode: 1
; LDSByteSize: 0 bytes/workgroup (compile time only)
; SGPRBlocks: 5
; VGPRBlocks: 5
; NumSGPRsForWavesPerEU: 42
; NumVGPRsForWavesPerEU: 41
; Occupancy: 16
; WaveLimiterHint : 1
; COMPUTE_PGM_RSRC2:SCRATCH_EN: 0
; COMPUTE_PGM_RSRC2:USER_SGPR: 15
; COMPUTE_PGM_RSRC2:TRAP_HANDLER: 0
; COMPUTE_PGM_RSRC2:TGID_X_EN: 1
; COMPUTE_PGM_RSRC2:TGID_Y_EN: 0
; COMPUTE_PGM_RSRC2:TGID_Z_EN: 0
; COMPUTE_PGM_RSRC2:TIDIG_COMP_CNT: 0
	.section	.text._ZN2at4cuda12_GLOBAL__N_121kernelPointwiseApply2IZNS_6native9templates4cuda28bernoulli_tensor_cuda_kernelIN3c104HalfEfEEvRKNS_10TensorBaseESB_NS_15PhiloxCudaStateEEUliRS8_SD_SD_SD_RKfSF_SF_SF_E_S8_SE_jLin1ELi2ELi4ELi512ELi2EEEvNS0_6detail10TensorInfoIT0_T2_EENSI_IT1_SK_EESK_T_,"axG",@progbits,_ZN2at4cuda12_GLOBAL__N_121kernelPointwiseApply2IZNS_6native9templates4cuda28bernoulli_tensor_cuda_kernelIN3c104HalfEfEEvRKNS_10TensorBaseESB_NS_15PhiloxCudaStateEEUliRS8_SD_SD_SD_RKfSF_SF_SF_E_S8_SE_jLin1ELi2ELi4ELi512ELi2EEEvNS0_6detail10TensorInfoIT0_T2_EENSI_IT1_SK_EESK_T_,comdat
	.globl	_ZN2at4cuda12_GLOBAL__N_121kernelPointwiseApply2IZNS_6native9templates4cuda28bernoulli_tensor_cuda_kernelIN3c104HalfEfEEvRKNS_10TensorBaseESB_NS_15PhiloxCudaStateEEUliRS8_SD_SD_SD_RKfSF_SF_SF_E_S8_SE_jLin1ELi2ELi4ELi512ELi2EEEvNS0_6detail10TensorInfoIT0_T2_EENSI_IT1_SK_EESK_T_ ; -- Begin function _ZN2at4cuda12_GLOBAL__N_121kernelPointwiseApply2IZNS_6native9templates4cuda28bernoulli_tensor_cuda_kernelIN3c104HalfEfEEvRKNS_10TensorBaseESB_NS_15PhiloxCudaStateEEUliRS8_SD_SD_SD_RKfSF_SF_SF_E_S8_SE_jLin1ELi2ELi4ELi512ELi2EEEvNS0_6detail10TensorInfoIT0_T2_EENSI_IT1_SK_EESK_T_
	.p2align	8
	.type	_ZN2at4cuda12_GLOBAL__N_121kernelPointwiseApply2IZNS_6native9templates4cuda28bernoulli_tensor_cuda_kernelIN3c104HalfEfEEvRKNS_10TensorBaseESB_NS_15PhiloxCudaStateEEUliRS8_SD_SD_SD_RKfSF_SF_SF_E_S8_SE_jLin1ELi2ELi4ELi512ELi2EEEvNS0_6detail10TensorInfoIT0_T2_EENSI_IT1_SK_EESK_T_,@function
_ZN2at4cuda12_GLOBAL__N_121kernelPointwiseApply2IZNS_6native9templates4cuda28bernoulli_tensor_cuda_kernelIN3c104HalfEfEEvRKNS_10TensorBaseESB_NS_15PhiloxCudaStateEEUliRS8_SD_SD_SD_RKfSF_SF_SF_E_S8_SE_jLin1ELi2ELi4ELi512ELi2EEEvNS0_6detail10TensorInfoIT0_T2_EENSI_IT1_SK_EESK_T_: ; @_ZN2at4cuda12_GLOBAL__N_121kernelPointwiseApply2IZNS_6native9templates4cuda28bernoulli_tensor_cuda_kernelIN3c104HalfEfEEvRKNS_10TensorBaseESB_NS_15PhiloxCudaStateEEUliRS8_SD_SD_SD_RKfSF_SF_SF_E_S8_SE_jLin1ELi2ELi4ELi512ELi2EEEvNS0_6detail10TensorInfoIT0_T2_EENSI_IT1_SK_EESK_T_
; %bb.0:
	s_clause 0x1
	s_load_b32 s2, s[0:1], 0x1e4
	s_load_b32 s20, s[0:1], 0x1b0
	s_add_u32 s4, s0, 0x1d8
	s_addc_u32 s5, s1, 0
	s_waitcnt lgkmcnt(0)
	s_and_b32 s12, s2, 0xffff
	s_mov_b32 s2, exec_lo
	v_mad_u64_u32 v[1:2], null, s15, s12, v[0:1]
	s_delay_alu instid0(VALU_DEP_1) | instskip(NEXT) | instid1(VALU_DEP_1)
	v_lshlrev_b32_e32 v28, 2, v1
	v_cmpx_gt_u32_e64 s20, v28
	s_cbranch_execz .LBB95_81
; %bb.1:
	s_clause 0x3
	s_load_b32 s21, s[0:1], 0xe4
	s_load_b32 s18, s[0:1], 0xd0
	s_load_b64 s[2:3], s[0:1], 0x144
	s_load_b32 s6, s[0:1], 0x1d0
	v_mad_u64_u32 v[2:3], null, 0xcd9e8d57, v1, 0
	s_load_b32 s16, s[4:5], 0x0
	s_clause 0x2
	s_load_b32 s22, s[0:1], 0x6c
	s_load_b64 s[8:9], s[0:1], 0xd8
	s_load_b64 s[14:15], s[0:1], 0x0
	v_mov_b32_e32 v4, 0
                                        ; implicit-def: $sgpr26
                                        ; implicit-def: $sgpr28
                                        ; implicit-def: $sgpr27
                                        ; implicit-def: $sgpr29
                                        ; implicit-def: $sgpr31
                                        ; implicit-def: $sgpr30
                                        ; implicit-def: $sgpr33
	s_delay_alu instid0(VALU_DEP_2)
	v_mov_b32_e32 v29, v3
	s_waitcnt lgkmcnt(0)
	v_cvt_f32_u32_e32 v0, s21
	s_cmp_gt_i32 s18, 1
	s_cselect_b32 s23, -1, 0
	s_bitcmp1_b32 s6, 0
	s_delay_alu instid0(VALU_DEP_1)
	v_rcp_iflag_f32_e32 v0, v0
	s_cselect_b32 s24, -1, 0
	s_sub_i32 s13, 0, s21
	s_clause 0x1
	s_load_b64 s[10:11], s[0:1], 0x1c8
	s_load_b128 s[4:7], s[0:1], 0x1b8
	s_mul_i32 s16, s16, s12
	s_add_i32 s12, s18, -1
	s_lshl_b32 s25, s16, 2
	s_waitcnt_depctr 0xfff
	v_mul_f32_e32 v0, 0x4f7ffffe, v0
	s_delay_alu instid0(VALU_DEP_1) | instskip(NEXT) | instid1(VALU_DEP_1)
	v_cvt_u32_f32_e32 v0, v0
	v_mul_lo_u32 v5, s13, v0
	s_mov_b32 s13, 0
	s_delay_alu instid0(SALU_CYCLE_1) | instskip(SKIP_4) | instid1(VALU_DEP_1)
	s_lshl_b64 s[16:17], s[12:13], 2
	s_add_i32 s12, s18, 1
	s_add_u32 s0, s16, s0
	s_addc_u32 s1, s17, s1
	s_add_u32 s16, s0, 8
	v_mul_hi_u32 v5, v0, v5
	s_addc_u32 s17, s1, 0
                                        ; implicit-def: $sgpr1
	s_delay_alu instid0(VALU_DEP_1)
	v_add_nc_u32_e32 v30, v0, v5
	s_branch .LBB95_3
.LBB95_2:                               ;   in Loop: Header=BB95_3 Depth=1
	s_or_b32 exec_lo, exec_lo, s18
	s_delay_alu instid0(SALU_CYCLE_1) | instskip(NEXT) | instid1(SALU_CYCLE_1)
	s_and_b32 s0, exec_lo, s0
	s_or_b32 s13, s0, s13
	s_and_not1_b32 s0, s1, exec_lo
	s_and_b32 s1, s33, exec_lo
	s_and_not1_b32 s18, s27, exec_lo
	s_and_b32 s19, s30, exec_lo
	s_or_b32 s1, s0, s1
	s_or_b32 s27, s18, s19
	s_and_not1_b32 s0, s28, exec_lo
	s_and_b32 s18, s31, exec_lo
	s_and_not1_b32 s19, s26, exec_lo
	s_and_b32 s26, s29, exec_lo
	s_or_b32 s28, s0, s18
	s_or_b32 s26, s19, s26
	s_and_not1_b32 exec_lo, exec_lo, s13
	s_cbranch_execz .LBB95_69
.LBB95_3:                               ; =>This Loop Header: Depth=1
                                        ;     Child Loop BB95_6 Depth 2
                                        ;     Child Loop BB95_13 Depth 2
	;; [unrolled: 1-line block ×4, first 2 shown]
	v_sub_nc_u32_e32 v31, s20, v28
	v_mov_b32_e32 v5, 0
	s_delay_alu instid0(VALU_DEP_2) | instskip(NEXT) | instid1(VALU_DEP_1)
	v_cmp_lt_i32_e64 s0, 0, v31
	s_and_saveexec_b32 s34, s0
	s_cbranch_execz .LBB95_8
; %bb.4:                                ;   in Loop: Header=BB95_3 Depth=1
	v_dual_mov_b32 v0, 0 :: v_dual_mov_b32 v3, v28
	s_and_not1_b32 vcc_lo, exec_lo, s23
	s_cbranch_vccnz .LBB95_7
; %bb.5:                                ;   in Loop: Header=BB95_3 Depth=1
	v_dual_mov_b32 v0, 0 :: v_dual_mov_b32 v3, v28
	s_mov_b64 s[18:19], s[16:17]
	s_mov_b32 s35, s12
	s_set_inst_prefetch_distance 0x1
	.p2align	6
.LBB95_6:                               ;   Parent Loop BB95_3 Depth=1
                                        ; =>  This Inner Loop Header: Depth=2
	s_clause 0x1
	s_load_b32 s36, s[18:19], 0x0
	s_load_b32 s37, s[18:19], 0x64
	v_mov_b32_e32 v7, v3
	s_add_i32 s35, s35, -1
	s_waitcnt lgkmcnt(0)
	v_cvt_f32_u32_e32 v5, s36
	s_sub_i32 s38, 0, s36
	s_add_u32 s18, s18, -4
	s_addc_u32 s19, s19, -1
	s_cmp_gt_u32 s35, 2
	v_rcp_iflag_f32_e32 v5, v5
	s_waitcnt_depctr 0xfff
	v_mul_f32_e32 v5, 0x4f7ffffe, v5
	s_delay_alu instid0(VALU_DEP_1) | instskip(NEXT) | instid1(VALU_DEP_1)
	v_cvt_u32_f32_e32 v5, v5
	v_mul_lo_u32 v6, s38, v5
	s_delay_alu instid0(VALU_DEP_1) | instskip(NEXT) | instid1(VALU_DEP_1)
	v_mul_hi_u32 v6, v5, v6
	v_add_nc_u32_e32 v3, v5, v6
	s_delay_alu instid0(VALU_DEP_1) | instskip(NEXT) | instid1(VALU_DEP_1)
	v_mul_hi_u32 v3, v7, v3
	v_add_nc_u32_e32 v6, 1, v3
	v_mul_lo_u32 v5, v3, s36
	s_delay_alu instid0(VALU_DEP_1) | instskip(NEXT) | instid1(VALU_DEP_1)
	v_sub_nc_u32_e32 v5, v7, v5
	v_subrev_nc_u32_e32 v8, s36, v5
	v_cmp_le_u32_e32 vcc_lo, s36, v5
	v_cndmask_b32_e32 v3, v3, v6, vcc_lo
	s_delay_alu instid0(VALU_DEP_1) | instskip(NEXT) | instid1(VALU_DEP_1)
	v_dual_cndmask_b32 v5, v5, v8 :: v_dual_add_nc_u32 v6, 1, v3
	v_cmp_le_u32_e32 vcc_lo, s36, v5
	s_delay_alu instid0(VALU_DEP_2) | instskip(NEXT) | instid1(VALU_DEP_1)
	v_cndmask_b32_e32 v3, v3, v6, vcc_lo
	v_mul_lo_u32 v5, v3, s36
	s_delay_alu instid0(VALU_DEP_1) | instskip(NEXT) | instid1(VALU_DEP_1)
	v_sub_nc_u32_e32 v7, v7, v5
	v_mad_u64_u32 v[5:6], null, s37, v7, v[0:1]
	s_delay_alu instid0(VALU_DEP_1)
	v_mov_b32_e32 v0, v5
	s_cbranch_scc1 .LBB95_6
.LBB95_7:                               ;   in Loop: Header=BB95_3 Depth=1
	s_set_inst_prefetch_distance 0x2
	s_delay_alu instid0(VALU_DEP_1)
	v_mad_u64_u32 v[5:6], null, s22, v3, v[0:1]
.LBB95_8:                               ;   in Loop: Header=BB95_3 Depth=1
	s_or_b32 exec_lo, exec_lo, s34
	v_dual_mov_b32 v6, 0 :: v_dual_mov_b32 v3, 0
	s_and_saveexec_b32 s18, s0
	s_cbranch_execz .LBB95_10
; %bb.9:                                ;   in Loop: Header=BB95_3 Depth=1
	v_mul_hi_u32 v0, v28, v30
	s_delay_alu instid0(VALU_DEP_1) | instskip(SKIP_1) | instid1(VALU_DEP_2)
	v_mul_lo_u32 v3, v0, s21
	v_add_nc_u32_e32 v7, 1, v0
	v_sub_nc_u32_e32 v3, v28, v3
	s_delay_alu instid0(VALU_DEP_1) | instskip(SKIP_1) | instid1(VALU_DEP_2)
	v_subrev_nc_u32_e32 v8, s21, v3
	v_cmp_le_u32_e32 vcc_lo, s21, v3
	v_dual_cndmask_b32 v0, v0, v7 :: v_dual_cndmask_b32 v3, v3, v8
	s_delay_alu instid0(VALU_DEP_1) | instskip(NEXT) | instid1(VALU_DEP_2)
	v_add_nc_u32_e32 v7, 1, v0
	v_cmp_le_u32_e32 vcc_lo, s21, v3
	s_delay_alu instid0(VALU_DEP_2) | instskip(NEXT) | instid1(VALU_DEP_1)
	v_cndmask_b32_e32 v3, v0, v7, vcc_lo
	v_mul_lo_u32 v0, v3, s21
	s_delay_alu instid0(VALU_DEP_1) | instskip(NEXT) | instid1(VALU_DEP_1)
	v_sub_nc_u32_e32 v0, v28, v0
	v_mul_lo_u32 v0, v0, s3
	s_delay_alu instid0(VALU_DEP_1) | instskip(NEXT) | instid1(VALU_DEP_1)
	v_mad_u64_u32 v[7:8], null, v3, s2, v[0:1]
	v_mov_b32_e32 v3, v7
.LBB95_10:                              ;   in Loop: Header=BB95_3 Depth=1
	s_or_b32 exec_lo, exec_lo, s18
	v_or_b32_e32 v8, 1, v28
	v_cmp_lt_i32_e64 s0, 1, v31
	s_delay_alu instid0(VALU_DEP_1)
	s_and_saveexec_b32 s34, s0
	s_cbranch_execz .LBB95_15
; %bb.11:                               ;   in Loop: Header=BB95_3 Depth=1
	s_delay_alu instid0(VALU_DEP_2)
	v_dual_mov_b32 v0, 0 :: v_dual_mov_b32 v9, v8
	s_and_not1_b32 vcc_lo, exec_lo, s23
	s_cbranch_vccnz .LBB95_14
; %bb.12:                               ;   in Loop: Header=BB95_3 Depth=1
	v_dual_mov_b32 v0, 0 :: v_dual_mov_b32 v9, v8
	s_mov_b64 s[18:19], s[16:17]
	s_mov_b32 s35, s12
	s_set_inst_prefetch_distance 0x1
	.p2align	6
.LBB95_13:                              ;   Parent Loop BB95_3 Depth=1
                                        ; =>  This Inner Loop Header: Depth=2
	s_clause 0x1
	s_load_b32 s36, s[18:19], 0x0
	s_load_b32 s37, s[18:19], 0x64
	v_mov_b32_e32 v10, v9
	s_add_i32 s35, s35, -1
	s_waitcnt lgkmcnt(0)
	v_cvt_f32_u32_e32 v6, s36
	s_sub_i32 s38, 0, s36
	s_add_u32 s18, s18, -4
	s_addc_u32 s19, s19, -1
	s_cmp_gt_u32 s35, 2
	v_rcp_iflag_f32_e32 v6, v6
	s_waitcnt_depctr 0xfff
	v_mul_f32_e32 v6, 0x4f7ffffe, v6
	s_delay_alu instid0(VALU_DEP_1) | instskip(NEXT) | instid1(VALU_DEP_1)
	v_cvt_u32_f32_e32 v6, v6
	v_mul_lo_u32 v7, s38, v6
	s_delay_alu instid0(VALU_DEP_1) | instskip(NEXT) | instid1(VALU_DEP_1)
	v_mul_hi_u32 v7, v6, v7
	v_add_nc_u32_e32 v6, v6, v7
	s_delay_alu instid0(VALU_DEP_1) | instskip(NEXT) | instid1(VALU_DEP_1)
	v_mul_hi_u32 v6, v10, v6
	v_mul_lo_u32 v7, v6, s36
	v_add_nc_u32_e32 v9, 1, v6
	s_delay_alu instid0(VALU_DEP_2) | instskip(NEXT) | instid1(VALU_DEP_1)
	v_sub_nc_u32_e32 v7, v10, v7
	v_subrev_nc_u32_e32 v11, s36, v7
	v_cmp_le_u32_e32 vcc_lo, s36, v7
	s_delay_alu instid0(VALU_DEP_2) | instskip(NEXT) | instid1(VALU_DEP_1)
	v_dual_cndmask_b32 v7, v7, v11 :: v_dual_cndmask_b32 v6, v6, v9
	v_cmp_le_u32_e32 vcc_lo, s36, v7
	s_delay_alu instid0(VALU_DEP_2) | instskip(NEXT) | instid1(VALU_DEP_1)
	v_add_nc_u32_e32 v9, 1, v6
	v_cndmask_b32_e32 v9, v6, v9, vcc_lo
	s_delay_alu instid0(VALU_DEP_1) | instskip(NEXT) | instid1(VALU_DEP_1)
	v_mul_lo_u32 v6, v9, s36
	v_sub_nc_u32_e32 v10, v10, v6
	s_delay_alu instid0(VALU_DEP_1) | instskip(NEXT) | instid1(VALU_DEP_1)
	v_mad_u64_u32 v[6:7], null, s37, v10, v[0:1]
	v_mov_b32_e32 v0, v6
	s_cbranch_scc1 .LBB95_13
.LBB95_14:                              ;   in Loop: Header=BB95_3 Depth=1
	s_set_inst_prefetch_distance 0x2
	s_delay_alu instid0(VALU_DEP_1)
	v_mad_u64_u32 v[6:7], null, s22, v9, v[0:1]
.LBB95_15:                              ;   in Loop: Header=BB95_3 Depth=1
	s_or_b32 exec_lo, exec_lo, s34
	v_mov_b32_e32 v11, 0
	s_and_saveexec_b32 s18, s0
	s_cbranch_execz .LBB95_17
; %bb.16:                               ;   in Loop: Header=BB95_3 Depth=1
	v_mul_hi_u32 v0, v8, v30
	s_delay_alu instid0(VALU_DEP_1) | instskip(SKIP_1) | instid1(VALU_DEP_2)
	v_mul_lo_u32 v7, v0, s21
	v_add_nc_u32_e32 v9, 1, v0
	v_sub_nc_u32_e32 v7, v8, v7
	s_delay_alu instid0(VALU_DEP_1) | instskip(SKIP_1) | instid1(VALU_DEP_2)
	v_subrev_nc_u32_e32 v10, s21, v7
	v_cmp_le_u32_e32 vcc_lo, s21, v7
	v_dual_cndmask_b32 v0, v0, v9 :: v_dual_cndmask_b32 v7, v7, v10
	s_delay_alu instid0(VALU_DEP_1) | instskip(NEXT) | instid1(VALU_DEP_2)
	v_add_nc_u32_e32 v9, 1, v0
	v_cmp_le_u32_e32 vcc_lo, s21, v7
	s_delay_alu instid0(VALU_DEP_2) | instskip(NEXT) | instid1(VALU_DEP_1)
	v_cndmask_b32_e32 v7, v0, v9, vcc_lo
	v_mul_lo_u32 v0, v7, s21
	s_delay_alu instid0(VALU_DEP_1) | instskip(NEXT) | instid1(VALU_DEP_1)
	v_sub_nc_u32_e32 v0, v8, v0
	v_mul_lo_u32 v0, v0, s3
	s_delay_alu instid0(VALU_DEP_1)
	v_mad_u64_u32 v[11:12], null, v7, s2, v[0:1]
.LBB95_17:                              ;   in Loop: Header=BB95_3 Depth=1
	s_or_b32 exec_lo, exec_lo, s18
	v_mov_b32_e32 v7, 0
	v_or_b32_e32 v12, 2, v28
	v_mov_b32_e32 v8, 0
	v_cmp_lt_i32_e64 s0, 2, v31
	s_delay_alu instid0(VALU_DEP_1)
	s_and_saveexec_b32 s34, s0
	s_cbranch_execz .LBB95_22
; %bb.18:                               ;   in Loop: Header=BB95_3 Depth=1
	v_dual_mov_b32 v0, 0 :: v_dual_mov_b32 v9, v12
	s_and_not1_b32 vcc_lo, exec_lo, s23
	s_cbranch_vccnz .LBB95_21
; %bb.19:                               ;   in Loop: Header=BB95_3 Depth=1
	v_dual_mov_b32 v0, 0 :: v_dual_mov_b32 v9, v12
	s_mov_b64 s[18:19], s[16:17]
	s_mov_b32 s35, s12
	s_set_inst_prefetch_distance 0x1
	.p2align	6
.LBB95_20:                              ;   Parent Loop BB95_3 Depth=1
                                        ; =>  This Inner Loop Header: Depth=2
	s_clause 0x1
	s_load_b32 s36, s[18:19], 0x0
	s_load_b32 s37, s[18:19], 0x64
	s_add_i32 s35, s35, -1
	v_mov_b32_e32 v10, v9
	s_waitcnt lgkmcnt(0)
	v_cvt_f32_u32_e32 v7, s36
	s_sub_i32 s38, 0, s36
	s_add_u32 s18, s18, -4
	s_addc_u32 s19, s19, -1
	s_cmp_gt_u32 s35, 2
	v_rcp_iflag_f32_e32 v7, v7
	s_waitcnt_depctr 0xfff
	v_mul_f32_e32 v7, 0x4f7ffffe, v7
	s_delay_alu instid0(VALU_DEP_1) | instskip(NEXT) | instid1(VALU_DEP_1)
	v_cvt_u32_f32_e32 v7, v7
	v_mul_lo_u32 v8, s38, v7
	s_delay_alu instid0(VALU_DEP_1) | instskip(NEXT) | instid1(VALU_DEP_1)
	v_mul_hi_u32 v8, v7, v8
	v_add_nc_u32_e32 v7, v7, v8
	s_delay_alu instid0(VALU_DEP_1) | instskip(NEXT) | instid1(VALU_DEP_1)
	v_mul_hi_u32 v7, v10, v7
	v_mul_lo_u32 v8, v7, s36
	v_add_nc_u32_e32 v9, 1, v7
	s_delay_alu instid0(VALU_DEP_2) | instskip(NEXT) | instid1(VALU_DEP_1)
	v_sub_nc_u32_e32 v8, v10, v8
	v_subrev_nc_u32_e32 v13, s36, v8
	v_cmp_le_u32_e32 vcc_lo, s36, v8
	s_delay_alu instid0(VALU_DEP_4) | instskip(NEXT) | instid1(VALU_DEP_1)
	v_cndmask_b32_e32 v7, v7, v9, vcc_lo
	v_dual_cndmask_b32 v8, v8, v13 :: v_dual_add_nc_u32 v9, 1, v7
	s_delay_alu instid0(VALU_DEP_1) | instskip(NEXT) | instid1(VALU_DEP_2)
	v_cmp_le_u32_e32 vcc_lo, s36, v8
	v_cndmask_b32_e32 v9, v7, v9, vcc_lo
	s_delay_alu instid0(VALU_DEP_1) | instskip(NEXT) | instid1(VALU_DEP_1)
	v_mul_lo_u32 v7, v9, s36
	v_sub_nc_u32_e32 v10, v10, v7
	s_delay_alu instid0(VALU_DEP_1) | instskip(NEXT) | instid1(VALU_DEP_1)
	v_mad_u64_u32 v[7:8], null, s37, v10, v[0:1]
	v_mov_b32_e32 v0, v7
	s_cbranch_scc1 .LBB95_20
.LBB95_21:                              ;   in Loop: Header=BB95_3 Depth=1
	s_set_inst_prefetch_distance 0x2
	s_delay_alu instid0(VALU_DEP_1)
	v_mad_u64_u32 v[7:8], null, s22, v9, v[0:1]
	v_mov_b32_e32 v8, v4
.LBB95_22:                              ;   in Loop: Header=BB95_3 Depth=1
	s_or_b32 exec_lo, exec_lo, s34
	v_mov_b32_e32 v9, 0
	v_mov_b32_e32 v10, 0
	s_delay_alu instid0(VALU_DEP_1)
	v_dual_mov_b32 v14, v10 :: v_dual_mov_b32 v13, v9
	s_and_saveexec_b32 s18, s0
	s_cbranch_execz .LBB95_24
; %bb.23:                               ;   in Loop: Header=BB95_3 Depth=1
	v_mul_hi_u32 v0, v12, v30
	s_delay_alu instid0(VALU_DEP_1) | instskip(NEXT) | instid1(VALU_DEP_1)
	v_mul_lo_u32 v13, v0, s21
	v_sub_nc_u32_e32 v13, v12, v13
	s_delay_alu instid0(VALU_DEP_1) | instskip(SKIP_1) | instid1(VALU_DEP_2)
	v_subrev_nc_u32_e32 v15, s21, v13
	v_cmp_le_u32_e32 vcc_lo, s21, v13
	v_dual_cndmask_b32 v13, v13, v15 :: v_dual_add_nc_u32 v14, 1, v0
	s_delay_alu instid0(VALU_DEP_1) | instskip(NEXT) | instid1(VALU_DEP_2)
	v_cndmask_b32_e32 v0, v0, v14, vcc_lo
	v_cmp_le_u32_e32 vcc_lo, s21, v13
	s_delay_alu instid0(VALU_DEP_2) | instskip(NEXT) | instid1(VALU_DEP_1)
	v_add_nc_u32_e32 v14, 1, v0
	v_cndmask_b32_e32 v15, v0, v14, vcc_lo
	s_delay_alu instid0(VALU_DEP_1) | instskip(NEXT) | instid1(VALU_DEP_1)
	v_mul_lo_u32 v0, v15, s21
	v_sub_nc_u32_e32 v0, v12, v0
	s_delay_alu instid0(VALU_DEP_1) | instskip(NEXT) | instid1(VALU_DEP_1)
	v_mul_lo_u32 v0, v0, s3
	v_mad_u64_u32 v[13:14], null, v15, s2, v[0:1]
	v_mov_b32_e32 v14, v4
.LBB95_24:                              ;   in Loop: Header=BB95_3 Depth=1
	s_or_b32 exec_lo, exec_lo, s18
	v_or_b32_e32 v12, 3, v28
	v_cmp_lt_i32_e64 s0, 3, v31
	s_delay_alu instid0(VALU_DEP_1)
	s_and_saveexec_b32 s34, s0
	s_cbranch_execz .LBB95_29
; %bb.25:                               ;   in Loop: Header=BB95_3 Depth=1
	s_delay_alu instid0(VALU_DEP_2)
	v_dual_mov_b32 v0, 0 :: v_dual_mov_b32 v15, v12
	s_and_not1_b32 vcc_lo, exec_lo, s23
	s_cbranch_vccnz .LBB95_28
; %bb.26:                               ;   in Loop: Header=BB95_3 Depth=1
	v_dual_mov_b32 v0, 0 :: v_dual_mov_b32 v15, v12
	s_mov_b64 s[18:19], s[16:17]
	s_mov_b32 s35, s12
	s_set_inst_prefetch_distance 0x1
	.p2align	6
.LBB95_27:                              ;   Parent Loop BB95_3 Depth=1
                                        ; =>  This Inner Loop Header: Depth=2
	s_clause 0x1
	s_load_b32 s36, s[18:19], 0x0
	s_load_b32 s37, s[18:19], 0x64
	s_add_i32 s35, s35, -1
	v_mov_b32_e32 v16, v15
	s_waitcnt lgkmcnt(0)
	v_cvt_f32_u32_e32 v9, s36
	s_sub_i32 s38, 0, s36
	s_add_u32 s18, s18, -4
	s_addc_u32 s19, s19, -1
	s_cmp_gt_u32 s35, 2
	v_rcp_iflag_f32_e32 v9, v9
	s_waitcnt_depctr 0xfff
	v_mul_f32_e32 v9, 0x4f7ffffe, v9
	s_delay_alu instid0(VALU_DEP_1) | instskip(NEXT) | instid1(VALU_DEP_1)
	v_cvt_u32_f32_e32 v9, v9
	v_mul_lo_u32 v10, s38, v9
	s_delay_alu instid0(VALU_DEP_1) | instskip(NEXT) | instid1(VALU_DEP_1)
	v_mul_hi_u32 v10, v9, v10
	v_add_nc_u32_e32 v9, v9, v10
	s_delay_alu instid0(VALU_DEP_1) | instskip(NEXT) | instid1(VALU_DEP_1)
	v_mul_hi_u32 v9, v16, v9
	v_mul_lo_u32 v10, v9, s36
	v_add_nc_u32_e32 v15, 1, v9
	s_delay_alu instid0(VALU_DEP_2) | instskip(NEXT) | instid1(VALU_DEP_1)
	v_sub_nc_u32_e32 v10, v16, v10
	v_subrev_nc_u32_e32 v17, s36, v10
	v_cmp_le_u32_e32 vcc_lo, s36, v10
	s_delay_alu instid0(VALU_DEP_2) | instskip(NEXT) | instid1(VALU_DEP_1)
	v_dual_cndmask_b32 v9, v9, v15 :: v_dual_cndmask_b32 v10, v10, v17
	v_add_nc_u32_e32 v15, 1, v9
	s_delay_alu instid0(VALU_DEP_2) | instskip(NEXT) | instid1(VALU_DEP_2)
	v_cmp_le_u32_e32 vcc_lo, s36, v10
	v_cndmask_b32_e32 v15, v9, v15, vcc_lo
	s_delay_alu instid0(VALU_DEP_1) | instskip(NEXT) | instid1(VALU_DEP_1)
	v_mul_lo_u32 v9, v15, s36
	v_sub_nc_u32_e32 v16, v16, v9
	s_delay_alu instid0(VALU_DEP_1) | instskip(NEXT) | instid1(VALU_DEP_1)
	v_mad_u64_u32 v[9:10], null, s37, v16, v[0:1]
	v_mov_b32_e32 v0, v9
	s_cbranch_scc1 .LBB95_27
.LBB95_28:                              ;   in Loop: Header=BB95_3 Depth=1
	s_set_inst_prefetch_distance 0x2
	s_delay_alu instid0(VALU_DEP_1)
	v_mad_u64_u32 v[9:10], null, s22, v15, v[0:1]
	v_mov_b32_e32 v10, v4
.LBB95_29:                              ;   in Loop: Header=BB95_3 Depth=1
	s_or_b32 exec_lo, exec_lo, s34
	v_mov_b32_e32 v15, 0
	v_mov_b32_e32 v16, 0
	s_and_saveexec_b32 s18, s0
	s_cbranch_execz .LBB95_31
; %bb.30:                               ;   in Loop: Header=BB95_3 Depth=1
	v_mul_hi_u32 v0, v12, v30
	s_delay_alu instid0(VALU_DEP_1) | instskip(NEXT) | instid1(VALU_DEP_1)
	v_mul_lo_u32 v15, v0, s21
	v_sub_nc_u32_e32 v15, v12, v15
	s_delay_alu instid0(VALU_DEP_1) | instskip(SKIP_1) | instid1(VALU_DEP_2)
	v_subrev_nc_u32_e32 v17, s21, v15
	v_cmp_le_u32_e32 vcc_lo, s21, v15
	v_dual_cndmask_b32 v15, v15, v17 :: v_dual_add_nc_u32 v16, 1, v0
	s_delay_alu instid0(VALU_DEP_1) | instskip(NEXT) | instid1(VALU_DEP_2)
	v_cndmask_b32_e32 v0, v0, v16, vcc_lo
	v_cmp_le_u32_e32 vcc_lo, s21, v15
	s_delay_alu instid0(VALU_DEP_2) | instskip(NEXT) | instid1(VALU_DEP_1)
	v_add_nc_u32_e32 v16, 1, v0
	v_cndmask_b32_e32 v17, v0, v16, vcc_lo
	s_delay_alu instid0(VALU_DEP_1) | instskip(NEXT) | instid1(VALU_DEP_1)
	v_mul_lo_u32 v0, v17, s21
	v_sub_nc_u32_e32 v0, v12, v0
	s_delay_alu instid0(VALU_DEP_1) | instskip(NEXT) | instid1(VALU_DEP_1)
	v_mul_lo_u32 v0, v0, s3
	v_mad_u64_u32 v[15:16], null, v17, s2, v[0:1]
	v_mov_b32_e32 v16, v4
.LBB95_31:                              ;   in Loop: Header=BB95_3 Depth=1
	s_or_b32 exec_lo, exec_lo, s18
	v_mov_b32_e32 v12, v4
	v_lshlrev_b64 v[17:18], 2, v[3:4]
	v_lshlrev_b64 v[13:14], 2, v[13:14]
	;; [unrolled: 1-line block ×3, first 2 shown]
	s_delay_alu instid0(VALU_DEP_4) | instskip(NEXT) | instid1(VALU_DEP_4)
	v_lshlrev_b64 v[11:12], 2, v[11:12]
	v_add_co_u32 v17, vcc_lo, s8, v17
	v_add_co_ci_u32_e32 v18, vcc_lo, s9, v18, vcc_lo
	s_delay_alu instid0(VALU_DEP_3) | instskip(NEXT) | instid1(VALU_DEP_4)
	v_add_co_u32 v11, vcc_lo, s8, v11
	v_add_co_ci_u32_e32 v12, vcc_lo, s9, v12, vcc_lo
	v_add_co_u32 v13, vcc_lo, s8, v13
	v_add_co_ci_u32_e32 v14, vcc_lo, s9, v14, vcc_lo
	;; [unrolled: 2-line block ×3, first 2 shown]
	s_clause 0x3
	global_load_b32 v0, v[17:18], off
	global_load_b32 v3, v[11:12], off
	;; [unrolled: 1-line block ×4, first 2 shown]
	s_waitcnt lgkmcnt(0)
	v_mov_b32_e32 v16, s7
	v_dual_mov_b32 v18, s5 :: v_dual_mov_b32 v17, s4
	v_mov_b32_e32 v15, s6
	s_and_not1_b32 vcc_lo, exec_lo, s24
	s_cbranch_vccnz .LBB95_33
; %bb.32:                               ;   in Loop: Header=BB95_3 Depth=1
	v_dual_mov_b32 v12, s7 :: v_dual_mov_b32 v11, s6
	v_dual_mov_b32 v14, s5 :: v_dual_mov_b32 v13, s4
	flat_load_b64 v[11:12], v[11:12]
	flat_load_b64 v[17:18], v[13:14]
	s_waitcnt vmcnt(1) lgkmcnt(1)
	v_add_co_u32 v15, vcc_lo, v11, s10
	v_add_co_ci_u32_e32 v16, vcc_lo, s11, v12, vcc_lo
.LBB95_33:                              ;   in Loop: Header=BB95_3 Depth=1
	s_delay_alu instid0(VALU_DEP_1)
	v_alignbit_b32 v14, v16, v15, 2
	v_lshrrev_b32_e32 v13, 2, v16
	s_waitcnt vmcnt(0) lgkmcnt(0)
	v_add_nc_u32_e32 v35, 0xbb67ae85, v18
	v_add_nc_u32_e32 v36, 0x76cf5d0a, v18
	;; [unrolled: 1-line block ×3, first 2 shown]
	v_add_co_u32 v16, vcc_lo, v14, 1
	s_delay_alu instid0(VALU_DEP_1) | instskip(SKIP_4) | instid1(VALU_DEP_4)
	v_cndmask_b32_e64 v11, 0, 1, vcc_lo
	v_add_co_ci_u32_e32 v25, vcc_lo, 0, v13, vcc_lo
	v_xor3_b32 v21, v29, v17, v13
	v_add_nc_u32_e32 v38, 0x32370b8f, v18
	v_add_nc_u32_e32 v39, 0xed9eba14, v18
	v_cmp_eq_u32_e32 vcc_lo, 0, v25
	v_add_nc_u32_e32 v40, 0x1715609d, v17
	v_add_nc_u32_e32 v41, 0xa9066899, v18
	s_mov_b32 s0, exec_lo
	v_dual_cndmask_b32 v19, 0, v11 :: v_dual_add_nc_u32 v34, 0x9e3779b9, v17
	v_mad_u64_u32 v[11:12], null, 0xd2511f53, v16, 0
	s_delay_alu instid0(VALU_DEP_2) | instskip(NEXT) | instid1(VALU_DEP_2)
	v_add_nc_u32_e32 v16, v19, v1
	v_xor_b32_e32 v20, v12, v18
	s_delay_alu instid0(VALU_DEP_2) | instskip(SKIP_2) | instid1(VALU_DEP_1)
	v_cmp_eq_u32_e32 vcc_lo, 0, v16
	v_mad_u64_u32 v[12:13], null, 0xd2511f53, v14, 0
	v_cndmask_b32_e32 v19, 0, v19, vcc_lo
	v_xor_b32_e32 v14, v19, v20
	v_mad_u64_u32 v[19:20], null, 0xd2511f53, v21, 0
	v_mad_u64_u32 v[21:22], null, 0xcd9e8d57, v16, 0
	s_delay_alu instid0(VALU_DEP_3) | instskip(SKIP_3) | instid1(VALU_DEP_3)
	v_mad_u64_u32 v[23:24], null, 0xcd9e8d57, v14, 0
	v_xor_b32_e32 v14, v13, v18
	v_add_nc_u32_e32 v16, 0x3c6ef372, v17
	v_xor3_b32 v26, v35, v20, v12
	v_mad_u64_u32 v[12:13], null, 0xcd9e8d57, v14, 0
	v_xor3_b32 v14, v22, v17, v25
	v_xor3_b32 v22, v34, v24, v21
	s_delay_alu instid0(VALU_DEP_4) | instskip(NEXT) | instid1(VALU_DEP_3)
	v_mad_u64_u32 v[20:21], null, 0xcd9e8d57, v26, 0
	v_mad_u64_u32 v[24:25], null, 0xd2511f53, v14, 0
	s_delay_alu instid0(VALU_DEP_3) | instskip(SKIP_1) | instid1(VALU_DEP_4)
	v_mad_u64_u32 v[26:27], null, 0xd2511f53, v22, 0
	v_xor3_b32 v14, v2, v13, v34
	v_xor3_b32 v34, v16, v21, v12
	s_delay_alu instid0(VALU_DEP_4) | instskip(NEXT) | instid1(VALU_DEP_3)
	v_xor3_b32 v11, v35, v25, v11
	v_mad_u64_u32 v[12:13], null, 0xd2511f53, v14, 0
	v_xor3_b32 v14, v36, v27, v24
	s_delay_alu instid0(VALU_DEP_4) | instskip(NEXT) | instid1(VALU_DEP_4)
	v_mad_u64_u32 v[21:22], null, 0xd2511f53, v34, 0
	v_mad_u64_u32 v[24:25], null, 0xcd9e8d57, v11, 0
	s_delay_alu instid0(VALU_DEP_3) | instskip(SKIP_4) | instid1(VALU_DEP_4)
	v_mad_u64_u32 v[34:35], null, 0xcd9e8d57, v14, 0
	v_xor3_b32 v13, v36, v13, v19
	v_add_nc_u32_e32 v27, 0x78dde6e4, v17
	v_xor3_b32 v19, v38, v22, v12
	v_xor3_b32 v16, v16, v25, v23
	v_mad_u64_u32 v[11:12], null, 0xcd9e8d57, v13, 0
	v_xor3_b32 v35, v37, v35, v24
	s_delay_alu instid0(VALU_DEP_4) | instskip(NEXT) | instid1(VALU_DEP_4)
	v_mad_u64_u32 v[13:14], null, 0xcd9e8d57, v19, 0
	v_mad_u64_u32 v[22:23], null, 0xd2511f53, v16, 0
	s_delay_alu instid0(VALU_DEP_3) | instskip(SKIP_1) | instid1(VALU_DEP_4)
	v_mad_u64_u32 v[24:25], null, 0xd2511f53, v35, 0
	v_xor3_b32 v16, v37, v12, v20
	v_xor3_b32 v14, v27, v14, v11
	s_delay_alu instid0(VALU_DEP_2) | instskip(SKIP_2) | instid1(VALU_DEP_4)
	v_mad_u64_u32 v[11:12], null, 0xd2511f53, v16, 0
	v_xor3_b32 v16, v38, v23, v26
	v_xor3_b32 v22, v39, v25, v22
	v_mad_u64_u32 v[25:26], null, 0xd2511f53, v14, 0
	s_delay_alu instid0(VALU_DEP_3) | instskip(NEXT) | instid1(VALU_DEP_3)
	v_mad_u64_u32 v[19:20], null, 0xcd9e8d57, v16, 0
	v_mad_u64_u32 v[35:36], null, 0xcd9e8d57, v22, 0
	v_xor3_b32 v14, v39, v12, v21
	s_delay_alu instid0(VALU_DEP_4) | instskip(SKIP_2) | instid1(VALU_DEP_4)
	v_xor3_b32 v22, v41, v26, v11
	v_add_nc_u32_e32 v16, 0xb54cda56, v17
	v_add_nc_u32_e32 v21, 0x646e171e, v18
	v_mad_u64_u32 v[11:12], null, 0xcd9e8d57, v14, 0
	v_xor3_b32 v14, v27, v20, v34
	v_xor3_b32 v23, v40, v36, v19
	v_mad_u64_u32 v[36:37], null, 0xcd9e8d57, v22, 0
	v_add_nc_u32_e32 v27, 0x5384540f, v17
	s_delay_alu instid0(VALU_DEP_4) | instskip(NEXT) | instid1(VALU_DEP_4)
	v_mad_u64_u32 v[19:20], null, 0xd2511f53, v14, 0
	v_mad_u64_u32 v[38:39], null, 0xd2511f53, v23, 0
	v_xor3_b32 v13, v40, v12, v13
	v_xor3_b32 v14, v16, v37, v11
	v_add_nc_u32_e32 v40, 0x1fd5c5a3, v18
	v_add_co_u32 v34, null, 0xf1bbcdc8, v17
	v_xor3_b32 v22, v41, v20, v24
	v_xor3_b32 v24, v21, v39, v19
	v_mad_u64_u32 v[11:12], null, 0xd2511f53, v13, 0
	v_mad_u64_u32 v[19:20], null, 0xd2511f53, v14, 0
	s_delay_alu instid0(VALU_DEP_4) | instskip(NEXT) | instid1(VALU_DEP_4)
	v_mad_u64_u32 v[13:14], null, 0xcd9e8d57, v22, 0
	v_mad_u64_u32 v[22:23], null, 0xcd9e8d57, v24, 0
	s_delay_alu instid0(VALU_DEP_4) | instskip(NEXT) | instid1(VALU_DEP_4)
	v_xor3_b32 v21, v21, v12, v25
	v_xor3_b32 v24, v40, v20, v11
	s_delay_alu instid0(VALU_DEP_4) | instskip(NEXT) | instid1(VALU_DEP_3)
	v_xor3_b32 v16, v16, v14, v35
	v_mad_u64_u32 v[11:12], null, 0xcd9e8d57, v21, 0
	v_xor3_b32 v23, v27, v23, v13
	s_delay_alu instid0(VALU_DEP_4) | instskip(NEXT) | instid1(VALU_DEP_4)
	v_mad_u64_u32 v[20:21], null, 0xcd9e8d57, v24, 0
	v_mad_u64_u32 v[13:14], null, 0xd2511f53, v16, 0
	s_delay_alu instid0(VALU_DEP_3)
	v_mad_u64_u32 v[25:26], null, 0xd2511f53, v23, 0
	v_add_nc_u32_e32 v35, 0xdb3d7428, v18
	v_xor3_b32 v12, v27, v12, v36
	v_xor3_b32 v16, v34, v21, v11
	v_add_nc_u32_e32 v36, 0x96a522ad, v18
	v_xor3_b32 v14, v40, v14, v38
	v_and_b32_e32 v18, 3, v15
	v_xor3_b32 v21, v35, v26, v13
	v_mad_u64_u32 v[23:24], null, 0xd2511f53, v12, 0
	v_mad_u64_u32 v[11:12], null, 0xd2511f53, v16, 0
	;; [unrolled: 1-line block ×3, first 2 shown]
	s_delay_alu instid0(VALU_DEP_4) | instskip(SKIP_1) | instid1(VALU_DEP_4)
	v_mad_u64_u32 v[13:14], null, 0xcd9e8d57, v21, 0
	v_add_nc_u32_e32 v21, 0x8ff34781, v17
                                        ; implicit-def: $vgpr16
	v_xor3_b32 v17, v12, v23, v36
	s_delay_alu instid0(VALU_DEP_2)
	v_xor3_b32 v12, v14, v26, v21
	v_cmpx_lt_i32_e32 1, v18
	s_xor_b32 s0, exec_lo, s0
	s_cbranch_execz .LBB95_39
; %bb.34:                               ;   in Loop: Header=BB95_3 Depth=1
	s_mov_b32 s18, exec_lo
                                        ; implicit-def: $vgpr16
	v_cmpx_lt_i32_e32 2, v18
	s_xor_b32 s18, exec_lo, s18
; %bb.35:                               ;   in Loop: Header=BB95_3 Depth=1
	v_xor3_b32 v14, v34, v27, v22
                                        ; implicit-def: $vgpr17
	s_delay_alu instid0(VALU_DEP_1) | instskip(NEXT) | instid1(VALU_DEP_1)
	v_mul_hi_u32 v14, 0xd2511f53, v14
	v_xor3_b32 v16, v14, v25, v36
; %bb.36:                               ;   in Loop: Header=BB95_3 Depth=1
	s_and_not1_saveexec_b32 s18, s18
; %bb.37:                               ;   in Loop: Header=BB95_3 Depth=1
	v_dual_mov_b32 v16, v13 :: v_dual_mov_b32 v13, v12
	v_dual_mov_b32 v12, v11 :: v_dual_mov_b32 v11, v17
; %bb.38:                               ;   in Loop: Header=BB95_3 Depth=1
	s_or_b32 exec_lo, exec_lo, s18
                                        ; implicit-def: $vgpr19_vgpr20
                                        ; implicit-def: $vgpr18
                                        ; implicit-def: $vgpr17
                                        ; implicit-def: $vgpr35
                                        ; implicit-def: $vgpr23_vgpr24
                                        ; implicit-def: $vgpr20_vgpr21
                                        ; implicit-def: $vgpr21
.LBB95_39:                              ;   in Loop: Header=BB95_3 Depth=1
	s_and_not1_saveexec_b32 s0, s0
	s_cbranch_execz .LBB95_43
; %bb.40:                               ;   in Loop: Header=BB95_3 Depth=1
	v_xor3_b32 v13, v35, v24, v19
	v_cmp_eq_u32_e32 vcc_lo, 1, v18
	v_mov_b32_e32 v16, v11
	s_delay_alu instid0(VALU_DEP_3) | instskip(SKIP_1) | instid1(VALU_DEP_2)
	v_mad_u64_u32 v[14:15], null, 0xcd9e8d57, v13, 0
	v_mov_b32_e32 v13, v17
	v_xor3_b32 v18, v15, v20, v21
	s_delay_alu instid0(VALU_DEP_3)
	v_mov_b32_e32 v15, v14
	s_and_saveexec_b32 s18, vcc_lo
; %bb.41:                               ;   in Loop: Header=BB95_3 Depth=1
	v_dual_mov_b32 v16, v12 :: v_dual_mov_b32 v13, v11
	v_dual_mov_b32 v15, v17 :: v_dual_mov_b32 v18, v14
; %bb.42:                               ;   in Loop: Header=BB95_3 Depth=1
	s_or_b32 exec_lo, exec_lo, s18
	s_delay_alu instid0(VALU_DEP_1)
	v_dual_mov_b32 v11, v18 :: v_dual_mov_b32 v12, v15
.LBB95_43:                              ;   in Loop: Header=BB95_3 Depth=1
	s_or_b32 exec_lo, exec_lo, s0
	v_min_i32_e32 v14, 4, v31
	s_mov_b32 s18, 0
	s_mov_b32 s38, 0
	s_mov_b32 s19, 0
                                        ; implicit-def: $sgpr34
                                        ; implicit-def: $sgpr35
                                        ; implicit-def: $sgpr36
	s_mov_b32 s0, exec_lo
	v_cmpx_lt_i32_e32 2, v14
	s_xor_b32 s37, exec_lo, s0
	s_cbranch_execz .LBB95_55
; %bb.44:                               ;   in Loop: Header=BB95_3 Depth=1
	s_mov_b32 s0, -1
	s_mov_b32 s39, 0
	s_mov_b32 s35, exec_lo
                                        ; implicit-def: $sgpr19
                                        ; implicit-def: $sgpr34
	v_cmpx_lt_i32_e32 3, v14
	s_cbranch_execz .LBB95_50
; %bb.45:                               ;   in Loop: Header=BB95_3 Depth=1
	s_mov_b32 s0, 0
	s_mov_b32 s39, -1
	s_mov_b32 s36, exec_lo
                                        ; implicit-def: $sgpr19
                                        ; implicit-def: $sgpr34
	v_cmpx_eq_u32_e32 4, v14
	s_cbranch_execz .LBB95_49
; %bb.46:                               ;   in Loop: Header=BB95_3 Depth=1
	v_cmp_le_f32_e32 vcc_lo, 0, v33
	v_cmp_ge_f32_e64 s0, 1.0, v33
	s_mov_b32 s19, 0
	s_delay_alu instid0(VALU_DEP_1)
	s_and_b32 s39, vcc_lo, s0
	s_mov_b32 s0, 0
	s_and_saveexec_b32 s34, s39
	s_cbranch_execz .LBB95_48
; %bb.47:                               ;   in Loop: Header=BB95_3 Depth=1
	v_cvt_f32_u32_e32 v15, v16
	v_lshlrev_b64 v[9:10], 1, v[9:10]
	s_mov_b32 s0, exec_lo
	s_delay_alu instid0(VALU_DEP_2) | instskip(NEXT) | instid1(VALU_DEP_2)
	v_fmaak_f32 v15, 0x2f800000, v15, 0x2f800000
	v_add_co_u32 v9, vcc_lo, s14, v9
	s_delay_alu instid0(VALU_DEP_3) | instskip(NEXT) | instid1(VALU_DEP_3)
	v_add_co_ci_u32_e32 v10, vcc_lo, s15, v10, vcc_lo
	v_cmp_le_f32_e32 vcc_lo, v15, v33
	v_cndmask_b32_e64 v15, 0, 0x3c00, vcc_lo
	global_store_b16 v[9:10], v15, off
.LBB95_48:                              ;   in Loop: Header=BB95_3 Depth=1
	s_or_b32 exec_lo, exec_lo, s34
	s_mov_b32 s34, -1
	s_xor_b32 s39, exec_lo, -1
	s_and_b32 s0, s0, exec_lo
.LBB95_49:                              ;   in Loop: Header=BB95_3 Depth=1
	s_or_b32 exec_lo, exec_lo, s36
	s_delay_alu instid0(SALU_CYCLE_1)
	s_and_b32 s39, s39, exec_lo
	s_or_not1_b32 s0, s0, exec_lo
.LBB95_50:                              ;   in Loop: Header=BB95_3 Depth=1
	s_or_b32 exec_lo, exec_lo, s35
	s_mov_b32 s36, s19
	s_and_saveexec_b32 s35, s0
	s_cbranch_execz .LBB95_54
; %bb.51:                               ;   in Loop: Header=BB95_3 Depth=1
	v_cmp_le_f32_e32 vcc_lo, 0, v32
	v_cmp_ge_f32_e64 s0, 1.0, v32
	s_delay_alu instid0(VALU_DEP_1) | instskip(SKIP_2) | instid1(SALU_CYCLE_1)
	s_and_b32 s36, vcc_lo, s0
	s_mov_b32 s0, 0
	s_and_saveexec_b32 s38, s36
	s_xor_b32 s36, exec_lo, s38
	s_cbranch_execz .LBB95_53
; %bb.52:                               ;   in Loop: Header=BB95_3 Depth=1
	v_cvt_f32_u32_e32 v9, v13
	v_lshlrev_b64 v[7:8], 1, v[7:8]
	s_mov_b32 s0, exec_lo
	s_delay_alu instid0(VALU_DEP_2) | instskip(NEXT) | instid1(VALU_DEP_2)
	v_fmaak_f32 v9, 0x2f800000, v9, 0x2f800000
	v_add_co_u32 v7, vcc_lo, s14, v7
	s_delay_alu instid0(VALU_DEP_3) | instskip(NEXT) | instid1(VALU_DEP_3)
	v_add_co_ci_u32_e32 v8, vcc_lo, s15, v8, vcc_lo
	v_cmp_le_f32_e32 vcc_lo, v9, v32
	v_cndmask_b32_e64 v9, 0, 0x3c00, vcc_lo
	global_store_b16 v[7:8], v9, off
.LBB95_53:                              ;   in Loop: Header=BB95_3 Depth=1
	s_or_b32 exec_lo, exec_lo, s36
	s_delay_alu instid0(SALU_CYCLE_1)
	s_and_not1_b32 s36, s19, exec_lo
	s_or_b32 s19, s19, exec_lo
	s_and_not1_b32 s34, s34, exec_lo
	s_and_b32 s38, s0, exec_lo
.LBB95_54:                              ;   in Loop: Header=BB95_3 Depth=1
	s_or_b32 exec_lo, exec_lo, s35
	s_delay_alu instid0(SALU_CYCLE_1)
	s_and_b32 s36, s36, exec_lo
	s_and_b32 s35, s19, exec_lo
	;; [unrolled: 1-line block ×5, first 2 shown]
.LBB95_55:                              ;   in Loop: Header=BB95_3 Depth=1
	s_and_not1_saveexec_b32 s0, s37
; %bb.56:                               ;   in Loop: Header=BB95_3 Depth=1
	v_cmp_lt_i32_e32 vcc_lo, 1, v14
	s_and_not1_b32 s37, s38, exec_lo
	s_mov_b32 s18, exec_lo
	s_and_not1_b32 s36, s36, exec_lo
	s_and_not1_b32 s35, s35, exec_lo
	s_and_b32 s38, vcc_lo, exec_lo
	s_and_not1_b32 s34, s34, exec_lo
	s_or_b32 s38, s37, s38
; %bb.57:                               ;   in Loop: Header=BB95_3 Depth=1
	s_or_b32 exec_lo, exec_lo, s0
	s_mov_b32 s0, 0
	s_mov_b32 s37, s36
	s_and_saveexec_b32 s39, s38
	s_cbranch_execnz .LBB95_60
; %bb.58:                               ;   in Loop: Header=BB95_3 Depth=1
	s_or_b32 exec_lo, exec_lo, s39
	s_and_saveexec_b32 s38, s18
	s_cbranch_execnz .LBB95_63
.LBB95_59:                              ;   in Loop: Header=BB95_3 Depth=1
	s_or_b32 exec_lo, exec_lo, s38
	s_and_saveexec_b32 s18, s0
	s_cbranch_execnz .LBB95_64
	s_branch .LBB95_67
.LBB95_60:                              ;   in Loop: Header=BB95_3 Depth=1
	v_cmp_le_f32_e32 vcc_lo, 0, v3
	v_cmp_ge_f32_e64 s0, 1.0, v3
	s_delay_alu instid0(VALU_DEP_1) | instskip(SKIP_2) | instid1(SALU_CYCLE_1)
	s_and_b32 s37, vcc_lo, s0
	s_mov_b32 s0, 0
	s_and_saveexec_b32 s38, s37
	s_xor_b32 s37, exec_lo, s38
	s_cbranch_execz .LBB95_62
; %bb.61:                               ;   in Loop: Header=BB95_3 Depth=1
	v_cvt_f32_u32_e32 v8, v12
	v_mov_b32_e32 v7, v4
	s_mov_b32 s0, exec_lo
	s_delay_alu instid0(VALU_DEP_2) | instskip(NEXT) | instid1(VALU_DEP_2)
	v_fmaak_f32 v8, 0x2f800000, v8, 0x2f800000
	v_lshlrev_b64 v[6:7], 1, v[6:7]
	s_delay_alu instid0(VALU_DEP_1) | instskip(NEXT) | instid1(VALU_DEP_2)
	v_add_co_u32 v6, vcc_lo, s14, v6
	v_add_co_ci_u32_e32 v7, vcc_lo, s15, v7, vcc_lo
	s_delay_alu instid0(VALU_DEP_4)
	v_cmp_le_f32_e32 vcc_lo, v8, v3
	v_cndmask_b32_e64 v3, 0, 0x3c00, vcc_lo
	global_store_b16 v[6:7], v3, off
.LBB95_62:                              ;   in Loop: Header=BB95_3 Depth=1
	s_or_b32 exec_lo, exec_lo, s37
	s_delay_alu instid0(SALU_CYCLE_1)
	s_and_not1_b32 s37, s36, exec_lo
	s_or_b32 s36, s36, exec_lo
	s_and_not1_b32 s35, s35, exec_lo
	s_and_not1_b32 s34, s34, exec_lo
	s_and_b32 s0, s0, exec_lo
	s_and_not1_b32 s18, s18, exec_lo
	s_or_b32 exec_lo, exec_lo, s39
	s_and_saveexec_b32 s38, s18
	s_cbranch_execz .LBB95_59
.LBB95_63:                              ;   in Loop: Header=BB95_3 Depth=1
	v_cmp_eq_u32_e32 vcc_lo, 1, v14
	s_and_not1_b32 s0, s0, exec_lo
	s_and_not1_b32 s37, s37, exec_lo
	;; [unrolled: 1-line block ×4, first 2 shown]
	s_and_b32 s18, vcc_lo, exec_lo
	s_and_not1_b32 s34, s34, exec_lo
	s_or_b32 s19, s19, exec_lo
	s_or_b32 s0, s0, s18
	s_or_b32 exec_lo, exec_lo, s38
	s_and_saveexec_b32 s18, s0
	s_cbranch_execz .LBB95_67
.LBB95_64:                              ;   in Loop: Header=BB95_3 Depth=1
	v_cmp_le_f32_e32 vcc_lo, 0, v0
	v_cmp_ge_f32_e64 s0, 1.0, v0
	s_delay_alu instid0(VALU_DEP_1)
	s_and_b32 s39, vcc_lo, s0
	s_mov_b32 s0, 0
	s_and_saveexec_b32 s38, s39
	s_cbranch_execz .LBB95_66
; %bb.65:                               ;   in Loop: Header=BB95_3 Depth=1
	v_cvt_f32_u32_e32 v3, v11
	v_mov_b32_e32 v6, v4
	s_mov_b32 s0, exec_lo
	s_delay_alu instid0(VALU_DEP_2) | instskip(NEXT) | instid1(VALU_DEP_2)
	v_fmaak_f32 v3, 0x2f800000, v3, 0x2f800000
	v_lshlrev_b64 v[5:6], 1, v[5:6]
	s_delay_alu instid0(VALU_DEP_1) | instskip(NEXT) | instid1(VALU_DEP_2)
	v_add_co_u32 v5, vcc_lo, s14, v5
	v_add_co_ci_u32_e32 v6, vcc_lo, s15, v6, vcc_lo
	s_delay_alu instid0(VALU_DEP_4)
	v_cmp_le_f32_e32 vcc_lo, v3, v0
	v_cndmask_b32_e64 v0, 0, 0x3c00, vcc_lo
	global_store_b16 v[5:6], v0, off
.LBB95_66:                              ;   in Loop: Header=BB95_3 Depth=1
	s_or_b32 exec_lo, exec_lo, s38
	s_delay_alu instid0(SALU_CYCLE_1)
	s_and_not1_b32 s19, s19, exec_lo
	s_and_b32 s0, s0, exec_lo
	s_or_b32 s37, s37, exec_lo
	s_and_not1_b32 s36, s36, exec_lo
	s_and_not1_b32 s35, s35, exec_lo
	;; [unrolled: 1-line block ×3, first 2 shown]
	s_or_b32 s19, s19, s0
.LBB95_67:                              ;   in Loop: Header=BB95_3 Depth=1
	s_or_b32 exec_lo, exec_lo, s18
	s_delay_alu instid0(SALU_CYCLE_1)
	s_and_not1_b32 s18, s33, exec_lo
	s_and_b32 s33, s37, exec_lo
	s_and_not1_b32 s30, s30, exec_lo
	s_and_b32 s36, s36, exec_lo
	s_or_b32 s33, s18, s33
	s_and_not1_b32 s18, s31, exec_lo
	s_and_b32 s31, s35, exec_lo
	s_and_not1_b32 s29, s29, exec_lo
	s_and_b32 s34, s34, exec_lo
	s_mov_b32 s0, -1
	s_or_b32 s30, s30, s36
	s_or_b32 s31, s18, s31
	;; [unrolled: 1-line block ×3, first 2 shown]
	s_and_saveexec_b32 s18, s19
	s_cbranch_execz .LBB95_2
; %bb.68:                               ;   in Loop: Header=BB95_3 Depth=1
	v_add_nc_u32_e32 v28, s25, v28
	s_and_not1_b32 s33, s33, exec_lo
	s_and_not1_b32 s30, s30, exec_lo
	;; [unrolled: 1-line block ×4, first 2 shown]
	v_cmp_le_u32_e32 vcc_lo, s20, v28
	s_or_not1_b32 s0, vcc_lo, exec_lo
	s_branch .LBB95_2
.LBB95_69:
	s_or_b32 exec_lo, exec_lo, s13
	s_xor_b32 s4, s27, -1
	s_xor_b32 s5, s28, -1
	;; [unrolled: 1-line block ×3, first 2 shown]
	s_mov_b32 s2, 0
	s_and_saveexec_b32 s3, s0
	s_delay_alu instid0(SALU_CYCLE_1)
	s_xor_b32 s0, exec_lo, s3
	s_cbranch_execz .LBB95_78
; %bb.70:
	s_mov_b32 s3, 0
	s_and_saveexec_b32 s2, s5
	s_delay_alu instid0(SALU_CYCLE_1)
	s_xor_b32 s2, exec_lo, s2
	s_cbranch_execz .LBB95_76
; %bb.71:
	s_and_saveexec_b32 s5, s4
	s_delay_alu instid0(SALU_CYCLE_1)
	s_xor_b32 s4, exec_lo, s5
	s_cbranch_execz .LBB95_74
; %bb.72:
	s_and_saveexec_b32 s5, s1
	s_delay_alu instid0(SALU_CYCLE_1)
	s_xor_b32 s1, exec_lo, s5
	s_cbranch_execnz .LBB95_92
.LBB95_73:
	s_or_b32 exec_lo, exec_lo, s1
	s_delay_alu instid0(SALU_CYCLE_1)
	s_and_b32 s3, s3, exec_lo
.LBB95_74:
	s_and_not1_saveexec_b32 s1, s4
	s_cbranch_execnz .LBB95_88
.LBB95_75:
	s_or_b32 exec_lo, exec_lo, s1
	s_delay_alu instid0(SALU_CYCLE_1)
	s_and_b32 s3, s3, exec_lo
.LBB95_76:
	s_and_not1_saveexec_b32 s1, s2
	s_cbranch_execnz .LBB95_84
.LBB95_77:
	s_or_b32 exec_lo, exec_lo, s1
	s_delay_alu instid0(SALU_CYCLE_1)
	s_and_b32 s2, s3, exec_lo
.LBB95_78:
	s_and_not1_saveexec_b32 s0, s0
	s_cbranch_execnz .LBB95_82
; %bb.79:
	s_or_b32 exec_lo, exec_lo, s0
	s_delay_alu instid0(SALU_CYCLE_1)
	s_and_b32 exec_lo, exec_lo, s2
.LBB95_80:
	; divergent unreachable
.LBB95_81:
	s_nop 0
	s_sendmsg sendmsg(MSG_DEALLOC_VGPRS)
	s_endpgm
.LBB95_82:
	s_cbranch_execnz .LBB95_86
; %bb.83:
	s_or_b32 s2, s2, exec_lo
	s_or_b32 exec_lo, exec_lo, s0
	s_delay_alu instid0(SALU_CYCLE_1)
	s_and_b32 exec_lo, exec_lo, s2
	s_cbranch_execnz .LBB95_80
	s_branch .LBB95_81
.LBB95_84:
	s_cbranch_execnz .LBB95_90
; %bb.85:
	s_or_b32 s3, s3, exec_lo
	s_branch .LBB95_77
.LBB95_86:
	s_trap 2
	s_sendmsg_rtn_b32 s0, sendmsg(MSG_RTN_GET_DOORBELL)
	s_mov_b32 ttmp2, m0
	s_waitcnt lgkmcnt(0)
	s_and_b32 s0, s0, 0x3ff
	s_delay_alu instid0(SALU_CYCLE_1) | instskip(NEXT) | instid1(SALU_CYCLE_1)
	s_bitset1_b32 s0, 10
	s_mov_b32 m0, s0
	s_sendmsg sendmsg(MSG_INTERRUPT)
	s_mov_b32 m0, ttmp2
.LBB95_87:                              ; =>This Inner Loop Header: Depth=1
	s_sethalt 5
	s_branch .LBB95_87
.LBB95_88:
	s_cbranch_execnz .LBB95_94
; %bb.89:
	s_or_b32 s3, s3, exec_lo
	s_branch .LBB95_75
.LBB95_90:
	s_trap 2
	s_sendmsg_rtn_b32 s0, sendmsg(MSG_RTN_GET_DOORBELL)
	s_mov_b32 ttmp2, m0
	s_waitcnt lgkmcnt(0)
	s_and_b32 s0, s0, 0x3ff
	s_delay_alu instid0(SALU_CYCLE_1) | instskip(NEXT) | instid1(SALU_CYCLE_1)
	s_bitset1_b32 s0, 10
	s_mov_b32 m0, s0
	s_sendmsg sendmsg(MSG_INTERRUPT)
	s_mov_b32 m0, ttmp2
.LBB95_91:                              ; =>This Inner Loop Header: Depth=1
	s_sethalt 5
	s_branch .LBB95_91
.LBB95_92:
	s_cbranch_execnz .LBB95_96
; %bb.93:
	s_mov_b32 s3, exec_lo
	s_branch .LBB95_73
.LBB95_94:
	s_trap 2
	s_sendmsg_rtn_b32 s0, sendmsg(MSG_RTN_GET_DOORBELL)
	s_mov_b32 ttmp2, m0
	s_waitcnt lgkmcnt(0)
	s_and_b32 s0, s0, 0x3ff
	s_delay_alu instid0(SALU_CYCLE_1) | instskip(NEXT) | instid1(SALU_CYCLE_1)
	s_bitset1_b32 s0, 10
	s_mov_b32 m0, s0
	s_sendmsg sendmsg(MSG_INTERRUPT)
	s_mov_b32 m0, ttmp2
.LBB95_95:                              ; =>This Inner Loop Header: Depth=1
	s_sethalt 5
	s_branch .LBB95_95
.LBB95_96:
	s_trap 2
	s_sendmsg_rtn_b32 s0, sendmsg(MSG_RTN_GET_DOORBELL)
	s_mov_b32 ttmp2, m0
	s_waitcnt lgkmcnt(0)
	s_and_b32 s0, s0, 0x3ff
	s_delay_alu instid0(SALU_CYCLE_1) | instskip(NEXT) | instid1(SALU_CYCLE_1)
	s_bitset1_b32 s0, 10
	s_mov_b32 m0, s0
	s_sendmsg sendmsg(MSG_INTERRUPT)
	s_mov_b32 m0, ttmp2
.LBB95_97:                              ; =>This Inner Loop Header: Depth=1
	s_sethalt 5
	s_branch .LBB95_97
	.section	.rodata,"a",@progbits
	.p2align	6, 0x0
	.amdhsa_kernel _ZN2at4cuda12_GLOBAL__N_121kernelPointwiseApply2IZNS_6native9templates4cuda28bernoulli_tensor_cuda_kernelIN3c104HalfEfEEvRKNS_10TensorBaseESB_NS_15PhiloxCudaStateEEUliRS8_SD_SD_SD_RKfSF_SF_SF_E_S8_SE_jLin1ELi2ELi4ELi512ELi2EEEvNS0_6detail10TensorInfoIT0_T2_EENSI_IT1_SK_EESK_T_
		.amdhsa_group_segment_fixed_size 0
		.amdhsa_private_segment_fixed_size 0
		.amdhsa_kernarg_size 728
		.amdhsa_user_sgpr_count 15
		.amdhsa_user_sgpr_dispatch_ptr 0
		.amdhsa_user_sgpr_queue_ptr 0
		.amdhsa_user_sgpr_kernarg_segment_ptr 1
		.amdhsa_user_sgpr_dispatch_id 0
		.amdhsa_user_sgpr_private_segment_size 0
		.amdhsa_wavefront_size32 1
		.amdhsa_uses_dynamic_stack 0
		.amdhsa_enable_private_segment 0
		.amdhsa_system_sgpr_workgroup_id_x 1
		.amdhsa_system_sgpr_workgroup_id_y 0
		.amdhsa_system_sgpr_workgroup_id_z 0
		.amdhsa_system_sgpr_workgroup_info 0
		.amdhsa_system_vgpr_workitem_id 0
		.amdhsa_next_free_vgpr 42
		.amdhsa_next_free_sgpr 40
		.amdhsa_reserve_vcc 1
		.amdhsa_float_round_mode_32 0
		.amdhsa_float_round_mode_16_64 0
		.amdhsa_float_denorm_mode_32 3
		.amdhsa_float_denorm_mode_16_64 3
		.amdhsa_dx10_clamp 1
		.amdhsa_ieee_mode 1
		.amdhsa_fp16_overflow 0
		.amdhsa_workgroup_processor_mode 1
		.amdhsa_memory_ordered 1
		.amdhsa_forward_progress 0
		.amdhsa_shared_vgpr_count 0
		.amdhsa_exception_fp_ieee_invalid_op 0
		.amdhsa_exception_fp_denorm_src 0
		.amdhsa_exception_fp_ieee_div_zero 0
		.amdhsa_exception_fp_ieee_overflow 0
		.amdhsa_exception_fp_ieee_underflow 0
		.amdhsa_exception_fp_ieee_inexact 0
		.amdhsa_exception_int_div_zero 0
	.end_amdhsa_kernel
	.section	.text._ZN2at4cuda12_GLOBAL__N_121kernelPointwiseApply2IZNS_6native9templates4cuda28bernoulli_tensor_cuda_kernelIN3c104HalfEfEEvRKNS_10TensorBaseESB_NS_15PhiloxCudaStateEEUliRS8_SD_SD_SD_RKfSF_SF_SF_E_S8_SE_jLin1ELi2ELi4ELi512ELi2EEEvNS0_6detail10TensorInfoIT0_T2_EENSI_IT1_SK_EESK_T_,"axG",@progbits,_ZN2at4cuda12_GLOBAL__N_121kernelPointwiseApply2IZNS_6native9templates4cuda28bernoulli_tensor_cuda_kernelIN3c104HalfEfEEvRKNS_10TensorBaseESB_NS_15PhiloxCudaStateEEUliRS8_SD_SD_SD_RKfSF_SF_SF_E_S8_SE_jLin1ELi2ELi4ELi512ELi2EEEvNS0_6detail10TensorInfoIT0_T2_EENSI_IT1_SK_EESK_T_,comdat
.Lfunc_end95:
	.size	_ZN2at4cuda12_GLOBAL__N_121kernelPointwiseApply2IZNS_6native9templates4cuda28bernoulli_tensor_cuda_kernelIN3c104HalfEfEEvRKNS_10TensorBaseESB_NS_15PhiloxCudaStateEEUliRS8_SD_SD_SD_RKfSF_SF_SF_E_S8_SE_jLin1ELi2ELi4ELi512ELi2EEEvNS0_6detail10TensorInfoIT0_T2_EENSI_IT1_SK_EESK_T_, .Lfunc_end95-_ZN2at4cuda12_GLOBAL__N_121kernelPointwiseApply2IZNS_6native9templates4cuda28bernoulli_tensor_cuda_kernelIN3c104HalfEfEEvRKNS_10TensorBaseESB_NS_15PhiloxCudaStateEEUliRS8_SD_SD_SD_RKfSF_SF_SF_E_S8_SE_jLin1ELi2ELi4ELi512ELi2EEEvNS0_6detail10TensorInfoIT0_T2_EENSI_IT1_SK_EESK_T_
                                        ; -- End function
	.section	.AMDGPU.csdata,"",@progbits
; Kernel info:
; codeLenInByte = 4844
; NumSgprs: 42
; NumVgprs: 42
; ScratchSize: 0
; MemoryBound: 0
; FloatMode: 240
; IeeeMode: 1
; LDSByteSize: 0 bytes/workgroup (compile time only)
; SGPRBlocks: 5
; VGPRBlocks: 5
; NumSGPRsForWavesPerEU: 42
; NumVGPRsForWavesPerEU: 42
; Occupancy: 16
; WaveLimiterHint : 1
; COMPUTE_PGM_RSRC2:SCRATCH_EN: 0
; COMPUTE_PGM_RSRC2:USER_SGPR: 15
; COMPUTE_PGM_RSRC2:TRAP_HANDLER: 0
; COMPUTE_PGM_RSRC2:TGID_X_EN: 1
; COMPUTE_PGM_RSRC2:TGID_Y_EN: 0
; COMPUTE_PGM_RSRC2:TGID_Z_EN: 0
; COMPUTE_PGM_RSRC2:TIDIG_COMP_CNT: 0
	.section	.text._ZN2at4cuda12_GLOBAL__N_121kernelPointwiseApply2IZNS_6native9templates4cuda28bernoulli_tensor_cuda_kernelIN3c104HalfEfEEvRKNS_10TensorBaseESB_NS_15PhiloxCudaStateEEUliRS8_SD_SD_SD_RKfSF_SF_SF_E_S8_SE_jLin1ELin1ELi4ELi512ELi2EEEvNS0_6detail10TensorInfoIT0_T2_EENSI_IT1_SK_EESK_T_,"axG",@progbits,_ZN2at4cuda12_GLOBAL__N_121kernelPointwiseApply2IZNS_6native9templates4cuda28bernoulli_tensor_cuda_kernelIN3c104HalfEfEEvRKNS_10TensorBaseESB_NS_15PhiloxCudaStateEEUliRS8_SD_SD_SD_RKfSF_SF_SF_E_S8_SE_jLin1ELin1ELi4ELi512ELi2EEEvNS0_6detail10TensorInfoIT0_T2_EENSI_IT1_SK_EESK_T_,comdat
	.globl	_ZN2at4cuda12_GLOBAL__N_121kernelPointwiseApply2IZNS_6native9templates4cuda28bernoulli_tensor_cuda_kernelIN3c104HalfEfEEvRKNS_10TensorBaseESB_NS_15PhiloxCudaStateEEUliRS8_SD_SD_SD_RKfSF_SF_SF_E_S8_SE_jLin1ELin1ELi4ELi512ELi2EEEvNS0_6detail10TensorInfoIT0_T2_EENSI_IT1_SK_EESK_T_ ; -- Begin function _ZN2at4cuda12_GLOBAL__N_121kernelPointwiseApply2IZNS_6native9templates4cuda28bernoulli_tensor_cuda_kernelIN3c104HalfEfEEvRKNS_10TensorBaseESB_NS_15PhiloxCudaStateEEUliRS8_SD_SD_SD_RKfSF_SF_SF_E_S8_SE_jLin1ELin1ELi4ELi512ELi2EEEvNS0_6detail10TensorInfoIT0_T2_EENSI_IT1_SK_EESK_T_
	.p2align	8
	.type	_ZN2at4cuda12_GLOBAL__N_121kernelPointwiseApply2IZNS_6native9templates4cuda28bernoulli_tensor_cuda_kernelIN3c104HalfEfEEvRKNS_10TensorBaseESB_NS_15PhiloxCudaStateEEUliRS8_SD_SD_SD_RKfSF_SF_SF_E_S8_SE_jLin1ELin1ELi4ELi512ELi2EEEvNS0_6detail10TensorInfoIT0_T2_EENSI_IT1_SK_EESK_T_,@function
_ZN2at4cuda12_GLOBAL__N_121kernelPointwiseApply2IZNS_6native9templates4cuda28bernoulli_tensor_cuda_kernelIN3c104HalfEfEEvRKNS_10TensorBaseESB_NS_15PhiloxCudaStateEEUliRS8_SD_SD_SD_RKfSF_SF_SF_E_S8_SE_jLin1ELin1ELi4ELi512ELi2EEEvNS0_6detail10TensorInfoIT0_T2_EENSI_IT1_SK_EESK_T_: ; @_ZN2at4cuda12_GLOBAL__N_121kernelPointwiseApply2IZNS_6native9templates4cuda28bernoulli_tensor_cuda_kernelIN3c104HalfEfEEvRKNS_10TensorBaseESB_NS_15PhiloxCudaStateEEUliRS8_SD_SD_SD_RKfSF_SF_SF_E_S8_SE_jLin1ELin1ELi4ELi512ELi2EEEvNS0_6detail10TensorInfoIT0_T2_EENSI_IT1_SK_EESK_T_
; %bb.0:
	s_clause 0x1
	s_load_b32 s4, s[0:1], 0x1e4
	s_load_b32 s20, s[0:1], 0x1b0
	s_add_u32 s2, s0, 0x1d8
	s_addc_u32 s3, s1, 0
	s_waitcnt lgkmcnt(0)
	s_and_b32 s12, s4, 0xffff
	s_mov_b32 s4, exec_lo
	v_mad_u64_u32 v[1:2], null, s15, s12, v[0:1]
	s_delay_alu instid0(VALU_DEP_1) | instskip(NEXT) | instid1(VALU_DEP_1)
	v_lshlrev_b32_e32 v27, 2, v1
	v_cmpx_gt_u32_e64 s20, v27
	s_cbranch_execz .LBB96_93
; %bb.1:
	s_clause 0x2
	s_load_b32 s16, s[0:1], 0xd0
	s_load_b32 s17, s[0:1], 0x1a8
	;; [unrolled: 1-line block ×4, first 2 shown]
	s_clause 0x1
	s_load_b64 s[2:3], s[0:1], 0x1c8
	s_load_b128 s[4:7], s[0:1], 0x1b8
	s_add_u32 s18, s0, 0xd8
	s_addc_u32 s19, s1, 0
	s_clause 0x3
	s_load_b32 s21, s[0:1], 0x144
	s_load_b64 s[8:9], s[0:1], 0xd8
	s_load_b32 s22, s[0:1], 0x6c
	s_load_b64 s[10:11], s[0:1], 0x0
	s_mov_b32 s13, 0
	v_mad_u64_u32 v[2:3], null, 0xcd9e8d57, v1, 0
	v_mov_b32_e32 v4, 0
                                        ; implicit-def: $sgpr29
                                        ; implicit-def: $sgpr31
                                        ; implicit-def: $sgpr30
                                        ; implicit-def: $sgpr33
                                        ; implicit-def: $sgpr35
                                        ; implicit-def: $sgpr34
                                        ; implicit-def: $sgpr36
	s_delay_alu instid0(VALU_DEP_2)
	v_mov_b32_e32 v28, v3
	s_waitcnt lgkmcnt(0)
	s_cmp_gt_i32 s16, 1
	s_cselect_b32 s23, -1, 0
	s_cmp_gt_i32 s17, 1
	s_mul_i32 s15, s15, s12
	s_cselect_b32 s24, -1, 0
	s_bitcmp1_b32 s14, 0
	s_cselect_b32 s25, -1, 0
	s_add_i32 s12, s16, -1
	s_lshl_b32 s26, s15, 2
	s_lshl_b64 s[14:15], s[12:13], 2
	s_add_i32 s27, s16, 1
	s_add_u32 s0, s14, s0
	s_addc_u32 s1, s15, s1
	s_add_u32 s14, s0, 8
	s_addc_u32 s15, s1, 0
	s_add_i32 s12, s17, -1
	s_add_i32 s28, s17, 1
	s_lshl_b64 s[0:1], s[12:13], 2
                                        ; implicit-def: $sgpr12
	s_delay_alu instid0(SALU_CYCLE_1)
	s_add_u32 s0, s0, s18
	s_addc_u32 s1, s1, s19
	s_add_u32 s16, s0, 8
	s_addc_u32 s17, s1, 0
	s_branch .LBB96_3
.LBB96_2:                               ;   in Loop: Header=BB96_3 Depth=1
	s_or_b32 exec_lo, exec_lo, s1
	s_delay_alu instid0(SALU_CYCLE_1) | instskip(NEXT) | instid1(SALU_CYCLE_1)
	s_and_b32 s0, exec_lo, s0
	s_or_b32 s13, s0, s13
	s_and_not1_b32 s0, s12, exec_lo
	s_and_b32 s1, s36, exec_lo
	s_and_not1_b32 s18, s30, exec_lo
	s_and_b32 s19, s34, exec_lo
	s_or_b32 s12, s0, s1
	s_or_b32 s30, s18, s19
	s_and_not1_b32 s0, s31, exec_lo
	s_and_b32 s1, s35, exec_lo
	s_and_not1_b32 s18, s29, exec_lo
	s_and_b32 s19, s33, exec_lo
	s_or_b32 s31, s0, s1
	s_or_b32 s29, s18, s19
	s_and_not1_b32 exec_lo, exec_lo, s13
	s_cbranch_execz .LBB96_81
.LBB96_3:                               ; =>This Loop Header: Depth=1
                                        ;     Child Loop BB96_6 Depth 2
                                        ;     Child Loop BB96_11 Depth 2
	;; [unrolled: 1-line block ×8, first 2 shown]
	v_sub_nc_u32_e32 v29, s20, v27
	v_mov_b32_e32 v5, 0
	s_delay_alu instid0(VALU_DEP_2) | instskip(NEXT) | instid1(VALU_DEP_1)
	v_cmp_lt_i32_e64 s0, 0, v29
	s_and_saveexec_b32 s1, s0
	s_cbranch_execz .LBB96_8
; %bb.4:                                ;   in Loop: Header=BB96_3 Depth=1
	v_dual_mov_b32 v0, 0 :: v_dual_mov_b32 v3, v27
	s_and_not1_b32 vcc_lo, exec_lo, s23
	s_cbranch_vccnz .LBB96_7
; %bb.5:                                ;   in Loop: Header=BB96_3 Depth=1
	v_dual_mov_b32 v0, 0 :: v_dual_mov_b32 v3, v27
	s_mov_b64 s[18:19], s[14:15]
	s_mov_b32 s37, s27
	s_set_inst_prefetch_distance 0x1
	.p2align	6
.LBB96_6:                               ;   Parent Loop BB96_3 Depth=1
                                        ; =>  This Inner Loop Header: Depth=2
	s_clause 0x1
	s_load_b32 s38, s[18:19], 0x0
	s_load_b32 s39, s[18:19], 0x64
	v_mov_b32_e32 v7, v3
	s_add_i32 s37, s37, -1
	s_waitcnt lgkmcnt(0)
	v_cvt_f32_u32_e32 v5, s38
	s_sub_i32 s40, 0, s38
	s_add_u32 s18, s18, -4
	s_addc_u32 s19, s19, -1
	s_cmp_gt_u32 s37, 2
	v_rcp_iflag_f32_e32 v5, v5
	s_waitcnt_depctr 0xfff
	v_mul_f32_e32 v5, 0x4f7ffffe, v5
	s_delay_alu instid0(VALU_DEP_1) | instskip(NEXT) | instid1(VALU_DEP_1)
	v_cvt_u32_f32_e32 v5, v5
	v_mul_lo_u32 v6, s40, v5
	s_delay_alu instid0(VALU_DEP_1) | instskip(NEXT) | instid1(VALU_DEP_1)
	v_mul_hi_u32 v6, v5, v6
	v_add_nc_u32_e32 v3, v5, v6
	s_delay_alu instid0(VALU_DEP_1) | instskip(NEXT) | instid1(VALU_DEP_1)
	v_mul_hi_u32 v3, v7, v3
	v_add_nc_u32_e32 v6, 1, v3
	v_mul_lo_u32 v5, v3, s38
	s_delay_alu instid0(VALU_DEP_1) | instskip(NEXT) | instid1(VALU_DEP_1)
	v_sub_nc_u32_e32 v5, v7, v5
	v_subrev_nc_u32_e32 v8, s38, v5
	v_cmp_le_u32_e32 vcc_lo, s38, v5
	v_cndmask_b32_e32 v3, v3, v6, vcc_lo
	s_delay_alu instid0(VALU_DEP_1) | instskip(NEXT) | instid1(VALU_DEP_1)
	v_dual_cndmask_b32 v5, v5, v8 :: v_dual_add_nc_u32 v6, 1, v3
	v_cmp_le_u32_e32 vcc_lo, s38, v5
	s_delay_alu instid0(VALU_DEP_2) | instskip(NEXT) | instid1(VALU_DEP_1)
	v_cndmask_b32_e32 v3, v3, v6, vcc_lo
	v_mul_lo_u32 v5, v3, s38
	s_delay_alu instid0(VALU_DEP_1) | instskip(NEXT) | instid1(VALU_DEP_1)
	v_sub_nc_u32_e32 v7, v7, v5
	v_mad_u64_u32 v[5:6], null, s39, v7, v[0:1]
	s_delay_alu instid0(VALU_DEP_1)
	v_mov_b32_e32 v0, v5
	s_cbranch_scc1 .LBB96_6
.LBB96_7:                               ;   in Loop: Header=BB96_3 Depth=1
	s_set_inst_prefetch_distance 0x2
	s_delay_alu instid0(VALU_DEP_1)
	v_mad_u64_u32 v[5:6], null, s22, v3, v[0:1]
.LBB96_8:                               ;   in Loop: Header=BB96_3 Depth=1
	s_or_b32 exec_lo, exec_lo, s1
	v_mov_b32_e32 v3, 0
	s_and_saveexec_b32 s18, s0
	s_cbranch_execz .LBB96_13
; %bb.9:                                ;   in Loop: Header=BB96_3 Depth=1
	v_dual_mov_b32 v0, 0 :: v_dual_mov_b32 v3, v27
	s_and_not1_b32 vcc_lo, exec_lo, s24
	s_cbranch_vccnz .LBB96_12
; %bb.10:                               ;   in Loop: Header=BB96_3 Depth=1
	v_dual_mov_b32 v0, 0 :: v_dual_mov_b32 v3, v27
	s_mov_b64 s[0:1], s[16:17]
	s_mov_b32 s19, s28
	s_set_inst_prefetch_distance 0x1
	.p2align	6
.LBB96_11:                              ;   Parent Loop BB96_3 Depth=1
                                        ; =>  This Inner Loop Header: Depth=2
	s_clause 0x1
	s_load_b32 s37, s[0:1], 0x0
	s_load_b32 s38, s[0:1], 0x64
	s_add_i32 s19, s19, -1
	s_waitcnt lgkmcnt(0)
	v_cvt_f32_u32_e32 v6, s37
	s_sub_i32 s39, 0, s37
	s_add_u32 s0, s0, -4
	s_addc_u32 s1, s1, -1
	s_cmp_gt_u32 s19, 2
	v_rcp_iflag_f32_e32 v6, v6
	s_waitcnt_depctr 0xfff
	v_mul_f32_e32 v6, 0x4f7ffffe, v6
	s_delay_alu instid0(VALU_DEP_1) | instskip(NEXT) | instid1(VALU_DEP_1)
	v_cvt_u32_f32_e32 v6, v6
	v_mul_lo_u32 v7, s39, v6
	s_delay_alu instid0(VALU_DEP_1) | instskip(NEXT) | instid1(VALU_DEP_1)
	v_mul_hi_u32 v7, v6, v7
	v_dual_mov_b32 v8, v3 :: v_dual_add_nc_u32 v3, v6, v7
	s_delay_alu instid0(VALU_DEP_1) | instskip(NEXT) | instid1(VALU_DEP_1)
	v_mul_hi_u32 v3, v8, v3
	v_mul_lo_u32 v6, v3, s37
	v_add_nc_u32_e32 v7, 1, v3
	s_delay_alu instid0(VALU_DEP_2) | instskip(NEXT) | instid1(VALU_DEP_1)
	v_sub_nc_u32_e32 v6, v8, v6
	v_subrev_nc_u32_e32 v9, s37, v6
	v_cmp_le_u32_e32 vcc_lo, s37, v6
	s_delay_alu instid0(VALU_DEP_2) | instskip(NEXT) | instid1(VALU_DEP_1)
	v_dual_cndmask_b32 v3, v3, v7 :: v_dual_cndmask_b32 v6, v6, v9
	v_add_nc_u32_e32 v7, 1, v3
	s_delay_alu instid0(VALU_DEP_2) | instskip(NEXT) | instid1(VALU_DEP_2)
	v_cmp_le_u32_e32 vcc_lo, s37, v6
	v_cndmask_b32_e32 v3, v3, v7, vcc_lo
	s_delay_alu instid0(VALU_DEP_1) | instskip(NEXT) | instid1(VALU_DEP_1)
	v_mul_lo_u32 v6, v3, s37
	v_sub_nc_u32_e32 v8, v8, v6
	s_delay_alu instid0(VALU_DEP_1) | instskip(NEXT) | instid1(VALU_DEP_1)
	v_mad_u64_u32 v[6:7], null, s38, v8, v[0:1]
	v_mov_b32_e32 v0, v6
	s_cbranch_scc1 .LBB96_11
.LBB96_12:                              ;   in Loop: Header=BB96_3 Depth=1
	s_set_inst_prefetch_distance 0x2
	s_delay_alu instid0(VALU_DEP_1) | instskip(NEXT) | instid1(VALU_DEP_1)
	v_mad_u64_u32 v[6:7], null, s21, v3, v[0:1]
	v_mov_b32_e32 v3, v6
.LBB96_13:                              ;   in Loop: Header=BB96_3 Depth=1
	s_or_b32 exec_lo, exec_lo, s18
	v_or_b32_e32 v8, 1, v27
	v_cmp_lt_i32_e64 s0, 1, v29
	v_mov_b32_e32 v6, 0
	s_delay_alu instid0(VALU_DEP_2)
	s_and_saveexec_b32 s1, s0
	s_cbranch_execz .LBB96_18
; %bb.14:                               ;   in Loop: Header=BB96_3 Depth=1
	v_dual_mov_b32 v0, 0 :: v_dual_mov_b32 v9, v8
	s_and_not1_b32 vcc_lo, exec_lo, s23
	s_cbranch_vccnz .LBB96_17
; %bb.15:                               ;   in Loop: Header=BB96_3 Depth=1
	v_dual_mov_b32 v0, 0 :: v_dual_mov_b32 v9, v8
	s_mov_b64 s[18:19], s[14:15]
	s_mov_b32 s37, s27
	s_set_inst_prefetch_distance 0x1
	.p2align	6
.LBB96_16:                              ;   Parent Loop BB96_3 Depth=1
                                        ; =>  This Inner Loop Header: Depth=2
	s_clause 0x1
	s_load_b32 s38, s[18:19], 0x0
	s_load_b32 s39, s[18:19], 0x64
	v_mov_b32_e32 v10, v9
	s_add_i32 s37, s37, -1
	s_waitcnt lgkmcnt(0)
	v_cvt_f32_u32_e32 v6, s38
	s_sub_i32 s40, 0, s38
	s_add_u32 s18, s18, -4
	s_addc_u32 s19, s19, -1
	s_cmp_gt_u32 s37, 2
	v_rcp_iflag_f32_e32 v6, v6
	s_waitcnt_depctr 0xfff
	v_mul_f32_e32 v6, 0x4f7ffffe, v6
	s_delay_alu instid0(VALU_DEP_1) | instskip(NEXT) | instid1(VALU_DEP_1)
	v_cvt_u32_f32_e32 v6, v6
	v_mul_lo_u32 v7, s40, v6
	s_delay_alu instid0(VALU_DEP_1) | instskip(NEXT) | instid1(VALU_DEP_1)
	v_mul_hi_u32 v7, v6, v7
	v_add_nc_u32_e32 v6, v6, v7
	s_delay_alu instid0(VALU_DEP_1) | instskip(NEXT) | instid1(VALU_DEP_1)
	v_mul_hi_u32 v6, v10, v6
	v_mul_lo_u32 v7, v6, s38
	v_add_nc_u32_e32 v9, 1, v6
	s_delay_alu instid0(VALU_DEP_2) | instskip(NEXT) | instid1(VALU_DEP_1)
	v_sub_nc_u32_e32 v7, v10, v7
	v_subrev_nc_u32_e32 v11, s38, v7
	v_cmp_le_u32_e32 vcc_lo, s38, v7
	s_delay_alu instid0(VALU_DEP_2) | instskip(NEXT) | instid1(VALU_DEP_1)
	v_dual_cndmask_b32 v7, v7, v11 :: v_dual_cndmask_b32 v6, v6, v9
	v_cmp_le_u32_e32 vcc_lo, s38, v7
	s_delay_alu instid0(VALU_DEP_2) | instskip(NEXT) | instid1(VALU_DEP_1)
	v_add_nc_u32_e32 v9, 1, v6
	v_cndmask_b32_e32 v9, v6, v9, vcc_lo
	s_delay_alu instid0(VALU_DEP_1) | instskip(NEXT) | instid1(VALU_DEP_1)
	v_mul_lo_u32 v6, v9, s38
	v_sub_nc_u32_e32 v10, v10, v6
	s_delay_alu instid0(VALU_DEP_1) | instskip(NEXT) | instid1(VALU_DEP_1)
	v_mad_u64_u32 v[6:7], null, s39, v10, v[0:1]
	v_mov_b32_e32 v0, v6
	s_cbranch_scc1 .LBB96_16
.LBB96_17:                              ;   in Loop: Header=BB96_3 Depth=1
	s_set_inst_prefetch_distance 0x2
	s_delay_alu instid0(VALU_DEP_1)
	v_mad_u64_u32 v[6:7], null, s22, v9, v[0:1]
.LBB96_18:                              ;   in Loop: Header=BB96_3 Depth=1
	s_or_b32 exec_lo, exec_lo, s1
	v_mov_b32_e32 v10, 0
	s_and_saveexec_b32 s18, s0
	s_cbranch_execz .LBB96_23
; %bb.19:                               ;   in Loop: Header=BB96_3 Depth=1
	v_mov_b32_e32 v0, 0
	s_and_not1_b32 vcc_lo, exec_lo, s24
	s_cbranch_vccnz .LBB96_22
; %bb.20:                               ;   in Loop: Header=BB96_3 Depth=1
	v_mov_b32_e32 v0, 0
	s_mov_b64 s[0:1], s[16:17]
	s_mov_b32 s19, s28
	s_set_inst_prefetch_distance 0x1
	.p2align	6
.LBB96_21:                              ;   Parent Loop BB96_3 Depth=1
                                        ; =>  This Inner Loop Header: Depth=2
	s_clause 0x1
	s_load_b32 s37, s[0:1], 0x0
	s_load_b32 s38, s[0:1], 0x64
	s_add_i32 s19, s19, -1
	v_mov_b32_e32 v10, v8
	s_waitcnt lgkmcnt(0)
	v_cvt_f32_u32_e32 v7, s37
	s_sub_i32 s39, 0, s37
	s_add_u32 s0, s0, -4
	s_addc_u32 s1, s1, -1
	s_cmp_gt_u32 s19, 2
	v_rcp_iflag_f32_e32 v7, v7
	s_waitcnt_depctr 0xfff
	v_mul_f32_e32 v7, 0x4f7ffffe, v7
	s_delay_alu instid0(VALU_DEP_1) | instskip(NEXT) | instid1(VALU_DEP_1)
	v_cvt_u32_f32_e32 v7, v7
	v_mul_lo_u32 v9, s39, v7
	s_delay_alu instid0(VALU_DEP_1) | instskip(NEXT) | instid1(VALU_DEP_1)
	v_mul_hi_u32 v9, v7, v9
	v_add_nc_u32_e32 v7, v7, v9
	s_delay_alu instid0(VALU_DEP_1) | instskip(NEXT) | instid1(VALU_DEP_1)
	v_mul_hi_u32 v7, v10, v7
	v_mul_lo_u32 v8, v7, s37
	v_add_nc_u32_e32 v9, 1, v7
	s_delay_alu instid0(VALU_DEP_2) | instskip(NEXT) | instid1(VALU_DEP_1)
	v_sub_nc_u32_e32 v8, v10, v8
	v_subrev_nc_u32_e32 v11, s37, v8
	v_cmp_le_u32_e32 vcc_lo, s37, v8
	s_delay_alu instid0(VALU_DEP_2) | instskip(NEXT) | instid1(VALU_DEP_1)
	v_dual_cndmask_b32 v8, v8, v11 :: v_dual_cndmask_b32 v7, v7, v9
	v_cmp_le_u32_e32 vcc_lo, s37, v8
	s_delay_alu instid0(VALU_DEP_2) | instskip(NEXT) | instid1(VALU_DEP_1)
	v_add_nc_u32_e32 v9, 1, v7
	v_cndmask_b32_e32 v8, v7, v9, vcc_lo
	s_delay_alu instid0(VALU_DEP_1) | instskip(NEXT) | instid1(VALU_DEP_1)
	v_mul_lo_u32 v7, v8, s37
	v_sub_nc_u32_e32 v7, v10, v7
	s_delay_alu instid0(VALU_DEP_1) | instskip(NEXT) | instid1(VALU_DEP_1)
	v_mad_u64_u32 v[9:10], null, s38, v7, v[0:1]
	v_mov_b32_e32 v0, v9
	s_cbranch_scc1 .LBB96_21
.LBB96_22:                              ;   in Loop: Header=BB96_3 Depth=1
	s_set_inst_prefetch_distance 0x2
	s_delay_alu instid0(VALU_DEP_1)
	v_mad_u64_u32 v[10:11], null, s21, v8, v[0:1]
.LBB96_23:                              ;   in Loop: Header=BB96_3 Depth=1
	s_or_b32 exec_lo, exec_lo, s18
	v_or_b32_e32 v9, 2, v27
	v_cmp_lt_i32_e64 s0, 2, v29
	v_mov_b32_e32 v7, 0
	s_delay_alu instid0(VALU_DEP_2)
	s_and_saveexec_b32 s1, s0
	s_cbranch_execz .LBB96_28
; %bb.24:                               ;   in Loop: Header=BB96_3 Depth=1
	v_dual_mov_b32 v0, 0 :: v_dual_mov_b32 v11, v9
	s_and_not1_b32 vcc_lo, exec_lo, s23
	s_cbranch_vccnz .LBB96_27
; %bb.25:                               ;   in Loop: Header=BB96_3 Depth=1
	v_dual_mov_b32 v0, 0 :: v_dual_mov_b32 v11, v9
	s_mov_b64 s[18:19], s[14:15]
	s_mov_b32 s37, s27
	s_set_inst_prefetch_distance 0x1
	.p2align	6
.LBB96_26:                              ;   Parent Loop BB96_3 Depth=1
                                        ; =>  This Inner Loop Header: Depth=2
	s_clause 0x1
	s_load_b32 s38, s[18:19], 0x0
	s_load_b32 s39, s[18:19], 0x64
	s_add_i32 s37, s37, -1
	v_mov_b32_e32 v12, v11
	s_waitcnt lgkmcnt(0)
	v_cvt_f32_u32_e32 v7, s38
	s_sub_i32 s40, 0, s38
	s_add_u32 s18, s18, -4
	s_addc_u32 s19, s19, -1
	s_cmp_gt_u32 s37, 2
	v_rcp_iflag_f32_e32 v7, v7
	s_waitcnt_depctr 0xfff
	v_mul_f32_e32 v7, 0x4f7ffffe, v7
	s_delay_alu instid0(VALU_DEP_1) | instskip(NEXT) | instid1(VALU_DEP_1)
	v_cvt_u32_f32_e32 v7, v7
	v_mul_lo_u32 v8, s40, v7
	s_delay_alu instid0(VALU_DEP_1) | instskip(NEXT) | instid1(VALU_DEP_1)
	v_mul_hi_u32 v8, v7, v8
	v_add_nc_u32_e32 v7, v7, v8
	s_delay_alu instid0(VALU_DEP_1) | instskip(NEXT) | instid1(VALU_DEP_1)
	v_mul_hi_u32 v7, v12, v7
	v_mul_lo_u32 v8, v7, s38
	v_add_nc_u32_e32 v11, 1, v7
	s_delay_alu instid0(VALU_DEP_2) | instskip(NEXT) | instid1(VALU_DEP_1)
	v_sub_nc_u32_e32 v8, v12, v8
	v_subrev_nc_u32_e32 v13, s38, v8
	v_cmp_le_u32_e32 vcc_lo, s38, v8
	s_delay_alu instid0(VALU_DEP_2) | instskip(NEXT) | instid1(VALU_DEP_1)
	v_dual_cndmask_b32 v7, v7, v11 :: v_dual_cndmask_b32 v8, v8, v13
	v_add_nc_u32_e32 v11, 1, v7
	s_delay_alu instid0(VALU_DEP_2) | instskip(NEXT) | instid1(VALU_DEP_2)
	v_cmp_le_u32_e32 vcc_lo, s38, v8
	v_cndmask_b32_e32 v11, v7, v11, vcc_lo
	s_delay_alu instid0(VALU_DEP_1) | instskip(NEXT) | instid1(VALU_DEP_1)
	v_mul_lo_u32 v7, v11, s38
	v_sub_nc_u32_e32 v12, v12, v7
	s_delay_alu instid0(VALU_DEP_1) | instskip(NEXT) | instid1(VALU_DEP_1)
	v_mad_u64_u32 v[7:8], null, s39, v12, v[0:1]
	v_mov_b32_e32 v0, v7
	s_cbranch_scc1 .LBB96_26
.LBB96_27:                              ;   in Loop: Header=BB96_3 Depth=1
	s_set_inst_prefetch_distance 0x2
	s_delay_alu instid0(VALU_DEP_1)
	v_mad_u64_u32 v[7:8], null, s22, v11, v[0:1]
.LBB96_28:                              ;   in Loop: Header=BB96_3 Depth=1
	s_or_b32 exec_lo, exec_lo, s1
	v_mov_b32_e32 v12, 0
	v_mov_b32_e32 v13, 0
	s_and_saveexec_b32 s18, s0
	s_cbranch_execz .LBB96_33
; %bb.29:                               ;   in Loop: Header=BB96_3 Depth=1
	v_mov_b32_e32 v0, 0
	s_and_not1_b32 vcc_lo, exec_lo, s24
	s_cbranch_vccnz .LBB96_32
; %bb.30:                               ;   in Loop: Header=BB96_3 Depth=1
	v_mov_b32_e32 v0, 0
	s_mov_b64 s[0:1], s[16:17]
	s_mov_b32 s19, s28
	s_set_inst_prefetch_distance 0x1
	.p2align	6
.LBB96_31:                              ;   Parent Loop BB96_3 Depth=1
                                        ; =>  This Inner Loop Header: Depth=2
	s_clause 0x1
	s_load_b32 s37, s[0:1], 0x0
	s_load_b32 s38, s[0:1], 0x64
	v_mov_b32_e32 v12, v9
	s_add_i32 s19, s19, -1
	s_waitcnt lgkmcnt(0)
	v_cvt_f32_u32_e32 v8, s37
	s_sub_i32 s39, 0, s37
	s_add_u32 s0, s0, -4
	s_addc_u32 s1, s1, -1
	s_cmp_gt_u32 s19, 2
	v_rcp_iflag_f32_e32 v8, v8
	s_waitcnt_depctr 0xfff
	v_mul_f32_e32 v8, 0x4f7ffffe, v8
	s_delay_alu instid0(VALU_DEP_1) | instskip(NEXT) | instid1(VALU_DEP_1)
	v_cvt_u32_f32_e32 v8, v8
	v_mul_lo_u32 v11, s39, v8
	s_delay_alu instid0(VALU_DEP_1) | instskip(NEXT) | instid1(VALU_DEP_1)
	v_mul_hi_u32 v11, v8, v11
	v_add_nc_u32_e32 v8, v8, v11
	s_delay_alu instid0(VALU_DEP_1) | instskip(NEXT) | instid1(VALU_DEP_1)
	v_mul_hi_u32 v8, v12, v8
	v_mul_lo_u32 v9, v8, s37
	v_add_nc_u32_e32 v11, 1, v8
	s_delay_alu instid0(VALU_DEP_2) | instskip(NEXT) | instid1(VALU_DEP_1)
	v_sub_nc_u32_e32 v9, v12, v9
	v_subrev_nc_u32_e32 v13, s37, v9
	v_cmp_le_u32_e32 vcc_lo, s37, v9
	s_delay_alu instid0(VALU_DEP_2) | instskip(NEXT) | instid1(VALU_DEP_1)
	v_dual_cndmask_b32 v9, v9, v13 :: v_dual_cndmask_b32 v8, v8, v11
	v_cmp_le_u32_e32 vcc_lo, s37, v9
	s_delay_alu instid0(VALU_DEP_2) | instskip(NEXT) | instid1(VALU_DEP_1)
	v_add_nc_u32_e32 v11, 1, v8
	v_cndmask_b32_e32 v9, v8, v11, vcc_lo
	s_delay_alu instid0(VALU_DEP_1) | instskip(NEXT) | instid1(VALU_DEP_1)
	v_mul_lo_u32 v8, v9, s37
	v_sub_nc_u32_e32 v8, v12, v8
	s_delay_alu instid0(VALU_DEP_1) | instskip(NEXT) | instid1(VALU_DEP_1)
	v_mad_u64_u32 v[11:12], null, s38, v8, v[0:1]
	v_mov_b32_e32 v0, v11
	s_cbranch_scc1 .LBB96_31
.LBB96_32:                              ;   in Loop: Header=BB96_3 Depth=1
	s_set_inst_prefetch_distance 0x2
	s_delay_alu instid0(VALU_DEP_1)
	v_mad_u64_u32 v[12:13], null, s21, v9, v[0:1]
	v_mov_b32_e32 v13, v4
.LBB96_33:                              ;   in Loop: Header=BB96_3 Depth=1
	s_or_b32 exec_lo, exec_lo, s18
	v_mov_b32_e32 v8, 0
	v_or_b32_e32 v11, 3, v27
	v_mov_b32_e32 v9, 0
	v_cmp_lt_i32_e64 s0, 3, v29
	s_delay_alu instid0(VALU_DEP_1)
	s_and_saveexec_b32 s1, s0
	s_cbranch_execz .LBB96_38
; %bb.34:                               ;   in Loop: Header=BB96_3 Depth=1
	v_mov_b32_e32 v0, 0
	v_mov_b32_e32 v14, v11
	s_and_not1_b32 vcc_lo, exec_lo, s23
	s_cbranch_vccnz .LBB96_37
; %bb.35:                               ;   in Loop: Header=BB96_3 Depth=1
	v_mov_b32_e32 v0, 0
	v_mov_b32_e32 v14, v11
	s_mov_b64 s[18:19], s[14:15]
	s_mov_b32 s37, s27
	s_set_inst_prefetch_distance 0x1
	.p2align	6
.LBB96_36:                              ;   Parent Loop BB96_3 Depth=1
                                        ; =>  This Inner Loop Header: Depth=2
	s_clause 0x1
	s_load_b32 s38, s[18:19], 0x0
	s_load_b32 s39, s[18:19], 0x64
	s_add_i32 s37, s37, -1
	v_mov_b32_e32 v15, v14
	s_waitcnt lgkmcnt(0)
	v_cvt_f32_u32_e32 v8, s38
	s_sub_i32 s40, 0, s38
	s_add_u32 s18, s18, -4
	s_addc_u32 s19, s19, -1
	s_cmp_gt_u32 s37, 2
	v_rcp_iflag_f32_e32 v8, v8
	s_waitcnt_depctr 0xfff
	v_mul_f32_e32 v8, 0x4f7ffffe, v8
	s_delay_alu instid0(VALU_DEP_1) | instskip(NEXT) | instid1(VALU_DEP_1)
	v_cvt_u32_f32_e32 v8, v8
	v_mul_lo_u32 v9, s40, v8
	s_delay_alu instid0(VALU_DEP_1) | instskip(NEXT) | instid1(VALU_DEP_1)
	v_mul_hi_u32 v9, v8, v9
	v_add_nc_u32_e32 v8, v8, v9
	s_delay_alu instid0(VALU_DEP_1) | instskip(NEXT) | instid1(VALU_DEP_1)
	v_mul_hi_u32 v8, v15, v8
	v_mul_lo_u32 v9, v8, s38
	v_add_nc_u32_e32 v14, 1, v8
	s_delay_alu instid0(VALU_DEP_2) | instskip(NEXT) | instid1(VALU_DEP_1)
	v_sub_nc_u32_e32 v9, v15, v9
	v_subrev_nc_u32_e32 v16, s38, v9
	v_cmp_le_u32_e32 vcc_lo, s38, v9
	s_delay_alu instid0(VALU_DEP_2) | instskip(NEXT) | instid1(VALU_DEP_1)
	v_dual_cndmask_b32 v9, v9, v16 :: v_dual_cndmask_b32 v8, v8, v14
	v_cmp_le_u32_e32 vcc_lo, s38, v9
	s_delay_alu instid0(VALU_DEP_2) | instskip(NEXT) | instid1(VALU_DEP_1)
	v_add_nc_u32_e32 v14, 1, v8
	v_cndmask_b32_e32 v14, v8, v14, vcc_lo
	s_delay_alu instid0(VALU_DEP_1) | instskip(NEXT) | instid1(VALU_DEP_1)
	v_mul_lo_u32 v8, v14, s38
	v_sub_nc_u32_e32 v15, v15, v8
	s_delay_alu instid0(VALU_DEP_1) | instskip(NEXT) | instid1(VALU_DEP_1)
	v_mad_u64_u32 v[8:9], null, s39, v15, v[0:1]
	v_mov_b32_e32 v0, v8
	s_cbranch_scc1 .LBB96_36
.LBB96_37:                              ;   in Loop: Header=BB96_3 Depth=1
	s_set_inst_prefetch_distance 0x2
	s_delay_alu instid0(VALU_DEP_1)
	v_mad_u64_u32 v[8:9], null, s22, v14, v[0:1]
	v_mov_b32_e32 v9, v4
.LBB96_38:                              ;   in Loop: Header=BB96_3 Depth=1
	s_or_b32 exec_lo, exec_lo, s1
	v_mov_b32_e32 v14, 0
	v_mov_b32_e32 v15, 0
	s_and_saveexec_b32 s18, s0
	s_cbranch_execz .LBB96_43
; %bb.39:                               ;   in Loop: Header=BB96_3 Depth=1
	v_mov_b32_e32 v0, 0
	s_and_not1_b32 vcc_lo, exec_lo, s24
	s_cbranch_vccnz .LBB96_42
; %bb.40:                               ;   in Loop: Header=BB96_3 Depth=1
	v_mov_b32_e32 v0, 0
	s_mov_b64 s[0:1], s[16:17]
	s_mov_b32 s19, s28
	s_set_inst_prefetch_distance 0x1
	.p2align	6
.LBB96_41:                              ;   Parent Loop BB96_3 Depth=1
                                        ; =>  This Inner Loop Header: Depth=2
	s_clause 0x1
	s_load_b32 s37, s[0:1], 0x0
	s_load_b32 s38, s[0:1], 0x64
	s_add_i32 s19, s19, -1
	s_waitcnt lgkmcnt(0)
	v_cvt_f32_u32_e32 v14, s37
	s_sub_i32 s39, 0, s37
	s_add_u32 s0, s0, -4
	s_addc_u32 s1, s1, -1
	s_cmp_gt_u32 s19, 2
	v_rcp_iflag_f32_e32 v14, v14
	s_waitcnt_depctr 0xfff
	v_mul_f32_e32 v14, 0x4f7ffffe, v14
	s_delay_alu instid0(VALU_DEP_1) | instskip(NEXT) | instid1(VALU_DEP_1)
	v_cvt_u32_f32_e32 v14, v14
	v_mul_lo_u32 v15, s39, v14
	s_delay_alu instid0(VALU_DEP_1) | instskip(NEXT) | instid1(VALU_DEP_1)
	v_mul_hi_u32 v15, v14, v15
	v_dual_mov_b32 v16, v11 :: v_dual_add_nc_u32 v11, v14, v15
	s_delay_alu instid0(VALU_DEP_1) | instskip(NEXT) | instid1(VALU_DEP_1)
	v_mul_hi_u32 v11, v16, v11
	v_mul_lo_u32 v14, v11, s37
	v_add_nc_u32_e32 v15, 1, v11
	s_delay_alu instid0(VALU_DEP_2) | instskip(NEXT) | instid1(VALU_DEP_1)
	v_sub_nc_u32_e32 v14, v16, v14
	v_subrev_nc_u32_e32 v17, s37, v14
	v_cmp_le_u32_e32 vcc_lo, s37, v14
	s_delay_alu instid0(VALU_DEP_2) | instskip(NEXT) | instid1(VALU_DEP_1)
	v_dual_cndmask_b32 v11, v11, v15 :: v_dual_cndmask_b32 v14, v14, v17
	v_add_nc_u32_e32 v15, 1, v11
	s_delay_alu instid0(VALU_DEP_2) | instskip(NEXT) | instid1(VALU_DEP_2)
	v_cmp_le_u32_e32 vcc_lo, s37, v14
	v_cndmask_b32_e32 v11, v11, v15, vcc_lo
	s_delay_alu instid0(VALU_DEP_1) | instskip(NEXT) | instid1(VALU_DEP_1)
	v_mul_lo_u32 v14, v11, s37
	v_sub_nc_u32_e32 v16, v16, v14
	s_delay_alu instid0(VALU_DEP_1) | instskip(NEXT) | instid1(VALU_DEP_1)
	v_mad_u64_u32 v[14:15], null, s38, v16, v[0:1]
	v_mov_b32_e32 v0, v14
	s_cbranch_scc1 .LBB96_41
.LBB96_42:                              ;   in Loop: Header=BB96_3 Depth=1
	s_set_inst_prefetch_distance 0x2
	s_delay_alu instid0(VALU_DEP_1)
	v_mad_u64_u32 v[14:15], null, s21, v11, v[0:1]
	v_mov_b32_e32 v15, v4
.LBB96_43:                              ;   in Loop: Header=BB96_3 Depth=1
	s_or_b32 exec_lo, exec_lo, s18
	v_mov_b32_e32 v11, v4
	v_lshlrev_b64 v[16:17], 2, v[3:4]
	v_lshlrev_b64 v[12:13], 2, v[12:13]
	;; [unrolled: 1-line block ×3, first 2 shown]
	s_delay_alu instid0(VALU_DEP_4) | instskip(NEXT) | instid1(VALU_DEP_4)
	v_lshlrev_b64 v[10:11], 2, v[10:11]
	v_add_co_u32 v16, vcc_lo, s8, v16
	v_add_co_ci_u32_e32 v17, vcc_lo, s9, v17, vcc_lo
	s_delay_alu instid0(VALU_DEP_3) | instskip(NEXT) | instid1(VALU_DEP_4)
	v_add_co_u32 v10, vcc_lo, s8, v10
	v_add_co_ci_u32_e32 v11, vcc_lo, s9, v11, vcc_lo
	v_add_co_u32 v12, vcc_lo, s8, v12
	v_add_co_ci_u32_e32 v13, vcc_lo, s9, v13, vcc_lo
	;; [unrolled: 2-line block ×3, first 2 shown]
	s_clause 0x3
	global_load_b32 v0, v[16:17], off
	global_load_b32 v3, v[10:11], off
	global_load_b32 v30, v[12:13], off
	global_load_b32 v31, v[14:15], off
	v_mov_b32_e32 v15, s7
	v_dual_mov_b32 v17, s5 :: v_dual_mov_b32 v16, s4
	v_mov_b32_e32 v14, s6
	s_and_not1_b32 vcc_lo, exec_lo, s25
	s_cbranch_vccnz .LBB96_45
; %bb.44:                               ;   in Loop: Header=BB96_3 Depth=1
	v_dual_mov_b32 v11, s7 :: v_dual_mov_b32 v10, s6
	v_dual_mov_b32 v13, s5 :: v_dual_mov_b32 v12, s4
	flat_load_b64 v[10:11], v[10:11]
	flat_load_b64 v[16:17], v[12:13]
	s_waitcnt vmcnt(1) lgkmcnt(1)
	v_add_co_u32 v14, vcc_lo, v10, s2
	v_add_co_ci_u32_e32 v15, vcc_lo, s3, v11, vcc_lo
.LBB96_45:                              ;   in Loop: Header=BB96_3 Depth=1
	s_delay_alu instid0(VALU_DEP_1)
	v_alignbit_b32 v13, v15, v14, 2
	v_lshrrev_b32_e32 v12, 2, v15
	s_waitcnt vmcnt(0) lgkmcnt(0)
	v_add_nc_u32_e32 v32, 0x9e3779b9, v16
	v_add_nc_u32_e32 v34, 0x76cf5d0a, v17
	;; [unrolled: 1-line block ×3, first 2 shown]
	v_add_co_u32 v15, vcc_lo, v13, 1
	s_delay_alu instid0(VALU_DEP_1) | instskip(SKIP_4) | instid1(VALU_DEP_4)
	v_cndmask_b32_e64 v10, 0, 1, vcc_lo
	v_add_co_ci_u32_e32 v24, vcc_lo, 0, v12, vcc_lo
	v_xor3_b32 v20, v28, v16, v12
	v_add_nc_u32_e32 v36, 0x32370b8f, v17
	v_add_nc_u32_e32 v37, 0xed9eba14, v17
	v_cmp_eq_u32_e32 vcc_lo, 0, v24
	v_add_nc_u32_e32 v38, 0x1715609d, v16
	v_add_nc_u32_e32 v39, 0xa9066899, v17
	s_mov_b32 s0, exec_lo
	v_dual_cndmask_b32 v18, 0, v10 :: v_dual_add_nc_u32 v33, 0xbb67ae85, v17
	v_mad_u64_u32 v[10:11], null, 0xd2511f53, v15, 0
	s_delay_alu instid0(VALU_DEP_2) | instskip(NEXT) | instid1(VALU_DEP_2)
	v_add_nc_u32_e32 v15, v18, v1
	v_xor_b32_e32 v19, v11, v17
	s_delay_alu instid0(VALU_DEP_2) | instskip(SKIP_2) | instid1(VALU_DEP_1)
	v_cmp_eq_u32_e32 vcc_lo, 0, v15
	v_mad_u64_u32 v[11:12], null, 0xd2511f53, v13, 0
	v_cndmask_b32_e32 v18, 0, v18, vcc_lo
	v_xor_b32_e32 v13, v18, v19
	v_mad_u64_u32 v[18:19], null, 0xd2511f53, v20, 0
	v_mad_u64_u32 v[20:21], null, 0xcd9e8d57, v15, 0
	s_delay_alu instid0(VALU_DEP_3) | instskip(SKIP_3) | instid1(VALU_DEP_3)
	v_mad_u64_u32 v[22:23], null, 0xcd9e8d57, v13, 0
	v_xor_b32_e32 v13, v12, v17
	v_add_nc_u32_e32 v15, 0x3c6ef372, v16
	v_xor3_b32 v25, v33, v19, v11
	v_mad_u64_u32 v[11:12], null, 0xcd9e8d57, v13, 0
	v_xor3_b32 v13, v21, v16, v24
	v_xor3_b32 v21, v32, v23, v20
	s_delay_alu instid0(VALU_DEP_4) | instskip(NEXT) | instid1(VALU_DEP_3)
	v_mad_u64_u32 v[19:20], null, 0xcd9e8d57, v25, 0
	v_mad_u64_u32 v[23:24], null, 0xd2511f53, v13, 0
	s_delay_alu instid0(VALU_DEP_3) | instskip(SKIP_1) | instid1(VALU_DEP_4)
	v_mad_u64_u32 v[25:26], null, 0xd2511f53, v21, 0
	v_xor3_b32 v13, v2, v12, v32
	v_xor3_b32 v32, v15, v20, v11
	s_delay_alu instid0(VALU_DEP_4) | instskip(NEXT) | instid1(VALU_DEP_3)
	v_xor3_b32 v10, v33, v24, v10
	v_mad_u64_u32 v[11:12], null, 0xd2511f53, v13, 0
	v_xor3_b32 v13, v34, v26, v23
	s_delay_alu instid0(VALU_DEP_4) | instskip(NEXT) | instid1(VALU_DEP_4)
	v_mad_u64_u32 v[20:21], null, 0xd2511f53, v32, 0
	v_mad_u64_u32 v[23:24], null, 0xcd9e8d57, v10, 0
	s_delay_alu instid0(VALU_DEP_3) | instskip(SKIP_4) | instid1(VALU_DEP_4)
	v_mad_u64_u32 v[32:33], null, 0xcd9e8d57, v13, 0
	v_xor3_b32 v12, v34, v12, v18
	v_add_nc_u32_e32 v26, 0x78dde6e4, v16
	v_xor3_b32 v18, v36, v21, v11
	v_xor3_b32 v15, v15, v24, v22
	v_mad_u64_u32 v[10:11], null, 0xcd9e8d57, v12, 0
	v_xor3_b32 v33, v35, v33, v23
	s_delay_alu instid0(VALU_DEP_4) | instskip(NEXT) | instid1(VALU_DEP_4)
	v_mad_u64_u32 v[12:13], null, 0xcd9e8d57, v18, 0
	v_mad_u64_u32 v[21:22], null, 0xd2511f53, v15, 0
	s_delay_alu instid0(VALU_DEP_3) | instskip(SKIP_1) | instid1(VALU_DEP_4)
	v_mad_u64_u32 v[23:24], null, 0xd2511f53, v33, 0
	v_xor3_b32 v15, v35, v11, v19
	v_xor3_b32 v13, v26, v13, v10
	s_delay_alu instid0(VALU_DEP_2) | instskip(SKIP_2) | instid1(VALU_DEP_4)
	v_mad_u64_u32 v[10:11], null, 0xd2511f53, v15, 0
	v_xor3_b32 v15, v36, v22, v25
	v_xor3_b32 v21, v37, v24, v21
	v_mad_u64_u32 v[24:25], null, 0xd2511f53, v13, 0
	s_delay_alu instid0(VALU_DEP_3) | instskip(NEXT) | instid1(VALU_DEP_3)
	v_mad_u64_u32 v[18:19], null, 0xcd9e8d57, v15, 0
	v_mad_u64_u32 v[33:34], null, 0xcd9e8d57, v21, 0
	v_xor3_b32 v13, v37, v11, v20
	s_delay_alu instid0(VALU_DEP_4) | instskip(SKIP_2) | instid1(VALU_DEP_4)
	v_xor3_b32 v21, v39, v25, v10
	v_add_nc_u32_e32 v15, 0xb54cda56, v16
	v_add_nc_u32_e32 v20, 0x646e171e, v17
	v_mad_u64_u32 v[10:11], null, 0xcd9e8d57, v13, 0
	v_xor3_b32 v13, v26, v19, v32
	v_xor3_b32 v22, v38, v34, v18
	v_mad_u64_u32 v[34:35], null, 0xcd9e8d57, v21, 0
	v_add_nc_u32_e32 v26, 0x5384540f, v16
	s_delay_alu instid0(VALU_DEP_4) | instskip(NEXT) | instid1(VALU_DEP_4)
	v_mad_u64_u32 v[18:19], null, 0xd2511f53, v13, 0
	v_mad_u64_u32 v[36:37], null, 0xd2511f53, v22, 0
	v_xor3_b32 v12, v38, v11, v12
	v_xor3_b32 v13, v15, v35, v10
	v_add_nc_u32_e32 v38, 0x1fd5c5a3, v17
	v_add_co_u32 v32, null, 0xf1bbcdc8, v16
	v_xor3_b32 v21, v39, v19, v23
	v_xor3_b32 v23, v20, v37, v18
	v_mad_u64_u32 v[10:11], null, 0xd2511f53, v12, 0
	v_mad_u64_u32 v[18:19], null, 0xd2511f53, v13, 0
	s_delay_alu instid0(VALU_DEP_4) | instskip(NEXT) | instid1(VALU_DEP_4)
	v_mad_u64_u32 v[12:13], null, 0xcd9e8d57, v21, 0
	v_mad_u64_u32 v[21:22], null, 0xcd9e8d57, v23, 0
	s_delay_alu instid0(VALU_DEP_4) | instskip(NEXT) | instid1(VALU_DEP_4)
	v_xor3_b32 v20, v20, v11, v24
	v_xor3_b32 v23, v38, v19, v10
	s_delay_alu instid0(VALU_DEP_4) | instskip(NEXT) | instid1(VALU_DEP_3)
	v_xor3_b32 v15, v15, v13, v33
	v_mad_u64_u32 v[10:11], null, 0xcd9e8d57, v20, 0
	v_xor3_b32 v22, v26, v22, v12
	s_delay_alu instid0(VALU_DEP_4) | instskip(NEXT) | instid1(VALU_DEP_4)
	v_mad_u64_u32 v[19:20], null, 0xcd9e8d57, v23, 0
	v_mad_u64_u32 v[12:13], null, 0xd2511f53, v15, 0
	s_delay_alu instid0(VALU_DEP_3)
	v_mad_u64_u32 v[24:25], null, 0xd2511f53, v22, 0
	v_add_nc_u32_e32 v33, 0xdb3d7428, v17
	v_xor3_b32 v11, v26, v11, v34
	v_xor3_b32 v15, v32, v20, v10
	v_add_nc_u32_e32 v34, 0x96a522ad, v17
	v_xor3_b32 v13, v38, v13, v36
	v_and_b32_e32 v17, 3, v14
	v_xor3_b32 v20, v33, v25, v12
	v_mad_u64_u32 v[22:23], null, 0xd2511f53, v11, 0
	v_mad_u64_u32 v[10:11], null, 0xd2511f53, v15, 0
	;; [unrolled: 1-line block ×3, first 2 shown]
	s_delay_alu instid0(VALU_DEP_4) | instskip(SKIP_1) | instid1(VALU_DEP_4)
	v_mad_u64_u32 v[12:13], null, 0xcd9e8d57, v20, 0
	v_add_nc_u32_e32 v20, 0x8ff34781, v16
                                        ; implicit-def: $vgpr15
	v_xor3_b32 v16, v11, v22, v34
	s_delay_alu instid0(VALU_DEP_2)
	v_xor3_b32 v11, v13, v25, v20
	v_cmpx_lt_i32_e32 1, v17
	s_xor_b32 s0, exec_lo, s0
	s_cbranch_execz .LBB96_51
; %bb.46:                               ;   in Loop: Header=BB96_3 Depth=1
	s_mov_b32 s1, exec_lo
                                        ; implicit-def: $vgpr15
	v_cmpx_lt_i32_e32 2, v17
	s_xor_b32 s1, exec_lo, s1
; %bb.47:                               ;   in Loop: Header=BB96_3 Depth=1
	v_xor3_b32 v13, v32, v26, v21
                                        ; implicit-def: $vgpr16
	s_delay_alu instid0(VALU_DEP_1) | instskip(NEXT) | instid1(VALU_DEP_1)
	v_mul_hi_u32 v13, 0xd2511f53, v13
	v_xor3_b32 v15, v13, v24, v34
; %bb.48:                               ;   in Loop: Header=BB96_3 Depth=1
	s_and_not1_saveexec_b32 s1, s1
; %bb.49:                               ;   in Loop: Header=BB96_3 Depth=1
	v_dual_mov_b32 v15, v12 :: v_dual_mov_b32 v12, v11
	v_dual_mov_b32 v11, v10 :: v_dual_mov_b32 v10, v16
; %bb.50:                               ;   in Loop: Header=BB96_3 Depth=1
	s_or_b32 exec_lo, exec_lo, s1
                                        ; implicit-def: $vgpr18_vgpr19
                                        ; implicit-def: $vgpr17
                                        ; implicit-def: $vgpr16
                                        ; implicit-def: $vgpr33
                                        ; implicit-def: $vgpr22_vgpr23
                                        ; implicit-def: $vgpr19_vgpr20
                                        ; implicit-def: $vgpr20
.LBB96_51:                              ;   in Loop: Header=BB96_3 Depth=1
	s_and_not1_saveexec_b32 s0, s0
	s_cbranch_execz .LBB96_55
; %bb.52:                               ;   in Loop: Header=BB96_3 Depth=1
	v_xor3_b32 v12, v33, v23, v18
	v_cmp_eq_u32_e32 vcc_lo, 1, v17
	v_mov_b32_e32 v15, v10
	s_delay_alu instid0(VALU_DEP_3) | instskip(SKIP_1) | instid1(VALU_DEP_2)
	v_mad_u64_u32 v[13:14], null, 0xcd9e8d57, v12, 0
	v_mov_b32_e32 v12, v16
	v_xor3_b32 v17, v14, v19, v20
	s_delay_alu instid0(VALU_DEP_3)
	v_mov_b32_e32 v14, v13
	s_and_saveexec_b32 s1, vcc_lo
; %bb.53:                               ;   in Loop: Header=BB96_3 Depth=1
	v_dual_mov_b32 v15, v11 :: v_dual_mov_b32 v12, v10
	v_dual_mov_b32 v14, v16 :: v_dual_mov_b32 v17, v13
; %bb.54:                               ;   in Loop: Header=BB96_3 Depth=1
	s_or_b32 exec_lo, exec_lo, s1
	s_delay_alu instid0(VALU_DEP_1)
	v_dual_mov_b32 v10, v17 :: v_dual_mov_b32 v11, v14
.LBB96_55:                              ;   in Loop: Header=BB96_3 Depth=1
	s_or_b32 exec_lo, exec_lo, s0
	v_min_i32_e32 v13, 4, v29
	s_mov_b32 s1, 0
	s_mov_b32 s40, 0
	s_mov_b32 s18, 0
                                        ; implicit-def: $sgpr19
                                        ; implicit-def: $sgpr37
                                        ; implicit-def: $sgpr38
	s_mov_b32 s0, exec_lo
	v_cmpx_lt_i32_e32 2, v13
	s_xor_b32 s39, exec_lo, s0
	s_cbranch_execz .LBB96_67
; %bb.56:                               ;   in Loop: Header=BB96_3 Depth=1
	s_mov_b32 s0, -1
	s_mov_b32 s41, 0
	s_mov_b32 s37, exec_lo
                                        ; implicit-def: $sgpr18
                                        ; implicit-def: $sgpr19
	v_cmpx_lt_i32_e32 3, v13
	s_cbranch_execz .LBB96_62
; %bb.57:                               ;   in Loop: Header=BB96_3 Depth=1
	s_mov_b32 s0, 0
	s_mov_b32 s41, -1
	s_mov_b32 s38, exec_lo
                                        ; implicit-def: $sgpr18
                                        ; implicit-def: $sgpr19
	v_cmpx_eq_u32_e32 4, v13
	s_cbranch_execz .LBB96_61
; %bb.58:                               ;   in Loop: Header=BB96_3 Depth=1
	v_cmp_le_f32_e32 vcc_lo, 0, v31
	v_cmp_ge_f32_e64 s0, 1.0, v31
	s_mov_b32 s18, 0
	s_delay_alu instid0(VALU_DEP_1)
	s_and_b32 s41, vcc_lo, s0
	s_mov_b32 s0, 0
	s_and_saveexec_b32 s19, s41
	s_cbranch_execz .LBB96_60
; %bb.59:                               ;   in Loop: Header=BB96_3 Depth=1
	v_cvt_f32_u32_e32 v14, v15
	v_lshlrev_b64 v[8:9], 1, v[8:9]
	s_mov_b32 s0, exec_lo
	s_delay_alu instid0(VALU_DEP_2) | instskip(NEXT) | instid1(VALU_DEP_2)
	v_fmaak_f32 v14, 0x2f800000, v14, 0x2f800000
	v_add_co_u32 v8, vcc_lo, s10, v8
	s_delay_alu instid0(VALU_DEP_3) | instskip(NEXT) | instid1(VALU_DEP_3)
	v_add_co_ci_u32_e32 v9, vcc_lo, s11, v9, vcc_lo
	v_cmp_le_f32_e32 vcc_lo, v14, v31
	v_cndmask_b32_e64 v14, 0, 0x3c00, vcc_lo
	global_store_b16 v[8:9], v14, off
.LBB96_60:                              ;   in Loop: Header=BB96_3 Depth=1
	s_or_b32 exec_lo, exec_lo, s19
	s_mov_b32 s19, -1
	s_xor_b32 s41, exec_lo, -1
	s_and_b32 s0, s0, exec_lo
.LBB96_61:                              ;   in Loop: Header=BB96_3 Depth=1
	s_or_b32 exec_lo, exec_lo, s38
	s_delay_alu instid0(SALU_CYCLE_1)
	s_and_b32 s41, s41, exec_lo
	s_or_not1_b32 s0, s0, exec_lo
.LBB96_62:                              ;   in Loop: Header=BB96_3 Depth=1
	s_or_b32 exec_lo, exec_lo, s37
	s_mov_b32 s38, s18
	s_and_saveexec_b32 s37, s0
	s_cbranch_execz .LBB96_66
; %bb.63:                               ;   in Loop: Header=BB96_3 Depth=1
	v_cmp_le_f32_e32 vcc_lo, 0, v30
	v_cmp_ge_f32_e64 s0, 1.0, v30
	s_delay_alu instid0(VALU_DEP_1) | instskip(SKIP_2) | instid1(SALU_CYCLE_1)
	s_and_b32 s38, vcc_lo, s0
	s_mov_b32 s0, 0
	s_and_saveexec_b32 s40, s38
	s_xor_b32 s38, exec_lo, s40
	s_cbranch_execz .LBB96_65
; %bb.64:                               ;   in Loop: Header=BB96_3 Depth=1
	v_cvt_f32_u32_e32 v9, v12
	v_mov_b32_e32 v8, v4
	s_mov_b32 s0, exec_lo
	s_delay_alu instid0(VALU_DEP_2) | instskip(NEXT) | instid1(VALU_DEP_2)
	v_fmaak_f32 v9, 0x2f800000, v9, 0x2f800000
	v_lshlrev_b64 v[7:8], 1, v[7:8]
	s_delay_alu instid0(VALU_DEP_1) | instskip(NEXT) | instid1(VALU_DEP_2)
	v_add_co_u32 v7, vcc_lo, s10, v7
	v_add_co_ci_u32_e32 v8, vcc_lo, s11, v8, vcc_lo
	s_delay_alu instid0(VALU_DEP_4)
	v_cmp_le_f32_e32 vcc_lo, v9, v30
	v_cndmask_b32_e64 v9, 0, 0x3c00, vcc_lo
	global_store_b16 v[7:8], v9, off
.LBB96_65:                              ;   in Loop: Header=BB96_3 Depth=1
	s_or_b32 exec_lo, exec_lo, s38
	s_delay_alu instid0(SALU_CYCLE_1)
	s_and_not1_b32 s38, s18, exec_lo
	s_or_b32 s18, s18, exec_lo
	s_and_not1_b32 s19, s19, exec_lo
	s_and_b32 s40, s0, exec_lo
.LBB96_66:                              ;   in Loop: Header=BB96_3 Depth=1
	s_or_b32 exec_lo, exec_lo, s37
	s_delay_alu instid0(SALU_CYCLE_1)
	s_and_b32 s38, s38, exec_lo
	s_and_b32 s37, s18, exec_lo
	;; [unrolled: 1-line block ×5, first 2 shown]
.LBB96_67:                              ;   in Loop: Header=BB96_3 Depth=1
	s_and_not1_saveexec_b32 s0, s39
; %bb.68:                               ;   in Loop: Header=BB96_3 Depth=1
	v_cmp_lt_i32_e32 vcc_lo, 1, v13
	s_and_not1_b32 s39, s40, exec_lo
	s_mov_b32 s1, exec_lo
	s_and_not1_b32 s38, s38, exec_lo
	s_and_not1_b32 s37, s37, exec_lo
	s_and_b32 s40, vcc_lo, exec_lo
	s_and_not1_b32 s19, s19, exec_lo
	s_or_b32 s40, s39, s40
; %bb.69:                               ;   in Loop: Header=BB96_3 Depth=1
	s_or_b32 exec_lo, exec_lo, s0
	s_mov_b32 s0, 0
	s_mov_b32 s39, s38
	s_and_saveexec_b32 s41, s40
	s_cbranch_execnz .LBB96_72
; %bb.70:                               ;   in Loop: Header=BB96_3 Depth=1
	s_or_b32 exec_lo, exec_lo, s41
	s_and_saveexec_b32 s40, s1
	s_cbranch_execnz .LBB96_75
.LBB96_71:                              ;   in Loop: Header=BB96_3 Depth=1
	s_or_b32 exec_lo, exec_lo, s40
	s_and_saveexec_b32 s1, s0
	s_cbranch_execnz .LBB96_76
	s_branch .LBB96_79
.LBB96_72:                              ;   in Loop: Header=BB96_3 Depth=1
	v_cmp_le_f32_e32 vcc_lo, 0, v3
	v_cmp_ge_f32_e64 s0, 1.0, v3
	s_delay_alu instid0(VALU_DEP_1) | instskip(SKIP_2) | instid1(SALU_CYCLE_1)
	s_and_b32 s39, vcc_lo, s0
	s_mov_b32 s0, 0
	s_and_saveexec_b32 s40, s39
	s_xor_b32 s39, exec_lo, s40
	s_cbranch_execz .LBB96_74
; %bb.73:                               ;   in Loop: Header=BB96_3 Depth=1
	v_cvt_f32_u32_e32 v8, v11
	v_mov_b32_e32 v7, v4
	s_mov_b32 s0, exec_lo
	s_delay_alu instid0(VALU_DEP_2) | instskip(NEXT) | instid1(VALU_DEP_2)
	v_fmaak_f32 v8, 0x2f800000, v8, 0x2f800000
	v_lshlrev_b64 v[6:7], 1, v[6:7]
	s_delay_alu instid0(VALU_DEP_1) | instskip(NEXT) | instid1(VALU_DEP_2)
	v_add_co_u32 v6, vcc_lo, s10, v6
	v_add_co_ci_u32_e32 v7, vcc_lo, s11, v7, vcc_lo
	s_delay_alu instid0(VALU_DEP_4)
	v_cmp_le_f32_e32 vcc_lo, v8, v3
	v_cndmask_b32_e64 v3, 0, 0x3c00, vcc_lo
	global_store_b16 v[6:7], v3, off
.LBB96_74:                              ;   in Loop: Header=BB96_3 Depth=1
	s_or_b32 exec_lo, exec_lo, s39
	s_delay_alu instid0(SALU_CYCLE_1)
	s_and_not1_b32 s39, s38, exec_lo
	s_or_b32 s38, s38, exec_lo
	s_and_not1_b32 s37, s37, exec_lo
	s_and_not1_b32 s19, s19, exec_lo
	s_and_b32 s0, s0, exec_lo
	s_and_not1_b32 s1, s1, exec_lo
	s_or_b32 exec_lo, exec_lo, s41
	s_and_saveexec_b32 s40, s1
	s_cbranch_execz .LBB96_71
.LBB96_75:                              ;   in Loop: Header=BB96_3 Depth=1
	v_cmp_eq_u32_e32 vcc_lo, 1, v13
	s_and_not1_b32 s0, s0, exec_lo
	s_and_not1_b32 s39, s39, exec_lo
	;; [unrolled: 1-line block ×4, first 2 shown]
	s_and_b32 s1, vcc_lo, exec_lo
	s_and_not1_b32 s19, s19, exec_lo
	s_or_b32 s18, s18, exec_lo
	s_or_b32 s0, s0, s1
	s_or_b32 exec_lo, exec_lo, s40
	s_and_saveexec_b32 s1, s0
	s_cbranch_execz .LBB96_79
.LBB96_76:                              ;   in Loop: Header=BB96_3 Depth=1
	v_cmp_le_f32_e32 vcc_lo, 0, v0
	v_cmp_ge_f32_e64 s0, 1.0, v0
	s_delay_alu instid0(VALU_DEP_1)
	s_and_b32 s41, vcc_lo, s0
	s_mov_b32 s0, 0
	s_and_saveexec_b32 s40, s41
	s_cbranch_execz .LBB96_78
; %bb.77:                               ;   in Loop: Header=BB96_3 Depth=1
	v_cvt_f32_u32_e32 v3, v10
	v_mov_b32_e32 v6, v4
	s_mov_b32 s0, exec_lo
	s_delay_alu instid0(VALU_DEP_2) | instskip(NEXT) | instid1(VALU_DEP_2)
	v_fmaak_f32 v3, 0x2f800000, v3, 0x2f800000
	v_lshlrev_b64 v[5:6], 1, v[5:6]
	s_delay_alu instid0(VALU_DEP_1) | instskip(NEXT) | instid1(VALU_DEP_2)
	v_add_co_u32 v5, vcc_lo, s10, v5
	v_add_co_ci_u32_e32 v6, vcc_lo, s11, v6, vcc_lo
	s_delay_alu instid0(VALU_DEP_4)
	v_cmp_le_f32_e32 vcc_lo, v3, v0
	v_cndmask_b32_e64 v0, 0, 0x3c00, vcc_lo
	global_store_b16 v[5:6], v0, off
.LBB96_78:                              ;   in Loop: Header=BB96_3 Depth=1
	s_or_b32 exec_lo, exec_lo, s40
	s_delay_alu instid0(SALU_CYCLE_1)
	s_and_not1_b32 s18, s18, exec_lo
	s_and_b32 s0, s0, exec_lo
	s_or_b32 s39, s39, exec_lo
	s_and_not1_b32 s38, s38, exec_lo
	s_and_not1_b32 s37, s37, exec_lo
	;; [unrolled: 1-line block ×3, first 2 shown]
	s_or_b32 s18, s18, s0
.LBB96_79:                              ;   in Loop: Header=BB96_3 Depth=1
	s_or_b32 exec_lo, exec_lo, s1
	s_delay_alu instid0(SALU_CYCLE_1)
	s_and_not1_b32 s1, s36, exec_lo
	s_and_b32 s36, s39, exec_lo
	s_and_not1_b32 s34, s34, exec_lo
	s_and_b32 s38, s38, exec_lo
	s_or_b32 s36, s1, s36
	s_and_not1_b32 s1, s35, exec_lo
	s_and_b32 s35, s37, exec_lo
	s_and_not1_b32 s33, s33, exec_lo
	s_and_b32 s19, s19, exec_lo
	s_mov_b32 s0, -1
	s_or_b32 s34, s34, s38
	s_or_b32 s35, s1, s35
	;; [unrolled: 1-line block ×3, first 2 shown]
	s_and_saveexec_b32 s1, s18
	s_cbranch_execz .LBB96_2
; %bb.80:                               ;   in Loop: Header=BB96_3 Depth=1
	v_add_nc_u32_e32 v27, s26, v27
	s_and_not1_b32 s36, s36, exec_lo
	s_and_not1_b32 s34, s34, exec_lo
	;; [unrolled: 1-line block ×4, first 2 shown]
	v_cmp_le_u32_e32 vcc_lo, s20, v27
	s_or_not1_b32 s0, vcc_lo, exec_lo
	s_branch .LBB96_2
.LBB96_81:
	s_or_b32 exec_lo, exec_lo, s13
	s_xor_b32 s3, s30, -1
	s_xor_b32 s4, s31, -1
	;; [unrolled: 1-line block ×3, first 2 shown]
	s_mov_b32 s1, 0
	s_and_saveexec_b32 s2, s0
	s_delay_alu instid0(SALU_CYCLE_1)
	s_xor_b32 s0, exec_lo, s2
	s_cbranch_execz .LBB96_90
; %bb.82:
	s_mov_b32 s2, 0
	s_and_saveexec_b32 s1, s4
	s_delay_alu instid0(SALU_CYCLE_1)
	s_xor_b32 s1, exec_lo, s1
	s_cbranch_execz .LBB96_88
; %bb.83:
	s_and_saveexec_b32 s4, s3
	s_delay_alu instid0(SALU_CYCLE_1)
	s_xor_b32 s3, exec_lo, s4
	s_cbranch_execz .LBB96_86
; %bb.84:
	s_and_saveexec_b32 s4, s12
	s_delay_alu instid0(SALU_CYCLE_1)
	s_xor_b32 s4, exec_lo, s4
	s_cbranch_execnz .LBB96_104
.LBB96_85:
	s_or_b32 exec_lo, exec_lo, s4
	s_delay_alu instid0(SALU_CYCLE_1)
	s_and_b32 s2, s2, exec_lo
.LBB96_86:
	s_and_not1_saveexec_b32 s3, s3
	s_cbranch_execnz .LBB96_100
.LBB96_87:
	s_or_b32 exec_lo, exec_lo, s3
	s_delay_alu instid0(SALU_CYCLE_1)
	s_and_b32 s2, s2, exec_lo
.LBB96_88:
	s_and_not1_saveexec_b32 s1, s1
	s_cbranch_execnz .LBB96_96
.LBB96_89:
	s_or_b32 exec_lo, exec_lo, s1
	s_delay_alu instid0(SALU_CYCLE_1)
	s_and_b32 s1, s2, exec_lo
.LBB96_90:
	s_and_not1_saveexec_b32 s0, s0
	s_cbranch_execnz .LBB96_94
; %bb.91:
	s_or_b32 exec_lo, exec_lo, s0
	s_delay_alu instid0(SALU_CYCLE_1)
	s_and_b32 exec_lo, exec_lo, s1
.LBB96_92:
	; divergent unreachable
.LBB96_93:
	s_nop 0
	s_sendmsg sendmsg(MSG_DEALLOC_VGPRS)
	s_endpgm
.LBB96_94:
	s_cbranch_execnz .LBB96_98
; %bb.95:
	s_or_b32 s1, s1, exec_lo
	s_or_b32 exec_lo, exec_lo, s0
	s_delay_alu instid0(SALU_CYCLE_1)
	s_and_b32 exec_lo, exec_lo, s1
	s_cbranch_execnz .LBB96_92
	s_branch .LBB96_93
.LBB96_96:
	s_cbranch_execnz .LBB96_102
; %bb.97:
	s_or_b32 s2, s2, exec_lo
	s_branch .LBB96_89
.LBB96_98:
	s_trap 2
	s_sendmsg_rtn_b32 s0, sendmsg(MSG_RTN_GET_DOORBELL)
	s_mov_b32 ttmp2, m0
	s_waitcnt lgkmcnt(0)
	s_and_b32 s0, s0, 0x3ff
	s_delay_alu instid0(SALU_CYCLE_1) | instskip(NEXT) | instid1(SALU_CYCLE_1)
	s_bitset1_b32 s0, 10
	s_mov_b32 m0, s0
	s_sendmsg sendmsg(MSG_INTERRUPT)
	s_mov_b32 m0, ttmp2
.LBB96_99:                              ; =>This Inner Loop Header: Depth=1
	s_sethalt 5
	s_branch .LBB96_99
.LBB96_100:
	s_cbranch_execnz .LBB96_106
; %bb.101:
	s_or_b32 s2, s2, exec_lo
	s_branch .LBB96_87
.LBB96_102:
	s_trap 2
	s_sendmsg_rtn_b32 s0, sendmsg(MSG_RTN_GET_DOORBELL)
	s_mov_b32 ttmp2, m0
	s_waitcnt lgkmcnt(0)
	s_and_b32 s0, s0, 0x3ff
	s_delay_alu instid0(SALU_CYCLE_1) | instskip(NEXT) | instid1(SALU_CYCLE_1)
	s_bitset1_b32 s0, 10
	s_mov_b32 m0, s0
	s_sendmsg sendmsg(MSG_INTERRUPT)
	s_mov_b32 m0, ttmp2
.LBB96_103:                             ; =>This Inner Loop Header: Depth=1
	s_sethalt 5
	s_branch .LBB96_103
.LBB96_104:
	s_cbranch_execnz .LBB96_108
; %bb.105:
	s_mov_b32 s2, exec_lo
	s_branch .LBB96_85
.LBB96_106:
	s_trap 2
	s_sendmsg_rtn_b32 s0, sendmsg(MSG_RTN_GET_DOORBELL)
	s_mov_b32 ttmp2, m0
	s_waitcnt lgkmcnt(0)
	s_and_b32 s0, s0, 0x3ff
	s_delay_alu instid0(SALU_CYCLE_1) | instskip(NEXT) | instid1(SALU_CYCLE_1)
	s_bitset1_b32 s0, 10
	s_mov_b32 m0, s0
	s_sendmsg sendmsg(MSG_INTERRUPT)
	s_mov_b32 m0, ttmp2
.LBB96_107:                             ; =>This Inner Loop Header: Depth=1
	s_sethalt 5
	s_branch .LBB96_107
.LBB96_108:
	s_trap 2
	s_sendmsg_rtn_b32 s0, sendmsg(MSG_RTN_GET_DOORBELL)
	s_mov_b32 ttmp2, m0
	s_waitcnt lgkmcnt(0)
	s_and_b32 s0, s0, 0x3ff
	s_delay_alu instid0(SALU_CYCLE_1) | instskip(NEXT) | instid1(SALU_CYCLE_1)
	s_bitset1_b32 s0, 10
	s_mov_b32 m0, s0
	s_sendmsg sendmsg(MSG_INTERRUPT)
	s_mov_b32 m0, ttmp2
.LBB96_109:                             ; =>This Inner Loop Header: Depth=1
	s_sethalt 5
	s_branch .LBB96_109
	.section	.rodata,"a",@progbits
	.p2align	6, 0x0
	.amdhsa_kernel _ZN2at4cuda12_GLOBAL__N_121kernelPointwiseApply2IZNS_6native9templates4cuda28bernoulli_tensor_cuda_kernelIN3c104HalfEfEEvRKNS_10TensorBaseESB_NS_15PhiloxCudaStateEEUliRS8_SD_SD_SD_RKfSF_SF_SF_E_S8_SE_jLin1ELin1ELi4ELi512ELi2EEEvNS0_6detail10TensorInfoIT0_T2_EENSI_IT1_SK_EESK_T_
		.amdhsa_group_segment_fixed_size 0
		.amdhsa_private_segment_fixed_size 0
		.amdhsa_kernarg_size 728
		.amdhsa_user_sgpr_count 15
		.amdhsa_user_sgpr_dispatch_ptr 0
		.amdhsa_user_sgpr_queue_ptr 0
		.amdhsa_user_sgpr_kernarg_segment_ptr 1
		.amdhsa_user_sgpr_dispatch_id 0
		.amdhsa_user_sgpr_private_segment_size 0
		.amdhsa_wavefront_size32 1
		.amdhsa_uses_dynamic_stack 0
		.amdhsa_enable_private_segment 0
		.amdhsa_system_sgpr_workgroup_id_x 1
		.amdhsa_system_sgpr_workgroup_id_y 0
		.amdhsa_system_sgpr_workgroup_id_z 0
		.amdhsa_system_sgpr_workgroup_info 0
		.amdhsa_system_vgpr_workitem_id 0
		.amdhsa_next_free_vgpr 40
		.amdhsa_next_free_sgpr 42
		.amdhsa_reserve_vcc 1
		.amdhsa_float_round_mode_32 0
		.amdhsa_float_round_mode_16_64 0
		.amdhsa_float_denorm_mode_32 3
		.amdhsa_float_denorm_mode_16_64 3
		.amdhsa_dx10_clamp 1
		.amdhsa_ieee_mode 1
		.amdhsa_fp16_overflow 0
		.amdhsa_workgroup_processor_mode 1
		.amdhsa_memory_ordered 1
		.amdhsa_forward_progress 0
		.amdhsa_shared_vgpr_count 0
		.amdhsa_exception_fp_ieee_invalid_op 0
		.amdhsa_exception_fp_denorm_src 0
		.amdhsa_exception_fp_ieee_div_zero 0
		.amdhsa_exception_fp_ieee_overflow 0
		.amdhsa_exception_fp_ieee_underflow 0
		.amdhsa_exception_fp_ieee_inexact 0
		.amdhsa_exception_int_div_zero 0
	.end_amdhsa_kernel
	.section	.text._ZN2at4cuda12_GLOBAL__N_121kernelPointwiseApply2IZNS_6native9templates4cuda28bernoulli_tensor_cuda_kernelIN3c104HalfEfEEvRKNS_10TensorBaseESB_NS_15PhiloxCudaStateEEUliRS8_SD_SD_SD_RKfSF_SF_SF_E_S8_SE_jLin1ELin1ELi4ELi512ELi2EEEvNS0_6detail10TensorInfoIT0_T2_EENSI_IT1_SK_EESK_T_,"axG",@progbits,_ZN2at4cuda12_GLOBAL__N_121kernelPointwiseApply2IZNS_6native9templates4cuda28bernoulli_tensor_cuda_kernelIN3c104HalfEfEEvRKNS_10TensorBaseESB_NS_15PhiloxCudaStateEEUliRS8_SD_SD_SD_RKfSF_SF_SF_E_S8_SE_jLin1ELin1ELi4ELi512ELi2EEEvNS0_6detail10TensorInfoIT0_T2_EENSI_IT1_SK_EESK_T_,comdat
.Lfunc_end96:
	.size	_ZN2at4cuda12_GLOBAL__N_121kernelPointwiseApply2IZNS_6native9templates4cuda28bernoulli_tensor_cuda_kernelIN3c104HalfEfEEvRKNS_10TensorBaseESB_NS_15PhiloxCudaStateEEUliRS8_SD_SD_SD_RKfSF_SF_SF_E_S8_SE_jLin1ELin1ELi4ELi512ELi2EEEvNS0_6detail10TensorInfoIT0_T2_EENSI_IT1_SK_EESK_T_, .Lfunc_end96-_ZN2at4cuda12_GLOBAL__N_121kernelPointwiseApply2IZNS_6native9templates4cuda28bernoulli_tensor_cuda_kernelIN3c104HalfEfEEvRKNS_10TensorBaseESB_NS_15PhiloxCudaStateEEUliRS8_SD_SD_SD_RKfSF_SF_SF_E_S8_SE_jLin1ELin1ELi4ELi512ELi2EEEvNS0_6detail10TensorInfoIT0_T2_EENSI_IT1_SK_EESK_T_
                                        ; -- End function
	.section	.AMDGPU.csdata,"",@progbits
; Kernel info:
; codeLenInByte = 5400
; NumSgprs: 44
; NumVgprs: 40
; ScratchSize: 0
; MemoryBound: 0
; FloatMode: 240
; IeeeMode: 1
; LDSByteSize: 0 bytes/workgroup (compile time only)
; SGPRBlocks: 5
; VGPRBlocks: 4
; NumSGPRsForWavesPerEU: 44
; NumVGPRsForWavesPerEU: 40
; Occupancy: 16
; WaveLimiterHint : 1
; COMPUTE_PGM_RSRC2:SCRATCH_EN: 0
; COMPUTE_PGM_RSRC2:USER_SGPR: 15
; COMPUTE_PGM_RSRC2:TRAP_HANDLER: 0
; COMPUTE_PGM_RSRC2:TGID_X_EN: 1
; COMPUTE_PGM_RSRC2:TGID_Y_EN: 0
; COMPUTE_PGM_RSRC2:TGID_Z_EN: 0
; COMPUTE_PGM_RSRC2:TIDIG_COMP_CNT: 0
	.section	.text._ZN2at4cuda12_GLOBAL__N_121kernelPointwiseApply2IZNS_6native9templates4cuda28bernoulli_tensor_cuda_kernelIN3c104HalfEfEEvRKNS_10TensorBaseESB_NS_15PhiloxCudaStateEEUliRS8_SD_SD_SD_RKfSF_SF_SF_E_S8_SE_mLi1ELi1ELi4ELi512ELi2EEEvNS0_6detail10TensorInfoIT0_T2_EENSI_IT1_SK_EESK_T_,"axG",@progbits,_ZN2at4cuda12_GLOBAL__N_121kernelPointwiseApply2IZNS_6native9templates4cuda28bernoulli_tensor_cuda_kernelIN3c104HalfEfEEvRKNS_10TensorBaseESB_NS_15PhiloxCudaStateEEUliRS8_SD_SD_SD_RKfSF_SF_SF_E_S8_SE_mLi1ELi1ELi4ELi512ELi2EEEvNS0_6detail10TensorInfoIT0_T2_EENSI_IT1_SK_EESK_T_,comdat
	.globl	_ZN2at4cuda12_GLOBAL__N_121kernelPointwiseApply2IZNS_6native9templates4cuda28bernoulli_tensor_cuda_kernelIN3c104HalfEfEEvRKNS_10TensorBaseESB_NS_15PhiloxCudaStateEEUliRS8_SD_SD_SD_RKfSF_SF_SF_E_S8_SE_mLi1ELi1ELi4ELi512ELi2EEEvNS0_6detail10TensorInfoIT0_T2_EENSI_IT1_SK_EESK_T_ ; -- Begin function _ZN2at4cuda12_GLOBAL__N_121kernelPointwiseApply2IZNS_6native9templates4cuda28bernoulli_tensor_cuda_kernelIN3c104HalfEfEEvRKNS_10TensorBaseESB_NS_15PhiloxCudaStateEEUliRS8_SD_SD_SD_RKfSF_SF_SF_E_S8_SE_mLi1ELi1ELi4ELi512ELi2EEEvNS0_6detail10TensorInfoIT0_T2_EENSI_IT1_SK_EESK_T_
	.p2align	8
	.type	_ZN2at4cuda12_GLOBAL__N_121kernelPointwiseApply2IZNS_6native9templates4cuda28bernoulli_tensor_cuda_kernelIN3c104HalfEfEEvRKNS_10TensorBaseESB_NS_15PhiloxCudaStateEEUliRS8_SD_SD_SD_RKfSF_SF_SF_E_S8_SE_mLi1ELi1ELi4ELi512ELi2EEEvNS0_6detail10TensorInfoIT0_T2_EENSI_IT1_SK_EESK_T_,@function
_ZN2at4cuda12_GLOBAL__N_121kernelPointwiseApply2IZNS_6native9templates4cuda28bernoulli_tensor_cuda_kernelIN3c104HalfEfEEvRKNS_10TensorBaseESB_NS_15PhiloxCudaStateEEUliRS8_SD_SD_SD_RKfSF_SF_SF_E_S8_SE_mLi1ELi1ELi4ELi512ELi2EEEvNS0_6detail10TensorInfoIT0_T2_EENSI_IT1_SK_EESK_T_: ; @_ZN2at4cuda12_GLOBAL__N_121kernelPointwiseApply2IZNS_6native9templates4cuda28bernoulli_tensor_cuda_kernelIN3c104HalfEfEEvRKNS_10TensorBaseESB_NS_15PhiloxCudaStateEEUliRS8_SD_SD_SD_RKfSF_SF_SF_E_S8_SE_mLi1ELi1ELi4ELi512ELi2EEEvNS0_6detail10TensorInfoIT0_T2_EENSI_IT1_SK_EESK_T_
; %bb.0:
	s_clause 0x1
	s_load_b32 s4, s[0:1], 0x374
	s_load_b256 s[16:23], s[0:1], 0x340
	s_add_u32 s2, s0, 0x368
	s_addc_u32 s3, s1, 0
	s_mov_b32 s5, exec_lo
	v_mov_b32_e32 v3, 0
	s_waitcnt lgkmcnt(0)
	s_and_b32 s4, s4, 0xffff
	s_delay_alu instid0(SALU_CYCLE_1) | instskip(NEXT) | instid1(VALU_DEP_1)
	v_mad_u64_u32 v[1:2], null, s15, s4, v[0:1]
	v_lshlrev_b32_e32 v2, 2, v1
	s_delay_alu instid0(VALU_DEP_1)
	v_cmpx_gt_u64_e64 s[16:17], v[2:3]
	s_cbranch_execz .LBB97_51
; %bb.1:
	s_load_b64 s[10:11], s[0:1], 0xd0
	s_load_b32 s2, s[2:3], 0x0
	s_clause 0x3
	s_load_b32 s3, s[0:1], 0x360
	s_load_b64 s[6:7], s[0:1], 0x0
	s_load_b64 s[8:9], s[0:1], 0x1a0
	s_load_b64 s[0:1], s[0:1], 0x270
	v_mad_u64_u32 v[4:5], null, 0xcd9e8d57, v1, 0
	v_add_co_u32 v15, s12, v2, 2
	s_delay_alu instid0(VALU_DEP_1) | instskip(SKIP_1) | instid1(VALU_DEP_4)
	v_add_co_ci_u32_e64 v16, null, 0, 0, s12
	v_add_co_u32 v17, s12, v2, 3
	v_mov_b32_e32 v34, v5
	v_add_co_ci_u32_e64 v18, null, 0, 0, s12
	v_sub_nc_u32_e32 v0, s16, v2
	s_mov_b32 s5, 0
	s_mov_b64 s[12:13], 0
	s_waitcnt lgkmcnt(0)
	v_mad_u64_u32 v[5:6], null, s10, v2, 0
	v_mad_u64_u32 v[7:8], null, s10, v15, 0
	;; [unrolled: 1-line block ×4, first 2 shown]
	v_mul_lo_u32 v19, s11, v15
	v_mul_lo_u32 v20, s10, v16
	v_mad_u64_u32 v[13:14], null, s11, v2, v[6:7]
	v_mul_lo_u32 v21, s11, v17
	v_mul_lo_u32 v22, s10, v18
	;; [unrolled: 1-line block ×3, first 2 shown]
	s_mul_i32 s2, s2, s4
	s_bitcmp1_b32 s3, 0
	v_add3_u32 v8, v8, v20, v19
	v_mov_b32_e32 v6, v13
	v_mad_u64_u32 v[13:14], null, s1, v2, v[10:11]
	v_add3_u32 v12, v12, v22, v21
	v_mul_lo_u32 v19, s1, v15
	v_mul_lo_u32 v20, s0, v16
	;; [unrolled: 1-line block ×3, first 2 shown]
	v_add_co_u32 v10, vcc_lo, v5, s10
	v_mov_b32_e32 v36, v13
	v_mad_u64_u32 v[13:14], null, s0, v15, 0
	v_mad_u64_u32 v[15:16], null, s0, v17, 0
	s_cselect_b32 s14, -1, 0
	s_lshl_b32 s15, s2, 2
	v_add_co_ci_u32_e32 v35, vcc_lo, s11, v6, vcc_lo
	v_add_co_u32 v37, vcc_lo, v9, s0
	s_mul_i32 s2, s11, s15
	s_mul_hi_u32 s3, s10, s15
	v_add_co_ci_u32_e32 v38, vcc_lo, s1, v36, vcc_lo
	v_add3_u32 v14, v14, v20, v19
	v_add3_u32 v16, v16, v18, v21
	s_add_i32 s24, s3, s2
	s_mul_i32 s2, s1, s15
	s_mul_hi_u32 s3, s0, s15
	s_mul_i32 s25, s10, s15
	s_add_i32 s27, s3, s2
	s_mul_i32 s28, s0, s15
	s_mov_b64 s[10:11], 0
                                        ; implicit-def: $sgpr29
                                        ; implicit-def: $sgpr31
                                        ; implicit-def: $sgpr30
                                        ; implicit-def: $sgpr26
                                        ; implicit-def: $sgpr33
                                        ; implicit-def: $sgpr35
                                        ; implicit-def: $sgpr34
                                        ; implicit-def: $sgpr36
	s_branch .LBB97_3
.LBB97_2:                               ;   in Loop: Header=BB97_3 Depth=1
	s_or_b32 exec_lo, exec_lo, s1
	s_delay_alu instid0(SALU_CYCLE_1) | instskip(NEXT) | instid1(SALU_CYCLE_1)
	s_and_b32 s0, exec_lo, s0
	s_or_b32 s5, s0, s5
	s_and_not1_b32 s0, s26, exec_lo
	s_and_b32 s1, s36, exec_lo
	s_and_not1_b32 s2, s30, exec_lo
	s_and_b32 s3, s34, exec_lo
	s_or_b32 s26, s0, s1
	s_or_b32 s30, s2, s3
	s_and_not1_b32 s0, s31, exec_lo
	s_and_b32 s1, s35, exec_lo
	s_and_not1_b32 s2, s29, exec_lo
	s_and_b32 s3, s33, exec_lo
	s_or_b32 s31, s0, s1
	s_or_b32 s29, s2, s3
	s_and_not1_b32 exec_lo, exec_lo, s5
	s_cbranch_execz .LBB97_39
.LBB97_3:                               ; =>This Inner Loop Header: Depth=1
	v_add_co_u32 v17, vcc_lo, v9, s10
	v_add_co_ci_u32_e32 v18, vcc_lo, s11, v36, vcc_lo
	v_cmp_lt_i32_e64 s0, 0, v0
	v_add_co_u32 v19, vcc_lo, v37, s10
	v_add_co_ci_u32_e32 v20, vcc_lo, s11, v38, vcc_lo
	v_cmp_lt_i32_e64 s1, 1, v0
	v_add_co_u32 v21, vcc_lo, v13, s10
	v_cndmask_b32_e64 v18, 0, v18, s0
	v_cndmask_b32_e64 v17, 0, v17, s0
	v_add_co_ci_u32_e32 v22, vcc_lo, s11, v14, vcc_lo
	v_cmp_lt_i32_e64 s2, 2, v0
	v_add_co_u32 v23, vcc_lo, v15, s10
	v_cndmask_b32_e64 v20, 0, v20, s1
	v_cndmask_b32_e64 v19, 0, v19, s1
	v_add_co_ci_u32_e32 v24, vcc_lo, s11, v16, vcc_lo
	v_cmp_lt_i32_e64 s3, 3, v0
	v_lshlrev_b64 v[17:18], 2, v[17:18]
	v_cndmask_b32_e64 v22, 0, v22, s2
	v_cndmask_b32_e64 v21, 0, v21, s2
	v_lshlrev_b64 v[19:20], 2, v[19:20]
	v_cndmask_b32_e64 v24, 0, v24, s3
	v_cndmask_b32_e64 v23, 0, v23, s3
	v_add_co_u32 v17, vcc_lo, s8, v17
	v_lshlrev_b64 v[21:22], 2, v[21:22]
	v_add_co_ci_u32_e32 v18, vcc_lo, s9, v18, vcc_lo
	v_add_co_u32 v19, vcc_lo, s8, v19
	v_lshlrev_b64 v[23:24], 2, v[23:24]
	v_add_co_ci_u32_e32 v20, vcc_lo, s9, v20, vcc_lo
	v_add_co_u32 v21, vcc_lo, s8, v21
	v_add_co_ci_u32_e32 v22, vcc_lo, s9, v22, vcc_lo
	s_delay_alu instid0(VALU_DEP_4)
	v_add_co_u32 v23, vcc_lo, s8, v23
	v_add_co_ci_u32_e32 v24, vcc_lo, s9, v24, vcc_lo
	s_clause 0x3
	global_load_b32 v39, v[17:18], off
	global_load_b32 v40, v[19:20], off
	;; [unrolled: 1-line block ×4, first 2 shown]
	v_dual_mov_b32 v22, s21 :: v_dual_mov_b32 v21, s20
	v_dual_mov_b32 v24, s19 :: v_dual_mov_b32 v23, s18
	s_and_not1_b32 vcc_lo, exec_lo, s14
	s_cbranch_vccnz .LBB97_5
; %bb.4:                                ;   in Loop: Header=BB97_3 Depth=1
	v_dual_mov_b32 v17, s20 :: v_dual_mov_b32 v18, s21
	v_dual_mov_b32 v20, s19 :: v_dual_mov_b32 v19, s18
	flat_load_b64 v[17:18], v[17:18]
	flat_load_b64 v[23:24], v[19:20]
	s_waitcnt vmcnt(1) lgkmcnt(1)
	v_add_co_u32 v21, vcc_lo, v17, s22
	v_add_co_ci_u32_e32 v22, vcc_lo, s23, v18, vcc_lo
.LBB97_5:                               ;   in Loop: Header=BB97_3 Depth=1
	s_delay_alu instid0(VALU_DEP_1)
	v_alignbit_b32 v20, v22, v21, 2
	v_lshrrev_b32_e32 v19, 2, v22
	s_waitcnt vmcnt(0) lgkmcnt(0)
	v_add_nc_u32_e32 v43, 0x9e3779b9, v23
	v_add_nc_u32_e32 v45, 0x76cf5d0a, v24
	v_add_nc_u32_e32 v46, 0xdaa66d2b, v23
	v_add_co_u32 v22, vcc_lo, v20, 1
	s_delay_alu instid0(VALU_DEP_1) | instskip(SKIP_4) | instid1(VALU_DEP_4)
	v_cndmask_b32_e64 v17, 0, 1, vcc_lo
	v_add_co_ci_u32_e32 v31, vcc_lo, 0, v19, vcc_lo
	v_xor3_b32 v27, v34, v23, v19
	v_add_nc_u32_e32 v47, 0x32370b8f, v24
	v_add_nc_u32_e32 v48, 0xed9eba14, v24
	v_cmp_eq_u32_e32 vcc_lo, 0, v31
	v_add_nc_u32_e32 v49, 0x1715609d, v23
	v_add_nc_u32_e32 v50, 0xa9066899, v24
	s_mov_b32 s4, exec_lo
	v_dual_cndmask_b32 v25, 0, v17 :: v_dual_add_nc_u32 v44, 0xbb67ae85, v24
	v_mad_u64_u32 v[17:18], null, 0xd2511f53, v22, 0
	s_delay_alu instid0(VALU_DEP_2) | instskip(NEXT) | instid1(VALU_DEP_2)
	v_add_nc_u32_e32 v22, v25, v1
	v_xor_b32_e32 v26, v18, v24
	s_delay_alu instid0(VALU_DEP_2) | instskip(SKIP_2) | instid1(VALU_DEP_1)
	v_cmp_eq_u32_e32 vcc_lo, 0, v22
	v_mad_u64_u32 v[18:19], null, 0xd2511f53, v20, 0
	v_cndmask_b32_e32 v25, 0, v25, vcc_lo
	v_xor_b32_e32 v20, v25, v26
	v_mad_u64_u32 v[25:26], null, 0xd2511f53, v27, 0
	v_mad_u64_u32 v[27:28], null, 0xcd9e8d57, v22, 0
	v_add_nc_u32_e32 v22, 0x3c6ef372, v23
	s_delay_alu instid0(VALU_DEP_4) | instskip(SKIP_2) | instid1(VALU_DEP_2)
	v_mad_u64_u32 v[29:30], null, 0xcd9e8d57, v20, 0
	v_xor_b32_e32 v20, v19, v24
	v_xor3_b32 v32, v44, v26, v18
	v_mad_u64_u32 v[18:19], null, 0xcd9e8d57, v20, 0
	v_xor3_b32 v20, v28, v23, v31
	v_xor3_b32 v28, v43, v30, v27
	s_delay_alu instid0(VALU_DEP_4) | instskip(NEXT) | instid1(VALU_DEP_3)
	v_mad_u64_u32 v[26:27], null, 0xcd9e8d57, v32, 0
	v_mad_u64_u32 v[30:31], null, 0xd2511f53, v20, 0
	s_delay_alu instid0(VALU_DEP_3) | instskip(SKIP_1) | instid1(VALU_DEP_4)
	v_mad_u64_u32 v[32:33], null, 0xd2511f53, v28, 0
	v_xor3_b32 v20, v4, v19, v43
	v_xor3_b32 v43, v22, v27, v18
	s_delay_alu instid0(VALU_DEP_4) | instskip(NEXT) | instid1(VALU_DEP_3)
	v_xor3_b32 v17, v44, v31, v17
	v_mad_u64_u32 v[18:19], null, 0xd2511f53, v20, 0
	v_xor3_b32 v20, v45, v33, v30
	s_delay_alu instid0(VALU_DEP_4) | instskip(NEXT) | instid1(VALU_DEP_4)
	v_mad_u64_u32 v[27:28], null, 0xd2511f53, v43, 0
	v_mad_u64_u32 v[30:31], null, 0xcd9e8d57, v17, 0
	s_delay_alu instid0(VALU_DEP_3) | instskip(SKIP_4) | instid1(VALU_DEP_4)
	v_mad_u64_u32 v[43:44], null, 0xcd9e8d57, v20, 0
	v_xor3_b32 v19, v45, v19, v25
	v_add_nc_u32_e32 v33, 0x78dde6e4, v23
	v_xor3_b32 v25, v47, v28, v18
	v_xor3_b32 v22, v22, v31, v29
	v_mad_u64_u32 v[17:18], null, 0xcd9e8d57, v19, 0
	v_xor3_b32 v44, v46, v44, v30
	s_delay_alu instid0(VALU_DEP_4) | instskip(NEXT) | instid1(VALU_DEP_4)
	v_mad_u64_u32 v[19:20], null, 0xcd9e8d57, v25, 0
	v_mad_u64_u32 v[28:29], null, 0xd2511f53, v22, 0
	s_delay_alu instid0(VALU_DEP_3) | instskip(SKIP_1) | instid1(VALU_DEP_4)
	v_mad_u64_u32 v[30:31], null, 0xd2511f53, v44, 0
	v_xor3_b32 v22, v46, v18, v26
	v_xor3_b32 v20, v33, v20, v17
	s_delay_alu instid0(VALU_DEP_2) | instskip(SKIP_2) | instid1(VALU_DEP_4)
	v_mad_u64_u32 v[17:18], null, 0xd2511f53, v22, 0
	v_xor3_b32 v22, v47, v29, v32
	v_xor3_b32 v28, v48, v31, v28
	v_mad_u64_u32 v[31:32], null, 0xd2511f53, v20, 0
	s_delay_alu instid0(VALU_DEP_3) | instskip(NEXT) | instid1(VALU_DEP_3)
	v_mad_u64_u32 v[25:26], null, 0xcd9e8d57, v22, 0
	v_mad_u64_u32 v[44:45], null, 0xcd9e8d57, v28, 0
	v_xor3_b32 v20, v48, v18, v27
	s_delay_alu instid0(VALU_DEP_4) | instskip(SKIP_2) | instid1(VALU_DEP_4)
	v_xor3_b32 v28, v50, v32, v17
	v_add_nc_u32_e32 v22, 0xb54cda56, v23
	v_add_nc_u32_e32 v27, 0x646e171e, v24
	v_mad_u64_u32 v[17:18], null, 0xcd9e8d57, v20, 0
	v_xor3_b32 v20, v33, v26, v43
	v_xor3_b32 v29, v49, v45, v25
	v_mad_u64_u32 v[45:46], null, 0xcd9e8d57, v28, 0
	v_add_nc_u32_e32 v33, 0x5384540f, v23
	s_delay_alu instid0(VALU_DEP_4) | instskip(NEXT) | instid1(VALU_DEP_4)
	v_mad_u64_u32 v[25:26], null, 0xd2511f53, v20, 0
	v_mad_u64_u32 v[47:48], null, 0xd2511f53, v29, 0
	v_xor3_b32 v19, v49, v18, v19
	v_xor3_b32 v20, v22, v46, v17
	v_add_nc_u32_e32 v49, 0x1fd5c5a3, v24
	v_add_co_u32 v43, null, 0xf1bbcdc8, v23
	v_xor3_b32 v28, v50, v26, v30
	v_xor3_b32 v30, v27, v48, v25
	v_mad_u64_u32 v[17:18], null, 0xd2511f53, v19, 0
	v_mad_u64_u32 v[25:26], null, 0xd2511f53, v20, 0
	s_delay_alu instid0(VALU_DEP_4) | instskip(NEXT) | instid1(VALU_DEP_4)
	v_mad_u64_u32 v[19:20], null, 0xcd9e8d57, v28, 0
	v_mad_u64_u32 v[28:29], null, 0xcd9e8d57, v30, 0
	s_delay_alu instid0(VALU_DEP_4) | instskip(NEXT) | instid1(VALU_DEP_4)
	v_xor3_b32 v27, v27, v18, v31
	v_xor3_b32 v30, v49, v26, v17
	s_delay_alu instid0(VALU_DEP_4) | instskip(NEXT) | instid1(VALU_DEP_3)
	v_xor3_b32 v22, v22, v20, v44
	v_mad_u64_u32 v[17:18], null, 0xcd9e8d57, v27, 0
	v_xor3_b32 v29, v33, v29, v19
	s_delay_alu instid0(VALU_DEP_4) | instskip(NEXT) | instid1(VALU_DEP_4)
	v_mad_u64_u32 v[26:27], null, 0xcd9e8d57, v30, 0
	v_mad_u64_u32 v[19:20], null, 0xd2511f53, v22, 0
	s_delay_alu instid0(VALU_DEP_3)
	v_mad_u64_u32 v[31:32], null, 0xd2511f53, v29, 0
	v_add_nc_u32_e32 v44, 0xdb3d7428, v24
	v_xor3_b32 v18, v33, v18, v45
	v_xor3_b32 v22, v43, v27, v17
	v_add_nc_u32_e32 v45, 0x96a522ad, v24
	v_xor3_b32 v20, v49, v20, v47
	v_and_b32_e32 v24, 3, v21
	v_xor3_b32 v27, v44, v32, v19
	v_mad_u64_u32 v[29:30], null, 0xd2511f53, v18, 0
	v_mad_u64_u32 v[17:18], null, 0xd2511f53, v22, 0
	;; [unrolled: 1-line block ×3, first 2 shown]
	s_delay_alu instid0(VALU_DEP_4) | instskip(SKIP_1) | instid1(VALU_DEP_4)
	v_mad_u64_u32 v[19:20], null, 0xcd9e8d57, v27, 0
	v_add_nc_u32_e32 v27, 0x8ff34781, v23
                                        ; implicit-def: $vgpr22
	v_xor3_b32 v23, v18, v29, v45
	s_delay_alu instid0(VALU_DEP_2)
	v_xor3_b32 v18, v20, v32, v27
	v_cmpx_lt_i32_e32 1, v24
	s_xor_b32 s4, exec_lo, s4
	s_cbranch_execz .LBB97_11
; %bb.6:                                ;   in Loop: Header=BB97_3 Depth=1
	s_mov_b32 s37, exec_lo
                                        ; implicit-def: $vgpr22
	v_cmpx_lt_i32_e32 2, v24
	s_xor_b32 s37, exec_lo, s37
; %bb.7:                                ;   in Loop: Header=BB97_3 Depth=1
	v_xor3_b32 v20, v43, v33, v28
                                        ; implicit-def: $vgpr23
	s_delay_alu instid0(VALU_DEP_1) | instskip(NEXT) | instid1(VALU_DEP_1)
	v_mul_hi_u32 v20, 0xd2511f53, v20
	v_xor3_b32 v22, v20, v31, v45
; %bb.8:                                ;   in Loop: Header=BB97_3 Depth=1
	s_and_not1_saveexec_b32 s37, s37
; %bb.9:                                ;   in Loop: Header=BB97_3 Depth=1
	v_dual_mov_b32 v22, v19 :: v_dual_mov_b32 v19, v18
	v_dual_mov_b32 v18, v17 :: v_dual_mov_b32 v17, v23
; %bb.10:                               ;   in Loop: Header=BB97_3 Depth=1
	s_or_b32 exec_lo, exec_lo, s37
                                        ; implicit-def: $vgpr25_vgpr26
                                        ; implicit-def: $vgpr24
                                        ; implicit-def: $vgpr23
                                        ; implicit-def: $vgpr44
                                        ; implicit-def: $vgpr29_vgpr30
                                        ; implicit-def: $vgpr26_vgpr27
                                        ; implicit-def: $vgpr27
.LBB97_11:                              ;   in Loop: Header=BB97_3 Depth=1
	s_and_not1_saveexec_b32 s4, s4
	s_cbranch_execz .LBB97_15
; %bb.12:                               ;   in Loop: Header=BB97_3 Depth=1
	v_xor3_b32 v19, v44, v30, v25
	v_cmp_eq_u32_e32 vcc_lo, 1, v24
	v_mov_b32_e32 v22, v17
	s_delay_alu instid0(VALU_DEP_3) | instskip(SKIP_1) | instid1(VALU_DEP_2)
	v_mad_u64_u32 v[20:21], null, 0xcd9e8d57, v19, 0
	v_mov_b32_e32 v19, v23
	v_xor3_b32 v24, v21, v26, v27
	s_delay_alu instid0(VALU_DEP_3)
	v_mov_b32_e32 v21, v20
	s_and_saveexec_b32 s37, vcc_lo
; %bb.13:                               ;   in Loop: Header=BB97_3 Depth=1
	v_dual_mov_b32 v22, v18 :: v_dual_mov_b32 v19, v17
	v_dual_mov_b32 v21, v23 :: v_dual_mov_b32 v24, v20
; %bb.14:                               ;   in Loop: Header=BB97_3 Depth=1
	s_or_b32 exec_lo, exec_lo, s37
	s_delay_alu instid0(VALU_DEP_1)
	v_dual_mov_b32 v17, v24 :: v_dual_mov_b32 v18, v21
.LBB97_15:                              ;   in Loop: Header=BB97_3 Depth=1
	s_or_b32 exec_lo, exec_lo, s4
	v_min_i32_e32 v20, 4, v0
	s_mov_b32 s37, 0
	s_mov_b32 s41, 0
	s_mov_b32 s40, exec_lo
                                        ; implicit-def: $sgpr4
                                        ; implicit-def: $sgpr38
                                        ; implicit-def: $sgpr39
	s_delay_alu instid0(VALU_DEP_1)
	v_cmpx_lt_i32_e32 2, v20
	s_xor_b32 s40, exec_lo, s40
	s_cbranch_execz .LBB97_25
; %bb.16:                               ;   in Loop: Header=BB97_3 Depth=1
	s_mov_b32 s41, -1
	s_mov_b32 s39, exec_lo
                                        ; implicit-def: $sgpr38
                                        ; implicit-def: $sgpr4
	v_cmpx_lt_i32_e32 3, v20
	s_cbranch_execz .LBB97_20
; %bb.17:                               ;   in Loop: Header=BB97_3 Depth=1
	v_cmp_le_f32_e32 vcc_lo, 0, v42
	v_cmp_ge_f32_e64 s4, 1.0, v42
	s_mov_b32 s38, 0
	s_mov_b32 s41, 0
	s_delay_alu instid0(VALU_DEP_1) | instskip(NEXT) | instid1(SALU_CYCLE_1)
	s_and_b32 s42, vcc_lo, s4
	s_and_saveexec_b32 s4, s42
	s_cbranch_execz .LBB97_19
; %bb.18:                               ;   in Loop: Header=BB97_3 Depth=1
	v_add_co_u32 v21, vcc_lo, v11, s12
	v_add_co_ci_u32_e32 v23, vcc_lo, s13, v12, vcc_lo
	v_cvt_f32_u32_e32 v25, v22
	s_mov_b32 s41, exec_lo
	s_delay_alu instid0(VALU_DEP_2) | instskip(SKIP_1) | instid1(VALU_DEP_1)
	v_cndmask_b32_e64 v24, 0, v23, s3
	v_cndmask_b32_e64 v23, 0, v21, s3
	v_lshlrev_b64 v[21:22], 1, v[23:24]
	v_fmaak_f32 v23, 0x2f800000, v25, 0x2f800000
	s_delay_alu instid0(VALU_DEP_2) | instskip(NEXT) | instid1(VALU_DEP_3)
	v_add_co_u32 v21, vcc_lo, s6, v21
	v_add_co_ci_u32_e32 v22, vcc_lo, s7, v22, vcc_lo
	s_delay_alu instid0(VALU_DEP_3)
	v_cmp_le_f32_e32 vcc_lo, v23, v42
	v_cndmask_b32_e64 v23, 0, 0x3c00, vcc_lo
	global_store_b16 v[21:22], v23, off
.LBB97_19:                              ;   in Loop: Header=BB97_3 Depth=1
	s_or_b32 exec_lo, exec_lo, s4
	s_mov_b32 s4, -1
	s_or_not1_b32 s41, s41, exec_lo
.LBB97_20:                              ;   in Loop: Header=BB97_3 Depth=1
	s_or_b32 exec_lo, exec_lo, s39
	s_mov_b32 s3, 0
	s_mov_b32 s42, s38
	s_and_saveexec_b32 s39, s41
	s_cbranch_execz .LBB97_24
; %bb.21:                               ;   in Loop: Header=BB97_3 Depth=1
	v_cmp_le_f32_e32 vcc_lo, 0, v41
	v_cmp_ge_f32_e64 s3, 1.0, v41
	s_delay_alu instid0(VALU_DEP_1) | instskip(SKIP_2) | instid1(SALU_CYCLE_1)
	s_and_b32 s41, vcc_lo, s3
	s_mov_b32 s3, 0
	s_and_saveexec_b32 s42, s41
	s_xor_b32 s41, exec_lo, s42
	s_cbranch_execz .LBB97_23
; %bb.22:                               ;   in Loop: Header=BB97_3 Depth=1
	v_add_co_u32 v21, vcc_lo, v7, s12
	v_add_co_ci_u32_e32 v22, vcc_lo, s13, v8, vcc_lo
	v_cvt_f32_u32_e32 v19, v19
	s_delay_alu instid0(VALU_DEP_3) | instskip(SKIP_1) | instid1(VALU_DEP_3)
	v_cndmask_b32_e64 v21, 0, v21, s2
	s_mov_b32 s3, exec_lo
	v_cndmask_b32_e64 v22, 0, v22, s2
	s_delay_alu instid0(VALU_DEP_3) | instskip(NEXT) | instid1(VALU_DEP_2)
	v_fmaak_f32 v19, 0x2f800000, v19, 0x2f800000
	v_lshlrev_b64 v[21:22], 1, v[21:22]
	s_delay_alu instid0(VALU_DEP_1) | instskip(NEXT) | instid1(VALU_DEP_2)
	v_add_co_u32 v21, vcc_lo, s6, v21
	v_add_co_ci_u32_e32 v22, vcc_lo, s7, v22, vcc_lo
	s_delay_alu instid0(VALU_DEP_4)
	v_cmp_le_f32_e32 vcc_lo, v19, v41
	v_cndmask_b32_e64 v19, 0, 0x3c00, vcc_lo
	global_store_b16 v[21:22], v19, off
.LBB97_23:                              ;   in Loop: Header=BB97_3 Depth=1
	s_or_b32 exec_lo, exec_lo, s41
	s_delay_alu instid0(SALU_CYCLE_1)
	s_and_not1_b32 s42, s38, exec_lo
	s_or_b32 s38, s38, exec_lo
	s_and_not1_b32 s4, s4, exec_lo
	s_and_b32 s3, s3, exec_lo
.LBB97_24:                              ;   in Loop: Header=BB97_3 Depth=1
	s_or_b32 exec_lo, exec_lo, s39
	s_delay_alu instid0(SALU_CYCLE_1)
	s_and_b32 s39, s42, exec_lo
	s_and_b32 s38, s38, exec_lo
	;; [unrolled: 1-line block ×4, first 2 shown]
.LBB97_25:                              ;   in Loop: Header=BB97_3 Depth=1
	s_and_not1_saveexec_b32 s2, s40
; %bb.26:                               ;   in Loop: Header=BB97_3 Depth=1
	v_cmp_lt_i32_e32 vcc_lo, 1, v20
	s_and_not1_b32 s3, s41, exec_lo
	s_mov_b32 s37, exec_lo
	s_and_not1_b32 s39, s39, exec_lo
	s_and_not1_b32 s38, s38, exec_lo
	s_and_b32 s40, vcc_lo, exec_lo
	s_and_not1_b32 s4, s4, exec_lo
	s_or_b32 s41, s3, s40
; %bb.27:                               ;   in Loop: Header=BB97_3 Depth=1
	s_or_b32 exec_lo, exec_lo, s2
	s_mov_b32 s3, 0
	s_mov_b32 s40, 0
	;; [unrolled: 1-line block ×3, first 2 shown]
	s_and_saveexec_b32 s42, s41
	s_cbranch_execnz .LBB97_30
; %bb.28:                               ;   in Loop: Header=BB97_3 Depth=1
	s_or_b32 exec_lo, exec_lo, s42
	s_and_saveexec_b32 s1, s37
	s_cbranch_execnz .LBB97_33
.LBB97_29:                              ;   in Loop: Header=BB97_3 Depth=1
	s_or_b32 exec_lo, exec_lo, s1
	s_and_saveexec_b32 s37, s40
	s_cbranch_execnz .LBB97_34
	s_branch .LBB97_37
.LBB97_30:                              ;   in Loop: Header=BB97_3 Depth=1
	v_cmp_le_f32_e32 vcc_lo, 0, v40
	v_cmp_ge_f32_e64 s2, 1.0, v40
	s_delay_alu instid0(VALU_DEP_1) | instskip(NEXT) | instid1(SALU_CYCLE_1)
	s_and_b32 s2, vcc_lo, s2
	s_and_saveexec_b32 s41, s2
	s_delay_alu instid0(SALU_CYCLE_1)
	s_xor_b32 s2, exec_lo, s41
	s_cbranch_execz .LBB97_32
; %bb.31:                               ;   in Loop: Header=BB97_3 Depth=1
	v_add_co_u32 v19, vcc_lo, v10, s12
	v_add_co_ci_u32_e32 v21, vcc_lo, s13, v35, vcc_lo
	v_cvt_f32_u32_e32 v23, v18
	s_mov_b32 s40, exec_lo
	s_delay_alu instid0(VALU_DEP_2) | instskip(SKIP_1) | instid1(VALU_DEP_1)
	v_cndmask_b32_e64 v22, 0, v21, s1
	v_cndmask_b32_e64 v21, 0, v19, s1
	v_lshlrev_b64 v[18:19], 1, v[21:22]
	v_fmaak_f32 v21, 0x2f800000, v23, 0x2f800000
	s_delay_alu instid0(VALU_DEP_2) | instskip(NEXT) | instid1(VALU_DEP_3)
	v_add_co_u32 v18, vcc_lo, s6, v18
	v_add_co_ci_u32_e32 v19, vcc_lo, s7, v19, vcc_lo
	s_delay_alu instid0(VALU_DEP_3)
	v_cmp_le_f32_e32 vcc_lo, v21, v40
	v_cndmask_b32_e64 v21, 0, 0x3c00, vcc_lo
	global_store_b16 v[18:19], v21, off
.LBB97_32:                              ;   in Loop: Header=BB97_3 Depth=1
	s_or_b32 exec_lo, exec_lo, s2
	s_delay_alu instid0(SALU_CYCLE_1)
	s_and_not1_b32 s2, s39, exec_lo
	s_or_b32 s39, s39, exec_lo
	s_and_not1_b32 s38, s38, exec_lo
	s_and_not1_b32 s4, s4, exec_lo
	s_and_b32 s40, s40, exec_lo
	s_and_not1_b32 s37, s37, exec_lo
	s_or_b32 exec_lo, exec_lo, s42
	s_and_saveexec_b32 s1, s37
	s_cbranch_execz .LBB97_29
.LBB97_33:                              ;   in Loop: Header=BB97_3 Depth=1
	v_cmp_eq_u32_e32 vcc_lo, 1, v20
	s_and_not1_b32 s37, s40, exec_lo
	s_mov_b32 s3, exec_lo
	s_and_not1_b32 s2, s2, exec_lo
	s_and_not1_b32 s39, s39, exec_lo
	s_and_b32 s40, vcc_lo, exec_lo
	s_and_not1_b32 s38, s38, exec_lo
	s_and_not1_b32 s4, s4, exec_lo
	s_or_b32 s40, s37, s40
	s_or_b32 exec_lo, exec_lo, s1
	s_and_saveexec_b32 s37, s40
	s_cbranch_execz .LBB97_37
.LBB97_34:                              ;   in Loop: Header=BB97_3 Depth=1
	v_cmp_le_f32_e32 vcc_lo, 0, v39
	v_cmp_ge_f32_e64 s1, 1.0, v39
	s_delay_alu instid0(VALU_DEP_1)
	s_and_b32 s41, vcc_lo, s1
	s_mov_b32 s1, 0
	s_and_saveexec_b32 s40, s41
	s_cbranch_execz .LBB97_36
; %bb.35:                               ;   in Loop: Header=BB97_3 Depth=1
	v_add_co_u32 v18, vcc_lo, v5, s12
	v_add_co_ci_u32_e32 v19, vcc_lo, s13, v6, vcc_lo
	v_cvt_f32_u32_e32 v20, v17
	s_delay_alu instid0(VALU_DEP_3) | instskip(SKIP_1) | instid1(VALU_DEP_3)
	v_cndmask_b32_e64 v18, 0, v18, s0
	s_mov_b32 s1, exec_lo
	v_cndmask_b32_e64 v19, 0, v19, s0
	s_delay_alu instid0(VALU_DEP_1) | instskip(SKIP_1) | instid1(VALU_DEP_2)
	v_lshlrev_b64 v[17:18], 1, v[18:19]
	v_fmaak_f32 v19, 0x2f800000, v20, 0x2f800000
	v_add_co_u32 v17, vcc_lo, s6, v17
	s_delay_alu instid0(VALU_DEP_3) | instskip(NEXT) | instid1(VALU_DEP_3)
	v_add_co_ci_u32_e32 v18, vcc_lo, s7, v18, vcc_lo
	v_cmp_le_f32_e32 vcc_lo, v19, v39
	v_cndmask_b32_e64 v19, 0, 0x3c00, vcc_lo
	global_store_b16 v[17:18], v19, off
.LBB97_36:                              ;   in Loop: Header=BB97_3 Depth=1
	s_or_b32 exec_lo, exec_lo, s40
	s_delay_alu instid0(SALU_CYCLE_1)
	s_and_not1_b32 s0, s3, exec_lo
	s_and_b32 s1, s1, exec_lo
	s_or_b32 s2, s2, exec_lo
	s_and_not1_b32 s39, s39, exec_lo
	s_and_not1_b32 s38, s38, exec_lo
	;; [unrolled: 1-line block ×3, first 2 shown]
	s_or_b32 s3, s0, s1
.LBB97_37:                              ;   in Loop: Header=BB97_3 Depth=1
	s_or_b32 exec_lo, exec_lo, s37
	s_delay_alu instid0(SALU_CYCLE_1)
	s_and_not1_b32 s1, s36, exec_lo
	s_and_b32 s2, s2, exec_lo
	s_and_not1_b32 s34, s34, exec_lo
	s_and_b32 s37, s39, exec_lo
	s_or_b32 s36, s1, s2
	s_and_not1_b32 s1, s35, exec_lo
	s_and_b32 s2, s38, exec_lo
	s_and_not1_b32 s33, s33, exec_lo
	s_and_b32 s4, s4, exec_lo
	s_mov_b32 s0, -1
	s_or_b32 s34, s34, s37
	s_or_b32 s35, s1, s2
	;; [unrolled: 1-line block ×3, first 2 shown]
	s_and_saveexec_b32 s1, s3
	s_cbranch_execz .LBB97_2
; %bb.38:                               ;   in Loop: Header=BB97_3 Depth=1
	v_add_co_u32 v2, vcc_lo, v2, s15
	v_add_co_ci_u32_e32 v3, vcc_lo, 0, v3, vcc_lo
	v_subrev_nc_u32_e32 v0, s15, v0
	s_add_u32 s12, s12, s25
	s_addc_u32 s13, s13, s24
	s_delay_alu instid0(VALU_DEP_2)
	v_cmp_le_u64_e32 vcc_lo, s[16:17], v[2:3]
	s_add_u32 s10, s10, s28
	s_addc_u32 s11, s11, s27
	s_and_not1_b32 s36, s36, exec_lo
	s_and_not1_b32 s34, s34, exec_lo
	;; [unrolled: 1-line block ×4, first 2 shown]
	s_or_not1_b32 s0, vcc_lo, exec_lo
	s_branch .LBB97_2
.LBB97_39:
	s_or_b32 exec_lo, exec_lo, s5
	s_xor_b32 s3, s30, -1
	s_xor_b32 s4, s31, -1
	;; [unrolled: 1-line block ×3, first 2 shown]
	s_mov_b32 s1, 0
	s_and_saveexec_b32 s2, s0
	s_delay_alu instid0(SALU_CYCLE_1)
	s_xor_b32 s0, exec_lo, s2
	s_cbranch_execz .LBB97_48
; %bb.40:
	s_mov_b32 s2, 0
	s_and_saveexec_b32 s1, s4
	s_delay_alu instid0(SALU_CYCLE_1)
	s_xor_b32 s1, exec_lo, s1
	s_cbranch_execz .LBB97_46
; %bb.41:
	s_and_saveexec_b32 s4, s3
	s_delay_alu instid0(SALU_CYCLE_1)
	s_xor_b32 s3, exec_lo, s4
	s_cbranch_execz .LBB97_44
; %bb.42:
	s_and_saveexec_b32 s4, s26
	s_delay_alu instid0(SALU_CYCLE_1)
	s_xor_b32 s4, exec_lo, s4
	s_cbranch_execnz .LBB97_62
.LBB97_43:
	s_or_b32 exec_lo, exec_lo, s4
	s_delay_alu instid0(SALU_CYCLE_1)
	s_and_b32 s2, s2, exec_lo
.LBB97_44:
	s_and_not1_saveexec_b32 s3, s3
	s_cbranch_execnz .LBB97_58
.LBB97_45:
	s_or_b32 exec_lo, exec_lo, s3
	s_delay_alu instid0(SALU_CYCLE_1)
	s_and_b32 s2, s2, exec_lo
.LBB97_46:
	s_and_not1_saveexec_b32 s1, s1
	s_cbranch_execnz .LBB97_54
.LBB97_47:
	s_or_b32 exec_lo, exec_lo, s1
	s_delay_alu instid0(SALU_CYCLE_1)
	s_and_b32 s1, s2, exec_lo
.LBB97_48:
	s_and_not1_saveexec_b32 s0, s0
	s_cbranch_execnz .LBB97_52
; %bb.49:
	s_or_b32 exec_lo, exec_lo, s0
	s_delay_alu instid0(SALU_CYCLE_1)
	s_and_b32 exec_lo, exec_lo, s1
.LBB97_50:
	; divergent unreachable
.LBB97_51:
	s_nop 0
	s_sendmsg sendmsg(MSG_DEALLOC_VGPRS)
	s_endpgm
.LBB97_52:
	s_cbranch_execnz .LBB97_56
; %bb.53:
	s_or_b32 s1, s1, exec_lo
	s_or_b32 exec_lo, exec_lo, s0
	s_delay_alu instid0(SALU_CYCLE_1)
	s_and_b32 exec_lo, exec_lo, s1
	s_cbranch_execnz .LBB97_50
	s_branch .LBB97_51
.LBB97_54:
	s_cbranch_execnz .LBB97_60
; %bb.55:
	s_or_b32 s2, s2, exec_lo
	s_branch .LBB97_47
.LBB97_56:
	s_trap 2
	s_sendmsg_rtn_b32 s0, sendmsg(MSG_RTN_GET_DOORBELL)
	s_mov_b32 ttmp2, m0
	s_waitcnt lgkmcnt(0)
	s_and_b32 s0, s0, 0x3ff
	s_delay_alu instid0(SALU_CYCLE_1) | instskip(NEXT) | instid1(SALU_CYCLE_1)
	s_bitset1_b32 s0, 10
	s_mov_b32 m0, s0
	s_sendmsg sendmsg(MSG_INTERRUPT)
	s_mov_b32 m0, ttmp2
.LBB97_57:                              ; =>This Inner Loop Header: Depth=1
	s_sethalt 5
	s_branch .LBB97_57
.LBB97_58:
	s_cbranch_execnz .LBB97_64
; %bb.59:
	s_or_b32 s2, s2, exec_lo
	s_branch .LBB97_45
.LBB97_60:
	s_trap 2
	s_sendmsg_rtn_b32 s0, sendmsg(MSG_RTN_GET_DOORBELL)
	s_mov_b32 ttmp2, m0
	s_waitcnt lgkmcnt(0)
	s_and_b32 s0, s0, 0x3ff
	s_delay_alu instid0(SALU_CYCLE_1) | instskip(NEXT) | instid1(SALU_CYCLE_1)
	s_bitset1_b32 s0, 10
	s_mov_b32 m0, s0
	s_sendmsg sendmsg(MSG_INTERRUPT)
	s_mov_b32 m0, ttmp2
.LBB97_61:                              ; =>This Inner Loop Header: Depth=1
	s_sethalt 5
	s_branch .LBB97_61
.LBB97_62:
	s_cbranch_execnz .LBB97_66
; %bb.63:
	s_mov_b32 s2, exec_lo
	s_branch .LBB97_43
.LBB97_64:
	s_trap 2
	s_sendmsg_rtn_b32 s0, sendmsg(MSG_RTN_GET_DOORBELL)
	s_mov_b32 ttmp2, m0
	s_waitcnt lgkmcnt(0)
	s_and_b32 s0, s0, 0x3ff
	s_delay_alu instid0(SALU_CYCLE_1) | instskip(NEXT) | instid1(SALU_CYCLE_1)
	s_bitset1_b32 s0, 10
	s_mov_b32 m0, s0
	s_sendmsg sendmsg(MSG_INTERRUPT)
	s_mov_b32 m0, ttmp2
.LBB97_65:                              ; =>This Inner Loop Header: Depth=1
	s_sethalt 5
	s_branch .LBB97_65
.LBB97_66:
	s_trap 2
	s_sendmsg_rtn_b32 s0, sendmsg(MSG_RTN_GET_DOORBELL)
	s_mov_b32 ttmp2, m0
	s_waitcnt lgkmcnt(0)
	s_and_b32 s0, s0, 0x3ff
	s_delay_alu instid0(SALU_CYCLE_1) | instskip(NEXT) | instid1(SALU_CYCLE_1)
	s_bitset1_b32 s0, 10
	s_mov_b32 m0, s0
	s_sendmsg sendmsg(MSG_INTERRUPT)
	s_mov_b32 m0, ttmp2
.LBB97_67:                              ; =>This Inner Loop Header: Depth=1
	s_sethalt 5
	s_branch .LBB97_67
	.section	.rodata,"a",@progbits
	.p2align	6, 0x0
	.amdhsa_kernel _ZN2at4cuda12_GLOBAL__N_121kernelPointwiseApply2IZNS_6native9templates4cuda28bernoulli_tensor_cuda_kernelIN3c104HalfEfEEvRKNS_10TensorBaseESB_NS_15PhiloxCudaStateEEUliRS8_SD_SD_SD_RKfSF_SF_SF_E_S8_SE_mLi1ELi1ELi4ELi512ELi2EEEvNS0_6detail10TensorInfoIT0_T2_EENSI_IT1_SK_EESK_T_
		.amdhsa_group_segment_fixed_size 0
		.amdhsa_private_segment_fixed_size 0
		.amdhsa_kernarg_size 1128
		.amdhsa_user_sgpr_count 15
		.amdhsa_user_sgpr_dispatch_ptr 0
		.amdhsa_user_sgpr_queue_ptr 0
		.amdhsa_user_sgpr_kernarg_segment_ptr 1
		.amdhsa_user_sgpr_dispatch_id 0
		.amdhsa_user_sgpr_private_segment_size 0
		.amdhsa_wavefront_size32 1
		.amdhsa_uses_dynamic_stack 0
		.amdhsa_enable_private_segment 0
		.amdhsa_system_sgpr_workgroup_id_x 1
		.amdhsa_system_sgpr_workgroup_id_y 0
		.amdhsa_system_sgpr_workgroup_id_z 0
		.amdhsa_system_sgpr_workgroup_info 0
		.amdhsa_system_vgpr_workitem_id 0
		.amdhsa_next_free_vgpr 51
		.amdhsa_next_free_sgpr 43
		.amdhsa_reserve_vcc 1
		.amdhsa_float_round_mode_32 0
		.amdhsa_float_round_mode_16_64 0
		.amdhsa_float_denorm_mode_32 3
		.amdhsa_float_denorm_mode_16_64 3
		.amdhsa_dx10_clamp 1
		.amdhsa_ieee_mode 1
		.amdhsa_fp16_overflow 0
		.amdhsa_workgroup_processor_mode 1
		.amdhsa_memory_ordered 1
		.amdhsa_forward_progress 0
		.amdhsa_shared_vgpr_count 0
		.amdhsa_exception_fp_ieee_invalid_op 0
		.amdhsa_exception_fp_denorm_src 0
		.amdhsa_exception_fp_ieee_div_zero 0
		.amdhsa_exception_fp_ieee_overflow 0
		.amdhsa_exception_fp_ieee_underflow 0
		.amdhsa_exception_fp_ieee_inexact 0
		.amdhsa_exception_int_div_zero 0
	.end_amdhsa_kernel
	.section	.text._ZN2at4cuda12_GLOBAL__N_121kernelPointwiseApply2IZNS_6native9templates4cuda28bernoulli_tensor_cuda_kernelIN3c104HalfEfEEvRKNS_10TensorBaseESB_NS_15PhiloxCudaStateEEUliRS8_SD_SD_SD_RKfSF_SF_SF_E_S8_SE_mLi1ELi1ELi4ELi512ELi2EEEvNS0_6detail10TensorInfoIT0_T2_EENSI_IT1_SK_EESK_T_,"axG",@progbits,_ZN2at4cuda12_GLOBAL__N_121kernelPointwiseApply2IZNS_6native9templates4cuda28bernoulli_tensor_cuda_kernelIN3c104HalfEfEEvRKNS_10TensorBaseESB_NS_15PhiloxCudaStateEEUliRS8_SD_SD_SD_RKfSF_SF_SF_E_S8_SE_mLi1ELi1ELi4ELi512ELi2EEEvNS0_6detail10TensorInfoIT0_T2_EENSI_IT1_SK_EESK_T_,comdat
.Lfunc_end97:
	.size	_ZN2at4cuda12_GLOBAL__N_121kernelPointwiseApply2IZNS_6native9templates4cuda28bernoulli_tensor_cuda_kernelIN3c104HalfEfEEvRKNS_10TensorBaseESB_NS_15PhiloxCudaStateEEUliRS8_SD_SD_SD_RKfSF_SF_SF_E_S8_SE_mLi1ELi1ELi4ELi512ELi2EEEvNS0_6detail10TensorInfoIT0_T2_EENSI_IT1_SK_EESK_T_, .Lfunc_end97-_ZN2at4cuda12_GLOBAL__N_121kernelPointwiseApply2IZNS_6native9templates4cuda28bernoulli_tensor_cuda_kernelIN3c104HalfEfEEvRKNS_10TensorBaseESB_NS_15PhiloxCudaStateEEUliRS8_SD_SD_SD_RKfSF_SF_SF_E_S8_SE_mLi1ELi1ELi4ELi512ELi2EEEvNS0_6detail10TensorInfoIT0_T2_EENSI_IT1_SK_EESK_T_
                                        ; -- End function
	.section	.AMDGPU.csdata,"",@progbits
; Kernel info:
; codeLenInByte = 3536
; NumSgprs: 45
; NumVgprs: 51
; ScratchSize: 0
; MemoryBound: 0
; FloatMode: 240
; IeeeMode: 1
; LDSByteSize: 0 bytes/workgroup (compile time only)
; SGPRBlocks: 5
; VGPRBlocks: 6
; NumSGPRsForWavesPerEU: 45
; NumVGPRsForWavesPerEU: 51
; Occupancy: 16
; WaveLimiterHint : 1
; COMPUTE_PGM_RSRC2:SCRATCH_EN: 0
; COMPUTE_PGM_RSRC2:USER_SGPR: 15
; COMPUTE_PGM_RSRC2:TRAP_HANDLER: 0
; COMPUTE_PGM_RSRC2:TGID_X_EN: 1
; COMPUTE_PGM_RSRC2:TGID_Y_EN: 0
; COMPUTE_PGM_RSRC2:TGID_Z_EN: 0
; COMPUTE_PGM_RSRC2:TIDIG_COMP_CNT: 0
	.section	.text._ZN2at4cuda12_GLOBAL__N_121kernelPointwiseApply2IZNS_6native9templates4cuda28bernoulli_tensor_cuda_kernelIN3c104HalfEfEEvRKNS_10TensorBaseESB_NS_15PhiloxCudaStateEEUliRS8_SD_SD_SD_RKfSF_SF_SF_E_S8_SE_mLin1ELin1ELi4ELi512ELi2EEEvNS0_6detail10TensorInfoIT0_T2_EENSI_IT1_SK_EESK_T_,"axG",@progbits,_ZN2at4cuda12_GLOBAL__N_121kernelPointwiseApply2IZNS_6native9templates4cuda28bernoulli_tensor_cuda_kernelIN3c104HalfEfEEvRKNS_10TensorBaseESB_NS_15PhiloxCudaStateEEUliRS8_SD_SD_SD_RKfSF_SF_SF_E_S8_SE_mLin1ELin1ELi4ELi512ELi2EEEvNS0_6detail10TensorInfoIT0_T2_EENSI_IT1_SK_EESK_T_,comdat
	.globl	_ZN2at4cuda12_GLOBAL__N_121kernelPointwiseApply2IZNS_6native9templates4cuda28bernoulli_tensor_cuda_kernelIN3c104HalfEfEEvRKNS_10TensorBaseESB_NS_15PhiloxCudaStateEEUliRS8_SD_SD_SD_RKfSF_SF_SF_E_S8_SE_mLin1ELin1ELi4ELi512ELi2EEEvNS0_6detail10TensorInfoIT0_T2_EENSI_IT1_SK_EESK_T_ ; -- Begin function _ZN2at4cuda12_GLOBAL__N_121kernelPointwiseApply2IZNS_6native9templates4cuda28bernoulli_tensor_cuda_kernelIN3c104HalfEfEEvRKNS_10TensorBaseESB_NS_15PhiloxCudaStateEEUliRS8_SD_SD_SD_RKfSF_SF_SF_E_S8_SE_mLin1ELin1ELi4ELi512ELi2EEEvNS0_6detail10TensorInfoIT0_T2_EENSI_IT1_SK_EESK_T_
	.p2align	8
	.type	_ZN2at4cuda12_GLOBAL__N_121kernelPointwiseApply2IZNS_6native9templates4cuda28bernoulli_tensor_cuda_kernelIN3c104HalfEfEEvRKNS_10TensorBaseESB_NS_15PhiloxCudaStateEEUliRS8_SD_SD_SD_RKfSF_SF_SF_E_S8_SE_mLin1ELin1ELi4ELi512ELi2EEEvNS0_6detail10TensorInfoIT0_T2_EENSI_IT1_SK_EESK_T_,@function
_ZN2at4cuda12_GLOBAL__N_121kernelPointwiseApply2IZNS_6native9templates4cuda28bernoulli_tensor_cuda_kernelIN3c104HalfEfEEvRKNS_10TensorBaseESB_NS_15PhiloxCudaStateEEUliRS8_SD_SD_SD_RKfSF_SF_SF_E_S8_SE_mLin1ELin1ELi4ELi512ELi2EEEvNS0_6detail10TensorInfoIT0_T2_EENSI_IT1_SK_EESK_T_: ; @_ZN2at4cuda12_GLOBAL__N_121kernelPointwiseApply2IZNS_6native9templates4cuda28bernoulli_tensor_cuda_kernelIN3c104HalfEfEEvRKNS_10TensorBaseESB_NS_15PhiloxCudaStateEEUliRS8_SD_SD_SD_RKfSF_SF_SF_E_S8_SE_mLin1ELin1ELi4ELi512ELi2EEEvNS0_6detail10TensorInfoIT0_T2_EENSI_IT1_SK_EESK_T_
; %bb.0:
	s_clause 0x1
	s_load_b32 s12, s[0:1], 0x374
	s_load_b256 s[4:11], s[0:1], 0x340
	s_add_u32 s2, s0, 0x368
	s_addc_u32 s3, s1, 0
	s_waitcnt lgkmcnt(0)
	s_and_b32 s18, s12, 0xffff
	s_mov_b32 s12, exec_lo
	v_mad_u64_u32 v[1:2], null, s15, s18, v[0:1]
	v_mov_b32_e32 v2, 0
	s_delay_alu instid0(VALU_DEP_1) | instskip(NEXT) | instid1(VALU_DEP_1)
	v_dual_mov_b32 v5, v2 :: v_dual_lshlrev_b32 v4, 2, v1
	v_cmpx_gt_u64_e64 s[4:5], v[4:5]
	s_cbranch_execz .LBB98_122
; %bb.1:
	s_clause 0x2
	s_load_b32 s22, s[0:1], 0x198
	s_load_b32 s23, s[0:1], 0x338
	;; [unrolled: 1-line block ×4, first 2 shown]
	s_add_u32 s24, s0, 0x1a0
	s_addc_u32 s25, s1, 0
	s_clause 0x3
	s_load_b64 s[2:3], s[0:1], 0x270
	s_load_b64 s[12:13], s[0:1], 0x1a0
	;; [unrolled: 1-line block ×4, first 2 shown]
	s_mov_b32 s19, 0
	v_mad_u64_u32 v[6:7], null, 0xcd9e8d57, v1, 0
                                        ; implicit-def: $sgpr35
                                        ; implicit-def: $sgpr37
                                        ; implicit-def: $sgpr36
                                        ; implicit-def: $sgpr38
                                        ; implicit-def: $sgpr40
                                        ; implicit-def: $sgpr39
                                        ; implicit-def: $sgpr41
	s_delay_alu instid0(VALU_DEP_1)
	v_mov_b32_e32 v0, v7
	s_waitcnt lgkmcnt(0)
	s_cmp_gt_i32 s22, 1
	s_cselect_b32 s28, -1, 0
	s_cmp_gt_i32 s23, 1
	s_mul_i32 s21, s21, s18
	s_cselect_b32 s29, -1, 0
	s_bitcmp1_b32 s20, 0
	s_cselect_b32 s30, -1, 0
	s_add_i32 s18, s22, -1
	s_lshl_b32 s31, s21, 2
	s_lshl_b64 s[20:21], s[18:19], 3
	s_add_i32 s33, s22, 1
	s_add_u32 s0, s20, s0
	s_addc_u32 s1, s21, s1
	s_add_u32 s20, s0, 8
	s_addc_u32 s21, s1, 0
	s_add_i32 s18, s23, -1
	s_add_i32 s34, s23, 1
	s_lshl_b64 s[0:1], s[18:19], 3
                                        ; implicit-def: $sgpr18
	s_delay_alu instid0(SALU_CYCLE_1)
	s_add_u32 s0, s0, s24
	s_addc_u32 s1, s1, s25
	s_add_u32 s22, s0, 8
	s_addc_u32 s23, s1, 0
	s_branch .LBB98_3
.LBB98_2:                               ;   in Loop: Header=BB98_3 Depth=1
	s_or_b32 exec_lo, exec_lo, s1
	s_delay_alu instid0(SALU_CYCLE_1) | instskip(NEXT) | instid1(SALU_CYCLE_1)
	s_and_b32 s0, exec_lo, s0
	s_or_b32 s19, s0, s19
	s_and_not1_b32 s0, s18, exec_lo
	s_and_b32 s1, s41, exec_lo
	s_and_not1_b32 s24, s36, exec_lo
	s_and_b32 s25, s39, exec_lo
	s_or_b32 s18, s0, s1
	s_or_b32 s36, s24, s25
	s_and_not1_b32 s0, s37, exec_lo
	s_and_b32 s1, s40, exec_lo
	s_and_not1_b32 s24, s35, exec_lo
	s_and_b32 s25, s38, exec_lo
	s_or_b32 s37, s0, s1
	s_or_b32 s35, s24, s25
	s_and_not1_b32 exec_lo, exec_lo, s19
	s_cbranch_execz .LBB98_110
.LBB98_3:                               ; =>This Loop Header: Depth=1
                                        ;     Child Loop BB98_5 Depth 2
                                        ;     Child Loop BB98_14 Depth 2
                                        ;     Child Loop BB98_23 Depth 2
                                        ;     Child Loop BB98_42 Depth 2
                                        ;     Child Loop BB98_35 Depth 2
                                        ;     Child Loop BB98_59 Depth 2
                                        ;     Child Loop BB98_52 Depth 2
                                        ;     Child Loop BB98_97 Depth 2
	v_sub_nc_u32_e32 v32, s4, v4
	v_mov_b32_e32 v7, 0
	v_mov_b32_e32 v8, 0
	s_delay_alu instid0(VALU_DEP_3) | instskip(NEXT) | instid1(VALU_DEP_1)
	v_cmp_lt_i32_e64 s0, 0, v32
	s_and_saveexec_b32 s42, s0
	s_cbranch_execz .LBB98_12
; %bb.4:                                ;   in Loop: Header=BB98_3 Depth=1
	v_dual_mov_b32 v9, 0 :: v_dual_mov_b32 v8, v5
	v_dual_mov_b32 v10, 0 :: v_dual_mov_b32 v7, v4
	v_dual_mov_b32 v12, v5 :: v_dual_mov_b32 v11, v4
	s_and_not1_b32 vcc_lo, exec_lo, s28
	s_mov_b64 s[24:25], s[20:21]
	s_mov_b32 s43, s33
	s_cbranch_vccnz .LBB98_11
.LBB98_5:                               ;   Parent Loop BB98_3 Depth=1
                                        ; =>  This Inner Loop Header: Depth=2
	s_load_b64 s[26:27], s[24:25], 0x0
                                        ; implicit-def: $vgpr11_vgpr12
	s_mov_b32 s1, exec_lo
	s_waitcnt lgkmcnt(0)
	v_or_b32_e32 v3, s27, v8
	s_delay_alu instid0(VALU_DEP_1)
	v_cmpx_ne_u64_e32 0, v[2:3]
	s_xor_b32 s44, exec_lo, s1
	s_cbranch_execz .LBB98_7
; %bb.6:                                ;   in Loop: Header=BB98_5 Depth=2
	v_cvt_f32_u32_e32 v3, s26
	v_cvt_f32_u32_e32 v11, s27
	s_sub_u32 s1, 0, s26
	s_subb_u32 s45, 0, s27
	s_delay_alu instid0(VALU_DEP_1) | instskip(NEXT) | instid1(VALU_DEP_1)
	v_fmac_f32_e32 v3, 0x4f800000, v11
	v_rcp_f32_e32 v3, v3
	s_waitcnt_depctr 0xfff
	v_mul_f32_e32 v3, 0x5f7ffffc, v3
	s_delay_alu instid0(VALU_DEP_1) | instskip(NEXT) | instid1(VALU_DEP_1)
	v_mul_f32_e32 v11, 0x2f800000, v3
	v_trunc_f32_e32 v11, v11
	s_delay_alu instid0(VALU_DEP_1) | instskip(SKIP_1) | instid1(VALU_DEP_2)
	v_fmac_f32_e32 v3, 0xcf800000, v11
	v_cvt_u32_f32_e32 v11, v11
	v_cvt_u32_f32_e32 v3, v3
	s_delay_alu instid0(VALU_DEP_2) | instskip(NEXT) | instid1(VALU_DEP_2)
	v_mul_lo_u32 v12, s1, v11
	v_mul_hi_u32 v13, s1, v3
	v_mul_lo_u32 v14, s45, v3
	s_delay_alu instid0(VALU_DEP_2) | instskip(SKIP_1) | instid1(VALU_DEP_2)
	v_add_nc_u32_e32 v12, v13, v12
	v_mul_lo_u32 v13, s1, v3
	v_add_nc_u32_e32 v12, v12, v14
	s_delay_alu instid0(VALU_DEP_2) | instskip(NEXT) | instid1(VALU_DEP_2)
	v_mul_hi_u32 v14, v3, v13
	v_mul_lo_u32 v15, v3, v12
	v_mul_hi_u32 v16, v3, v12
	v_mul_hi_u32 v17, v11, v13
	v_mul_lo_u32 v13, v11, v13
	v_mul_hi_u32 v18, v11, v12
	v_mul_lo_u32 v12, v11, v12
	v_add_co_u32 v14, vcc_lo, v14, v15
	v_add_co_ci_u32_e32 v15, vcc_lo, 0, v16, vcc_lo
	s_delay_alu instid0(VALU_DEP_2) | instskip(NEXT) | instid1(VALU_DEP_2)
	v_add_co_u32 v13, vcc_lo, v14, v13
	v_add_co_ci_u32_e32 v13, vcc_lo, v15, v17, vcc_lo
	v_add_co_ci_u32_e32 v14, vcc_lo, 0, v18, vcc_lo
	s_delay_alu instid0(VALU_DEP_2) | instskip(NEXT) | instid1(VALU_DEP_2)
	v_add_co_u32 v12, vcc_lo, v13, v12
	v_add_co_ci_u32_e32 v13, vcc_lo, 0, v14, vcc_lo
	s_delay_alu instid0(VALU_DEP_2) | instskip(NEXT) | instid1(VALU_DEP_2)
	v_add_co_u32 v3, vcc_lo, v3, v12
	v_add_co_ci_u32_e32 v11, vcc_lo, v11, v13, vcc_lo
	s_delay_alu instid0(VALU_DEP_2) | instskip(SKIP_1) | instid1(VALU_DEP_3)
	v_mul_hi_u32 v12, s1, v3
	v_mul_lo_u32 v14, s45, v3
	v_mul_lo_u32 v13, s1, v11
	s_delay_alu instid0(VALU_DEP_1) | instskip(SKIP_1) | instid1(VALU_DEP_2)
	v_add_nc_u32_e32 v12, v12, v13
	v_mul_lo_u32 v13, s1, v3
	v_add_nc_u32_e32 v12, v12, v14
	s_delay_alu instid0(VALU_DEP_2) | instskip(NEXT) | instid1(VALU_DEP_2)
	v_mul_hi_u32 v14, v3, v13
	v_mul_lo_u32 v15, v3, v12
	v_mul_hi_u32 v16, v3, v12
	v_mul_hi_u32 v17, v11, v13
	v_mul_lo_u32 v13, v11, v13
	v_mul_hi_u32 v18, v11, v12
	v_mul_lo_u32 v12, v11, v12
	v_add_co_u32 v14, vcc_lo, v14, v15
	v_add_co_ci_u32_e32 v15, vcc_lo, 0, v16, vcc_lo
	s_delay_alu instid0(VALU_DEP_2) | instskip(NEXT) | instid1(VALU_DEP_2)
	v_add_co_u32 v13, vcc_lo, v14, v13
	v_add_co_ci_u32_e32 v13, vcc_lo, v15, v17, vcc_lo
	v_add_co_ci_u32_e32 v14, vcc_lo, 0, v18, vcc_lo
	s_delay_alu instid0(VALU_DEP_2) | instskip(NEXT) | instid1(VALU_DEP_2)
	v_add_co_u32 v12, vcc_lo, v13, v12
	v_add_co_ci_u32_e32 v13, vcc_lo, 0, v14, vcc_lo
	s_delay_alu instid0(VALU_DEP_2) | instskip(NEXT) | instid1(VALU_DEP_2)
	v_add_co_u32 v3, vcc_lo, v3, v12
	v_add_co_ci_u32_e32 v17, vcc_lo, v11, v13, vcc_lo
	s_delay_alu instid0(VALU_DEP_2) | instskip(SKIP_1) | instid1(VALU_DEP_3)
	v_mul_hi_u32 v18, v7, v3
	v_mad_u64_u32 v[13:14], null, v8, v3, 0
	v_mad_u64_u32 v[11:12], null, v7, v17, 0
	;; [unrolled: 1-line block ×3, first 2 shown]
	s_delay_alu instid0(VALU_DEP_2) | instskip(NEXT) | instid1(VALU_DEP_3)
	v_add_co_u32 v3, vcc_lo, v18, v11
	v_add_co_ci_u32_e32 v11, vcc_lo, 0, v12, vcc_lo
	s_delay_alu instid0(VALU_DEP_2) | instskip(NEXT) | instid1(VALU_DEP_2)
	v_add_co_u32 v3, vcc_lo, v3, v13
	v_add_co_ci_u32_e32 v3, vcc_lo, v11, v14, vcc_lo
	v_add_co_ci_u32_e32 v11, vcc_lo, 0, v16, vcc_lo
	s_delay_alu instid0(VALU_DEP_2) | instskip(NEXT) | instid1(VALU_DEP_2)
	v_add_co_u32 v3, vcc_lo, v3, v15
	v_add_co_ci_u32_e32 v13, vcc_lo, 0, v11, vcc_lo
	s_delay_alu instid0(VALU_DEP_2) | instskip(SKIP_1) | instid1(VALU_DEP_3)
	v_mul_lo_u32 v14, s27, v3
	v_mad_u64_u32 v[11:12], null, s26, v3, 0
	v_mul_lo_u32 v15, s26, v13
	s_delay_alu instid0(VALU_DEP_2) | instskip(NEXT) | instid1(VALU_DEP_2)
	v_sub_co_u32 v11, vcc_lo, v7, v11
	v_add3_u32 v12, v12, v15, v14
	s_delay_alu instid0(VALU_DEP_1) | instskip(NEXT) | instid1(VALU_DEP_1)
	v_sub_nc_u32_e32 v14, v8, v12
	v_subrev_co_ci_u32_e64 v14, s1, s27, v14, vcc_lo
	v_add_co_u32 v15, s1, v3, 2
	s_delay_alu instid0(VALU_DEP_1) | instskip(SKIP_3) | instid1(VALU_DEP_3)
	v_add_co_ci_u32_e64 v16, s1, 0, v13, s1
	v_sub_co_u32 v17, s1, v11, s26
	v_sub_co_ci_u32_e32 v12, vcc_lo, v8, v12, vcc_lo
	v_subrev_co_ci_u32_e64 v14, s1, 0, v14, s1
	v_cmp_le_u32_e32 vcc_lo, s26, v17
	s_delay_alu instid0(VALU_DEP_3) | instskip(SKIP_1) | instid1(VALU_DEP_4)
	v_cmp_eq_u32_e64 s1, s27, v12
	v_cndmask_b32_e64 v17, 0, -1, vcc_lo
	v_cmp_le_u32_e32 vcc_lo, s27, v14
	v_cndmask_b32_e64 v18, 0, -1, vcc_lo
	v_cmp_le_u32_e32 vcc_lo, s26, v11
	;; [unrolled: 2-line block ×3, first 2 shown]
	v_cndmask_b32_e64 v19, 0, -1, vcc_lo
	v_cmp_eq_u32_e32 vcc_lo, s27, v14
	s_delay_alu instid0(VALU_DEP_2) | instskip(SKIP_3) | instid1(VALU_DEP_3)
	v_cndmask_b32_e64 v11, v19, v11, s1
	v_cndmask_b32_e32 v14, v18, v17, vcc_lo
	v_add_co_u32 v17, vcc_lo, v3, 1
	v_add_co_ci_u32_e32 v18, vcc_lo, 0, v13, vcc_lo
	v_cmp_ne_u32_e32 vcc_lo, 0, v14
	s_delay_alu instid0(VALU_DEP_3) | instskip(NEXT) | instid1(VALU_DEP_3)
	v_cndmask_b32_e32 v14, v17, v15, vcc_lo
	v_cndmask_b32_e32 v12, v18, v16, vcc_lo
	v_cmp_ne_u32_e32 vcc_lo, 0, v11
	s_delay_alu instid0(VALU_DEP_2)
	v_dual_cndmask_b32 v11, v3, v14 :: v_dual_cndmask_b32 v12, v13, v12
.LBB98_7:                               ;   in Loop: Header=BB98_5 Depth=2
	s_and_not1_saveexec_b32 s1, s44
	s_cbranch_execz .LBB98_9
; %bb.8:                                ;   in Loop: Header=BB98_5 Depth=2
	v_cvt_f32_u32_e32 v3, s26
	s_sub_i32 s44, 0, s26
	s_delay_alu instid0(VALU_DEP_1) | instskip(SKIP_2) | instid1(VALU_DEP_1)
	v_rcp_iflag_f32_e32 v3, v3
	s_waitcnt_depctr 0xfff
	v_mul_f32_e32 v3, 0x4f7ffffe, v3
	v_cvt_u32_f32_e32 v3, v3
	s_delay_alu instid0(VALU_DEP_1) | instskip(NEXT) | instid1(VALU_DEP_1)
	v_mul_lo_u32 v11, s44, v3
	v_mul_hi_u32 v11, v3, v11
	s_delay_alu instid0(VALU_DEP_1) | instskip(NEXT) | instid1(VALU_DEP_1)
	v_add_nc_u32_e32 v3, v3, v11
	v_mul_hi_u32 v3, v7, v3
	s_delay_alu instid0(VALU_DEP_1) | instskip(NEXT) | instid1(VALU_DEP_1)
	v_mul_lo_u32 v11, v3, s26
	v_sub_nc_u32_e32 v11, v7, v11
	s_delay_alu instid0(VALU_DEP_1) | instskip(SKIP_1) | instid1(VALU_DEP_2)
	v_subrev_nc_u32_e32 v13, s26, v11
	v_cmp_le_u32_e32 vcc_lo, s26, v11
	v_dual_cndmask_b32 v11, v11, v13 :: v_dual_add_nc_u32 v12, 1, v3
	s_delay_alu instid0(VALU_DEP_1) | instskip(NEXT) | instid1(VALU_DEP_2)
	v_cndmask_b32_e32 v3, v3, v12, vcc_lo
	v_cmp_le_u32_e32 vcc_lo, s26, v11
	s_delay_alu instid0(VALU_DEP_2) | instskip(NEXT) | instid1(VALU_DEP_1)
	v_add_nc_u32_e32 v12, 1, v3
	v_dual_cndmask_b32 v11, v3, v12 :: v_dual_mov_b32 v12, v2
.LBB98_9:                               ;   in Loop: Header=BB98_5 Depth=2
	s_or_b32 exec_lo, exec_lo, s1
	s_load_b64 s[44:45], s[24:25], 0xc8
	s_delay_alu instid0(VALU_DEP_1) | instskip(NEXT) | instid1(VALU_DEP_2)
	v_mul_lo_u32 v3, v12, s26
	v_mul_lo_u32 v15, v11, s27
	v_mad_u64_u32 v[13:14], null, v11, s26, 0
	s_add_i32 s43, s43, -1
	s_add_u32 s24, s24, -8
	s_addc_u32 s25, s25, -1
	s_cmp_gt_u32 s43, 2
	s_delay_alu instid0(VALU_DEP_1) | instskip(NEXT) | instid1(VALU_DEP_2)
	v_add3_u32 v3, v14, v15, v3
	v_sub_co_u32 v13, vcc_lo, v7, v13
	s_delay_alu instid0(VALU_DEP_2) | instskip(SKIP_1) | instid1(VALU_DEP_2)
	v_sub_co_ci_u32_e32 v3, vcc_lo, v8, v3, vcc_lo
	s_waitcnt lgkmcnt(0)
	v_mul_lo_u32 v14, s45, v13
	s_delay_alu instid0(VALU_DEP_2) | instskip(SKIP_1) | instid1(VALU_DEP_1)
	v_mul_lo_u32 v3, s44, v3
	v_mad_u64_u32 v[7:8], null, s44, v13, v[9:10]
	v_add3_u32 v10, v14, v8, v3
	s_delay_alu instid0(VALU_DEP_2)
	v_mov_b32_e32 v9, v7
	s_cbranch_scc0 .LBB98_11
; %bb.10:                               ;   in Loop: Header=BB98_5 Depth=2
	v_dual_mov_b32 v7, v11 :: v_dual_mov_b32 v8, v12
	s_branch .LBB98_5
.LBB98_11:                              ;   in Loop: Header=BB98_3 Depth=1
	s_delay_alu instid0(VALU_DEP_1) | instskip(SKIP_2) | instid1(VALU_DEP_1)
	v_mad_u64_u32 v[7:8], null, s14, v11, v[9:10]
	v_mul_lo_u32 v3, s14, v12
	v_mul_lo_u32 v9, s15, v11
	v_add3_u32 v8, v9, v8, v3
.LBB98_12:                              ;   in Loop: Header=BB98_3 Depth=1
	s_or_b32 exec_lo, exec_lo, s42
	v_mov_b32_e32 v11, 0
	v_mov_b32_e32 v12, 0
	s_and_saveexec_b32 s1, s0
	s_cbranch_execz .LBB98_21
; %bb.13:                               ;   in Loop: Header=BB98_3 Depth=1
	v_dual_mov_b32 v9, 0 :: v_dual_mov_b32 v12, v5
	v_dual_mov_b32 v10, 0 :: v_dual_mov_b32 v11, v4
	;; [unrolled: 1-line block ×3, first 2 shown]
	s_and_not1_b32 vcc_lo, exec_lo, s29
	s_mov_b64 s[24:25], s[22:23]
	s_mov_b32 s42, s34
	s_cbranch_vccnz .LBB98_20
.LBB98_14:                              ;   Parent Loop BB98_3 Depth=1
                                        ; =>  This Inner Loop Header: Depth=2
	s_load_b64 s[26:27], s[24:25], 0x0
                                        ; implicit-def: $vgpr13_vgpr14
	s_mov_b32 s0, exec_lo
	s_waitcnt lgkmcnt(0)
	v_or_b32_e32 v3, s27, v12
	s_delay_alu instid0(VALU_DEP_1)
	v_cmpx_ne_u64_e32 0, v[2:3]
	s_xor_b32 s43, exec_lo, s0
	s_cbranch_execz .LBB98_16
; %bb.15:                               ;   in Loop: Header=BB98_14 Depth=2
	v_cvt_f32_u32_e32 v3, s26
	v_cvt_f32_u32_e32 v13, s27
	s_sub_u32 s0, 0, s26
	s_subb_u32 s44, 0, s27
	s_delay_alu instid0(VALU_DEP_1) | instskip(NEXT) | instid1(VALU_DEP_1)
	v_fmac_f32_e32 v3, 0x4f800000, v13
	v_rcp_f32_e32 v3, v3
	s_waitcnt_depctr 0xfff
	v_mul_f32_e32 v3, 0x5f7ffffc, v3
	s_delay_alu instid0(VALU_DEP_1) | instskip(NEXT) | instid1(VALU_DEP_1)
	v_mul_f32_e32 v13, 0x2f800000, v3
	v_trunc_f32_e32 v13, v13
	s_delay_alu instid0(VALU_DEP_1) | instskip(SKIP_1) | instid1(VALU_DEP_2)
	v_fmac_f32_e32 v3, 0xcf800000, v13
	v_cvt_u32_f32_e32 v13, v13
	v_cvt_u32_f32_e32 v3, v3
	s_delay_alu instid0(VALU_DEP_2) | instskip(NEXT) | instid1(VALU_DEP_2)
	v_mul_lo_u32 v14, s0, v13
	v_mul_hi_u32 v15, s0, v3
	v_mul_lo_u32 v16, s44, v3
	s_delay_alu instid0(VALU_DEP_2) | instskip(SKIP_1) | instid1(VALU_DEP_2)
	v_add_nc_u32_e32 v14, v15, v14
	v_mul_lo_u32 v15, s0, v3
	v_add_nc_u32_e32 v14, v14, v16
	s_delay_alu instid0(VALU_DEP_2) | instskip(NEXT) | instid1(VALU_DEP_2)
	v_mul_hi_u32 v16, v3, v15
	v_mul_lo_u32 v17, v3, v14
	v_mul_hi_u32 v18, v3, v14
	v_mul_hi_u32 v19, v13, v15
	v_mul_lo_u32 v15, v13, v15
	v_mul_hi_u32 v20, v13, v14
	v_mul_lo_u32 v14, v13, v14
	v_add_co_u32 v16, vcc_lo, v16, v17
	v_add_co_ci_u32_e32 v17, vcc_lo, 0, v18, vcc_lo
	s_delay_alu instid0(VALU_DEP_2) | instskip(NEXT) | instid1(VALU_DEP_2)
	v_add_co_u32 v15, vcc_lo, v16, v15
	v_add_co_ci_u32_e32 v15, vcc_lo, v17, v19, vcc_lo
	v_add_co_ci_u32_e32 v16, vcc_lo, 0, v20, vcc_lo
	s_delay_alu instid0(VALU_DEP_2) | instskip(NEXT) | instid1(VALU_DEP_2)
	v_add_co_u32 v14, vcc_lo, v15, v14
	v_add_co_ci_u32_e32 v15, vcc_lo, 0, v16, vcc_lo
	s_delay_alu instid0(VALU_DEP_2) | instskip(NEXT) | instid1(VALU_DEP_2)
	v_add_co_u32 v3, vcc_lo, v3, v14
	v_add_co_ci_u32_e32 v13, vcc_lo, v13, v15, vcc_lo
	s_delay_alu instid0(VALU_DEP_2) | instskip(SKIP_1) | instid1(VALU_DEP_3)
	v_mul_hi_u32 v14, s0, v3
	v_mul_lo_u32 v16, s44, v3
	v_mul_lo_u32 v15, s0, v13
	s_delay_alu instid0(VALU_DEP_1) | instskip(SKIP_1) | instid1(VALU_DEP_2)
	v_add_nc_u32_e32 v14, v14, v15
	v_mul_lo_u32 v15, s0, v3
	v_add_nc_u32_e32 v14, v14, v16
	s_delay_alu instid0(VALU_DEP_2) | instskip(NEXT) | instid1(VALU_DEP_2)
	v_mul_hi_u32 v16, v3, v15
	v_mul_lo_u32 v17, v3, v14
	v_mul_hi_u32 v18, v3, v14
	v_mul_hi_u32 v19, v13, v15
	v_mul_lo_u32 v15, v13, v15
	v_mul_hi_u32 v20, v13, v14
	v_mul_lo_u32 v14, v13, v14
	v_add_co_u32 v16, vcc_lo, v16, v17
	v_add_co_ci_u32_e32 v17, vcc_lo, 0, v18, vcc_lo
	s_delay_alu instid0(VALU_DEP_2) | instskip(NEXT) | instid1(VALU_DEP_2)
	v_add_co_u32 v15, vcc_lo, v16, v15
	v_add_co_ci_u32_e32 v15, vcc_lo, v17, v19, vcc_lo
	v_add_co_ci_u32_e32 v16, vcc_lo, 0, v20, vcc_lo
	s_delay_alu instid0(VALU_DEP_2) | instskip(NEXT) | instid1(VALU_DEP_2)
	v_add_co_u32 v14, vcc_lo, v15, v14
	v_add_co_ci_u32_e32 v15, vcc_lo, 0, v16, vcc_lo
	s_delay_alu instid0(VALU_DEP_2) | instskip(NEXT) | instid1(VALU_DEP_2)
	v_add_co_u32 v3, vcc_lo, v3, v14
	v_add_co_ci_u32_e32 v19, vcc_lo, v13, v15, vcc_lo
	s_delay_alu instid0(VALU_DEP_2) | instskip(SKIP_1) | instid1(VALU_DEP_3)
	v_mul_hi_u32 v20, v11, v3
	v_mad_u64_u32 v[15:16], null, v12, v3, 0
	v_mad_u64_u32 v[13:14], null, v11, v19, 0
	;; [unrolled: 1-line block ×3, first 2 shown]
	s_delay_alu instid0(VALU_DEP_2) | instskip(NEXT) | instid1(VALU_DEP_3)
	v_add_co_u32 v3, vcc_lo, v20, v13
	v_add_co_ci_u32_e32 v13, vcc_lo, 0, v14, vcc_lo
	s_delay_alu instid0(VALU_DEP_2) | instskip(NEXT) | instid1(VALU_DEP_2)
	v_add_co_u32 v3, vcc_lo, v3, v15
	v_add_co_ci_u32_e32 v3, vcc_lo, v13, v16, vcc_lo
	v_add_co_ci_u32_e32 v13, vcc_lo, 0, v18, vcc_lo
	s_delay_alu instid0(VALU_DEP_2) | instskip(NEXT) | instid1(VALU_DEP_2)
	v_add_co_u32 v3, vcc_lo, v3, v17
	v_add_co_ci_u32_e32 v15, vcc_lo, 0, v13, vcc_lo
	s_delay_alu instid0(VALU_DEP_2) | instskip(SKIP_1) | instid1(VALU_DEP_3)
	v_mul_lo_u32 v16, s27, v3
	v_mad_u64_u32 v[13:14], null, s26, v3, 0
	v_mul_lo_u32 v17, s26, v15
	s_delay_alu instid0(VALU_DEP_2) | instskip(NEXT) | instid1(VALU_DEP_2)
	v_sub_co_u32 v13, vcc_lo, v11, v13
	v_add3_u32 v14, v14, v17, v16
	s_delay_alu instid0(VALU_DEP_1) | instskip(NEXT) | instid1(VALU_DEP_1)
	v_sub_nc_u32_e32 v16, v12, v14
	v_subrev_co_ci_u32_e64 v16, s0, s27, v16, vcc_lo
	v_add_co_u32 v17, s0, v3, 2
	s_delay_alu instid0(VALU_DEP_1) | instskip(SKIP_3) | instid1(VALU_DEP_3)
	v_add_co_ci_u32_e64 v18, s0, 0, v15, s0
	v_sub_co_u32 v19, s0, v13, s26
	v_sub_co_ci_u32_e32 v14, vcc_lo, v12, v14, vcc_lo
	v_subrev_co_ci_u32_e64 v16, s0, 0, v16, s0
	v_cmp_le_u32_e32 vcc_lo, s26, v19
	s_delay_alu instid0(VALU_DEP_3) | instskip(SKIP_1) | instid1(VALU_DEP_4)
	v_cmp_eq_u32_e64 s0, s27, v14
	v_cndmask_b32_e64 v19, 0, -1, vcc_lo
	v_cmp_le_u32_e32 vcc_lo, s27, v16
	v_cndmask_b32_e64 v20, 0, -1, vcc_lo
	v_cmp_le_u32_e32 vcc_lo, s26, v13
	;; [unrolled: 2-line block ×3, first 2 shown]
	v_cndmask_b32_e64 v21, 0, -1, vcc_lo
	v_cmp_eq_u32_e32 vcc_lo, s27, v16
	s_delay_alu instid0(VALU_DEP_2) | instskip(SKIP_3) | instid1(VALU_DEP_3)
	v_cndmask_b32_e64 v13, v21, v13, s0
	v_cndmask_b32_e32 v16, v20, v19, vcc_lo
	v_add_co_u32 v19, vcc_lo, v3, 1
	v_add_co_ci_u32_e32 v20, vcc_lo, 0, v15, vcc_lo
	v_cmp_ne_u32_e32 vcc_lo, 0, v16
	s_delay_alu instid0(VALU_DEP_3) | instskip(NEXT) | instid1(VALU_DEP_3)
	v_cndmask_b32_e32 v16, v19, v17, vcc_lo
	v_cndmask_b32_e32 v14, v20, v18, vcc_lo
	v_cmp_ne_u32_e32 vcc_lo, 0, v13
	s_delay_alu instid0(VALU_DEP_3) | instskip(NEXT) | instid1(VALU_DEP_3)
	v_cndmask_b32_e32 v13, v3, v16, vcc_lo
	v_cndmask_b32_e32 v14, v15, v14, vcc_lo
.LBB98_16:                              ;   in Loop: Header=BB98_14 Depth=2
	s_and_not1_saveexec_b32 s0, s43
	s_cbranch_execz .LBB98_18
; %bb.17:                               ;   in Loop: Header=BB98_14 Depth=2
	v_cvt_f32_u32_e32 v3, s26
	s_sub_i32 s43, 0, s26
	s_delay_alu instid0(VALU_DEP_1) | instskip(SKIP_2) | instid1(VALU_DEP_1)
	v_rcp_iflag_f32_e32 v3, v3
	s_waitcnt_depctr 0xfff
	v_mul_f32_e32 v3, 0x4f7ffffe, v3
	v_cvt_u32_f32_e32 v3, v3
	s_delay_alu instid0(VALU_DEP_1) | instskip(NEXT) | instid1(VALU_DEP_1)
	v_mul_lo_u32 v13, s43, v3
	v_mul_hi_u32 v13, v3, v13
	s_delay_alu instid0(VALU_DEP_1) | instskip(NEXT) | instid1(VALU_DEP_1)
	v_add_nc_u32_e32 v3, v3, v13
	v_mul_hi_u32 v3, v11, v3
	s_delay_alu instid0(VALU_DEP_1) | instskip(SKIP_1) | instid1(VALU_DEP_2)
	v_mul_lo_u32 v13, v3, s26
	v_add_nc_u32_e32 v14, 1, v3
	v_sub_nc_u32_e32 v13, v11, v13
	s_delay_alu instid0(VALU_DEP_1) | instskip(SKIP_1) | instid1(VALU_DEP_2)
	v_subrev_nc_u32_e32 v15, s26, v13
	v_cmp_le_u32_e32 vcc_lo, s26, v13
	v_cndmask_b32_e32 v13, v13, v15, vcc_lo
	v_cndmask_b32_e32 v3, v3, v14, vcc_lo
	s_delay_alu instid0(VALU_DEP_2) | instskip(NEXT) | instid1(VALU_DEP_2)
	v_cmp_le_u32_e32 vcc_lo, s26, v13
	v_add_nc_u32_e32 v14, 1, v3
	s_delay_alu instid0(VALU_DEP_1)
	v_dual_cndmask_b32 v13, v3, v14 :: v_dual_mov_b32 v14, v2
.LBB98_18:                              ;   in Loop: Header=BB98_14 Depth=2
	s_or_b32 exec_lo, exec_lo, s0
	s_load_b64 s[44:45], s[24:25], 0xc8
	s_delay_alu instid0(VALU_DEP_1) | instskip(NEXT) | instid1(VALU_DEP_2)
	v_mul_lo_u32 v3, v14, s26
	v_mul_lo_u32 v17, v13, s27
	v_mad_u64_u32 v[15:16], null, v13, s26, 0
	s_add_i32 s42, s42, -1
	s_add_u32 s24, s24, -8
	s_addc_u32 s25, s25, -1
	s_cmp_gt_u32 s42, 2
	s_delay_alu instid0(VALU_DEP_1) | instskip(NEXT) | instid1(VALU_DEP_2)
	v_add3_u32 v3, v16, v17, v3
	v_sub_co_u32 v15, vcc_lo, v11, v15
	s_delay_alu instid0(VALU_DEP_2) | instskip(SKIP_1) | instid1(VALU_DEP_2)
	v_sub_co_ci_u32_e32 v3, vcc_lo, v12, v3, vcc_lo
	s_waitcnt lgkmcnt(0)
	v_mul_lo_u32 v16, s45, v15
	s_delay_alu instid0(VALU_DEP_2) | instskip(SKIP_1) | instid1(VALU_DEP_1)
	v_mul_lo_u32 v3, s44, v3
	v_mad_u64_u32 v[11:12], null, s44, v15, v[9:10]
	v_add3_u32 v10, v16, v12, v3
	s_delay_alu instid0(VALU_DEP_2)
	v_mov_b32_e32 v9, v11
	s_cbranch_scc0 .LBB98_20
; %bb.19:                               ;   in Loop: Header=BB98_14 Depth=2
	v_dual_mov_b32 v11, v13 :: v_dual_mov_b32 v12, v14
	s_branch .LBB98_14
.LBB98_20:                              ;   in Loop: Header=BB98_3 Depth=1
	s_delay_alu instid0(VALU_DEP_1) | instskip(SKIP_2) | instid1(VALU_DEP_1)
	v_mad_u64_u32 v[11:12], null, s2, v13, v[9:10]
	v_mul_lo_u32 v3, s2, v14
	v_mul_lo_u32 v9, s3, v13
	v_add3_u32 v12, v9, v12, v3
.LBB98_21:                              ;   in Loop: Header=BB98_3 Depth=1
	s_or_b32 exec_lo, exec_lo, s1
	v_dual_mov_b32 v14, v5 :: v_dual_mov_b32 v9, 0
	v_or_b32_e32 v13, 1, v4
	v_mov_b32_e32 v10, 0
	v_cmp_lt_i32_e64 s0, 1, v32
	s_delay_alu instid0(VALU_DEP_1)
	s_and_saveexec_b32 s42, s0
	s_cbranch_execz .LBB98_30
; %bb.22:                               ;   in Loop: Header=BB98_3 Depth=1
	v_mov_b32_e32 v15, 0
	v_dual_mov_b32 v16, 0 :: v_dual_mov_b32 v9, v13
	v_mov_b32_e32 v10, v14
	v_dual_mov_b32 v18, v14 :: v_dual_mov_b32 v17, v13
	s_and_not1_b32 vcc_lo, exec_lo, s28
	s_mov_b64 s[24:25], s[20:21]
	s_mov_b32 s43, s33
	s_cbranch_vccnz .LBB98_29
.LBB98_23:                              ;   Parent Loop BB98_3 Depth=1
                                        ; =>  This Inner Loop Header: Depth=2
	s_load_b64 s[26:27], s[24:25], 0x0
                                        ; implicit-def: $vgpr17_vgpr18
	s_mov_b32 s1, exec_lo
	s_waitcnt lgkmcnt(0)
	v_or_b32_e32 v3, s27, v10
	s_delay_alu instid0(VALU_DEP_1)
	v_cmpx_ne_u64_e32 0, v[2:3]
	s_xor_b32 s44, exec_lo, s1
	s_cbranch_execz .LBB98_25
; %bb.24:                               ;   in Loop: Header=BB98_23 Depth=2
	v_cvt_f32_u32_e32 v3, s26
	v_cvt_f32_u32_e32 v17, s27
	s_sub_u32 s1, 0, s26
	s_subb_u32 s45, 0, s27
	s_delay_alu instid0(VALU_DEP_1) | instskip(NEXT) | instid1(VALU_DEP_1)
	v_fmac_f32_e32 v3, 0x4f800000, v17
	v_rcp_f32_e32 v3, v3
	s_waitcnt_depctr 0xfff
	v_mul_f32_e32 v3, 0x5f7ffffc, v3
	s_delay_alu instid0(VALU_DEP_1) | instskip(NEXT) | instid1(VALU_DEP_1)
	v_mul_f32_e32 v17, 0x2f800000, v3
	v_trunc_f32_e32 v17, v17
	s_delay_alu instid0(VALU_DEP_1) | instskip(SKIP_1) | instid1(VALU_DEP_2)
	v_fmac_f32_e32 v3, 0xcf800000, v17
	v_cvt_u32_f32_e32 v17, v17
	v_cvt_u32_f32_e32 v3, v3
	s_delay_alu instid0(VALU_DEP_2) | instskip(NEXT) | instid1(VALU_DEP_2)
	v_mul_lo_u32 v18, s1, v17
	v_mul_hi_u32 v19, s1, v3
	v_mul_lo_u32 v20, s45, v3
	s_delay_alu instid0(VALU_DEP_2) | instskip(SKIP_1) | instid1(VALU_DEP_2)
	v_add_nc_u32_e32 v18, v19, v18
	v_mul_lo_u32 v19, s1, v3
	v_add_nc_u32_e32 v18, v18, v20
	s_delay_alu instid0(VALU_DEP_2) | instskip(NEXT) | instid1(VALU_DEP_2)
	v_mul_hi_u32 v20, v3, v19
	v_mul_lo_u32 v21, v3, v18
	v_mul_hi_u32 v22, v3, v18
	v_mul_hi_u32 v23, v17, v19
	v_mul_lo_u32 v19, v17, v19
	v_mul_hi_u32 v24, v17, v18
	v_mul_lo_u32 v18, v17, v18
	v_add_co_u32 v20, vcc_lo, v20, v21
	v_add_co_ci_u32_e32 v21, vcc_lo, 0, v22, vcc_lo
	s_delay_alu instid0(VALU_DEP_2) | instskip(NEXT) | instid1(VALU_DEP_2)
	v_add_co_u32 v19, vcc_lo, v20, v19
	v_add_co_ci_u32_e32 v19, vcc_lo, v21, v23, vcc_lo
	v_add_co_ci_u32_e32 v20, vcc_lo, 0, v24, vcc_lo
	s_delay_alu instid0(VALU_DEP_2) | instskip(NEXT) | instid1(VALU_DEP_2)
	v_add_co_u32 v18, vcc_lo, v19, v18
	v_add_co_ci_u32_e32 v19, vcc_lo, 0, v20, vcc_lo
	s_delay_alu instid0(VALU_DEP_2) | instskip(NEXT) | instid1(VALU_DEP_2)
	v_add_co_u32 v3, vcc_lo, v3, v18
	v_add_co_ci_u32_e32 v17, vcc_lo, v17, v19, vcc_lo
	s_delay_alu instid0(VALU_DEP_2) | instskip(SKIP_1) | instid1(VALU_DEP_3)
	v_mul_hi_u32 v18, s1, v3
	v_mul_lo_u32 v20, s45, v3
	v_mul_lo_u32 v19, s1, v17
	s_delay_alu instid0(VALU_DEP_1) | instskip(SKIP_1) | instid1(VALU_DEP_2)
	v_add_nc_u32_e32 v18, v18, v19
	v_mul_lo_u32 v19, s1, v3
	v_add_nc_u32_e32 v18, v18, v20
	s_delay_alu instid0(VALU_DEP_2) | instskip(NEXT) | instid1(VALU_DEP_2)
	v_mul_hi_u32 v20, v3, v19
	v_mul_lo_u32 v21, v3, v18
	v_mul_hi_u32 v22, v3, v18
	v_mul_hi_u32 v23, v17, v19
	v_mul_lo_u32 v19, v17, v19
	v_mul_hi_u32 v24, v17, v18
	v_mul_lo_u32 v18, v17, v18
	v_add_co_u32 v20, vcc_lo, v20, v21
	v_add_co_ci_u32_e32 v21, vcc_lo, 0, v22, vcc_lo
	s_delay_alu instid0(VALU_DEP_2) | instskip(NEXT) | instid1(VALU_DEP_2)
	v_add_co_u32 v19, vcc_lo, v20, v19
	v_add_co_ci_u32_e32 v19, vcc_lo, v21, v23, vcc_lo
	v_add_co_ci_u32_e32 v20, vcc_lo, 0, v24, vcc_lo
	s_delay_alu instid0(VALU_DEP_2) | instskip(NEXT) | instid1(VALU_DEP_2)
	v_add_co_u32 v18, vcc_lo, v19, v18
	v_add_co_ci_u32_e32 v19, vcc_lo, 0, v20, vcc_lo
	s_delay_alu instid0(VALU_DEP_2) | instskip(NEXT) | instid1(VALU_DEP_2)
	v_add_co_u32 v3, vcc_lo, v3, v18
	v_add_co_ci_u32_e32 v23, vcc_lo, v17, v19, vcc_lo
	s_delay_alu instid0(VALU_DEP_2) | instskip(SKIP_1) | instid1(VALU_DEP_3)
	v_mul_hi_u32 v24, v9, v3
	v_mad_u64_u32 v[19:20], null, v10, v3, 0
	v_mad_u64_u32 v[17:18], null, v9, v23, 0
	;; [unrolled: 1-line block ×3, first 2 shown]
	s_delay_alu instid0(VALU_DEP_2) | instskip(NEXT) | instid1(VALU_DEP_3)
	v_add_co_u32 v3, vcc_lo, v24, v17
	v_add_co_ci_u32_e32 v17, vcc_lo, 0, v18, vcc_lo
	s_delay_alu instid0(VALU_DEP_2) | instskip(NEXT) | instid1(VALU_DEP_2)
	v_add_co_u32 v3, vcc_lo, v3, v19
	v_add_co_ci_u32_e32 v3, vcc_lo, v17, v20, vcc_lo
	v_add_co_ci_u32_e32 v17, vcc_lo, 0, v22, vcc_lo
	s_delay_alu instid0(VALU_DEP_2) | instskip(NEXT) | instid1(VALU_DEP_2)
	v_add_co_u32 v3, vcc_lo, v3, v21
	v_add_co_ci_u32_e32 v19, vcc_lo, 0, v17, vcc_lo
	s_delay_alu instid0(VALU_DEP_2) | instskip(SKIP_1) | instid1(VALU_DEP_3)
	v_mul_lo_u32 v20, s27, v3
	v_mad_u64_u32 v[17:18], null, s26, v3, 0
	v_mul_lo_u32 v21, s26, v19
	s_delay_alu instid0(VALU_DEP_2) | instskip(NEXT) | instid1(VALU_DEP_2)
	v_sub_co_u32 v17, vcc_lo, v9, v17
	v_add3_u32 v18, v18, v21, v20
	s_delay_alu instid0(VALU_DEP_1) | instskip(NEXT) | instid1(VALU_DEP_1)
	v_sub_nc_u32_e32 v20, v10, v18
	v_subrev_co_ci_u32_e64 v20, s1, s27, v20, vcc_lo
	v_add_co_u32 v21, s1, v3, 2
	s_delay_alu instid0(VALU_DEP_1) | instskip(SKIP_3) | instid1(VALU_DEP_3)
	v_add_co_ci_u32_e64 v22, s1, 0, v19, s1
	v_sub_co_u32 v23, s1, v17, s26
	v_sub_co_ci_u32_e32 v18, vcc_lo, v10, v18, vcc_lo
	v_subrev_co_ci_u32_e64 v20, s1, 0, v20, s1
	v_cmp_le_u32_e32 vcc_lo, s26, v23
	s_delay_alu instid0(VALU_DEP_3) | instskip(SKIP_1) | instid1(VALU_DEP_4)
	v_cmp_eq_u32_e64 s1, s27, v18
	v_cndmask_b32_e64 v23, 0, -1, vcc_lo
	v_cmp_le_u32_e32 vcc_lo, s27, v20
	v_cndmask_b32_e64 v24, 0, -1, vcc_lo
	v_cmp_le_u32_e32 vcc_lo, s26, v17
	;; [unrolled: 2-line block ×3, first 2 shown]
	v_cndmask_b32_e64 v25, 0, -1, vcc_lo
	v_cmp_eq_u32_e32 vcc_lo, s27, v20
	s_delay_alu instid0(VALU_DEP_2) | instskip(SKIP_3) | instid1(VALU_DEP_3)
	v_cndmask_b32_e64 v17, v25, v17, s1
	v_cndmask_b32_e32 v20, v24, v23, vcc_lo
	v_add_co_u32 v23, vcc_lo, v3, 1
	v_add_co_ci_u32_e32 v24, vcc_lo, 0, v19, vcc_lo
	v_cmp_ne_u32_e32 vcc_lo, 0, v20
	s_delay_alu instid0(VALU_DEP_3) | instskip(NEXT) | instid1(VALU_DEP_3)
	v_cndmask_b32_e32 v20, v23, v21, vcc_lo
	v_cndmask_b32_e32 v18, v24, v22, vcc_lo
	v_cmp_ne_u32_e32 vcc_lo, 0, v17
	s_delay_alu instid0(VALU_DEP_3) | instskip(NEXT) | instid1(VALU_DEP_3)
	v_cndmask_b32_e32 v17, v3, v20, vcc_lo
	v_cndmask_b32_e32 v18, v19, v18, vcc_lo
.LBB98_25:                              ;   in Loop: Header=BB98_23 Depth=2
	s_and_not1_saveexec_b32 s1, s44
	s_cbranch_execz .LBB98_27
; %bb.26:                               ;   in Loop: Header=BB98_23 Depth=2
	v_cvt_f32_u32_e32 v3, s26
	s_sub_i32 s44, 0, s26
	s_delay_alu instid0(VALU_DEP_1) | instskip(SKIP_2) | instid1(VALU_DEP_1)
	v_rcp_iflag_f32_e32 v3, v3
	s_waitcnt_depctr 0xfff
	v_mul_f32_e32 v3, 0x4f7ffffe, v3
	v_cvt_u32_f32_e32 v3, v3
	s_delay_alu instid0(VALU_DEP_1) | instskip(NEXT) | instid1(VALU_DEP_1)
	v_mul_lo_u32 v17, s44, v3
	v_mul_hi_u32 v17, v3, v17
	s_delay_alu instid0(VALU_DEP_1) | instskip(NEXT) | instid1(VALU_DEP_1)
	v_add_nc_u32_e32 v3, v3, v17
	v_mul_hi_u32 v3, v9, v3
	s_delay_alu instid0(VALU_DEP_1) | instskip(SKIP_1) | instid1(VALU_DEP_2)
	v_mul_lo_u32 v17, v3, s26
	v_add_nc_u32_e32 v18, 1, v3
	v_sub_nc_u32_e32 v17, v9, v17
	s_delay_alu instid0(VALU_DEP_1) | instskip(SKIP_1) | instid1(VALU_DEP_2)
	v_subrev_nc_u32_e32 v19, s26, v17
	v_cmp_le_u32_e32 vcc_lo, s26, v17
	v_cndmask_b32_e32 v17, v17, v19, vcc_lo
	v_cndmask_b32_e32 v3, v3, v18, vcc_lo
	s_delay_alu instid0(VALU_DEP_2) | instskip(NEXT) | instid1(VALU_DEP_2)
	v_cmp_le_u32_e32 vcc_lo, s26, v17
	v_add_nc_u32_e32 v18, 1, v3
	s_delay_alu instid0(VALU_DEP_1)
	v_dual_cndmask_b32 v17, v3, v18 :: v_dual_mov_b32 v18, v2
.LBB98_27:                              ;   in Loop: Header=BB98_23 Depth=2
	s_or_b32 exec_lo, exec_lo, s1
	s_load_b64 s[44:45], s[24:25], 0xc8
	s_delay_alu instid0(VALU_DEP_1) | instskip(NEXT) | instid1(VALU_DEP_2)
	v_mul_lo_u32 v3, v18, s26
	v_mul_lo_u32 v21, v17, s27
	v_mad_u64_u32 v[19:20], null, v17, s26, 0
	s_add_i32 s43, s43, -1
	s_add_u32 s24, s24, -8
	s_addc_u32 s25, s25, -1
	s_cmp_gt_u32 s43, 2
	s_delay_alu instid0(VALU_DEP_1) | instskip(NEXT) | instid1(VALU_DEP_2)
	v_add3_u32 v3, v20, v21, v3
	v_sub_co_u32 v19, vcc_lo, v9, v19
	s_delay_alu instid0(VALU_DEP_2) | instskip(SKIP_1) | instid1(VALU_DEP_2)
	v_sub_co_ci_u32_e32 v3, vcc_lo, v10, v3, vcc_lo
	s_waitcnt lgkmcnt(0)
	v_mul_lo_u32 v20, s45, v19
	s_delay_alu instid0(VALU_DEP_2) | instskip(SKIP_1) | instid1(VALU_DEP_1)
	v_mul_lo_u32 v3, s44, v3
	v_mad_u64_u32 v[9:10], null, s44, v19, v[15:16]
	v_add3_u32 v16, v20, v10, v3
	s_delay_alu instid0(VALU_DEP_2)
	v_mov_b32_e32 v15, v9
	s_cbranch_scc0 .LBB98_29
; %bb.28:                               ;   in Loop: Header=BB98_23 Depth=2
	v_dual_mov_b32 v9, v17 :: v_dual_mov_b32 v10, v18
	s_branch .LBB98_23
.LBB98_29:                              ;   in Loop: Header=BB98_3 Depth=1
	s_delay_alu instid0(VALU_DEP_1) | instskip(SKIP_2) | instid1(VALU_DEP_1)
	v_mad_u64_u32 v[9:10], null, s14, v17, v[15:16]
	v_mul_lo_u32 v3, s14, v18
	v_mul_lo_u32 v15, s15, v17
	v_add3_u32 v10, v15, v10, v3
.LBB98_30:                              ;   in Loop: Header=BB98_3 Depth=1
	s_or_b32 exec_lo, exec_lo, s42
	v_mov_b32_e32 v15, 0
	v_mov_b32_e32 v16, 0
	s_and_saveexec_b32 s1, s0
	s_cbranch_execz .LBB98_33
; %bb.31:                               ;   in Loop: Header=BB98_3 Depth=1
	v_mov_b32_e32 v17, 0
	v_mov_b32_e32 v18, 0
	s_and_not1_b32 vcc_lo, exec_lo, s29
	s_mov_b64 s[24:25], s[22:23]
	s_mov_b32 s42, s34
	s_cbranch_vccz .LBB98_42
.LBB98_32:                              ;   in Loop: Header=BB98_3 Depth=1
	s_delay_alu instid0(VALU_DEP_1) | instskip(NEXT) | instid1(VALU_DEP_2)
	v_mad_u64_u32 v[15:16], null, s2, v13, v[17:18]
	v_mul_lo_u32 v3, s2, v14
	v_mul_lo_u32 v13, s3, v13
	s_delay_alu instid0(VALU_DEP_1)
	v_add3_u32 v16, v13, v16, v3
.LBB98_33:                              ;   in Loop: Header=BB98_3 Depth=1
	s_or_b32 exec_lo, exec_lo, s1
	v_dual_mov_b32 v18, v5 :: v_dual_mov_b32 v13, 0
	v_or_b32_e32 v17, 2, v4
	v_mov_b32_e32 v14, 0
	v_cmp_lt_i32_e64 s0, 2, v32
	s_delay_alu instid0(VALU_DEP_1)
	s_and_saveexec_b32 s42, s0
	s_cbranch_execz .LBB98_47
; %bb.34:                               ;   in Loop: Header=BB98_3 Depth=1
	v_mov_b32_e32 v19, 0
	v_dual_mov_b32 v20, 0 :: v_dual_mov_b32 v13, v17
	v_mov_b32_e32 v14, v18
	v_dual_mov_b32 v22, v18 :: v_dual_mov_b32 v21, v17
	s_and_not1_b32 vcc_lo, exec_lo, s28
	s_mov_b64 s[24:25], s[20:21]
	s_mov_b32 s43, s33
	s_cbranch_vccnz .LBB98_46
.LBB98_35:                              ;   Parent Loop BB98_3 Depth=1
                                        ; =>  This Inner Loop Header: Depth=2
	s_load_b64 s[26:27], s[24:25], 0x0
                                        ; implicit-def: $vgpr21_vgpr22
	s_mov_b32 s1, exec_lo
	s_waitcnt lgkmcnt(0)
	v_or_b32_e32 v3, s27, v14
	s_delay_alu instid0(VALU_DEP_1)
	v_cmpx_ne_u64_e32 0, v[2:3]
	s_xor_b32 s44, exec_lo, s1
	s_cbranch_execz .LBB98_37
; %bb.36:                               ;   in Loop: Header=BB98_35 Depth=2
	v_cvt_f32_u32_e32 v3, s26
	v_cvt_f32_u32_e32 v21, s27
	s_sub_u32 s1, 0, s26
	s_subb_u32 s45, 0, s27
	s_delay_alu instid0(VALU_DEP_1) | instskip(NEXT) | instid1(VALU_DEP_1)
	v_fmac_f32_e32 v3, 0x4f800000, v21
	v_rcp_f32_e32 v3, v3
	s_waitcnt_depctr 0xfff
	v_mul_f32_e32 v3, 0x5f7ffffc, v3
	s_delay_alu instid0(VALU_DEP_1) | instskip(NEXT) | instid1(VALU_DEP_1)
	v_mul_f32_e32 v21, 0x2f800000, v3
	v_trunc_f32_e32 v21, v21
	s_delay_alu instid0(VALU_DEP_1) | instskip(SKIP_1) | instid1(VALU_DEP_2)
	v_fmac_f32_e32 v3, 0xcf800000, v21
	v_cvt_u32_f32_e32 v21, v21
	v_cvt_u32_f32_e32 v3, v3
	s_delay_alu instid0(VALU_DEP_2) | instskip(NEXT) | instid1(VALU_DEP_2)
	v_mul_lo_u32 v22, s1, v21
	v_mul_hi_u32 v23, s1, v3
	v_mul_lo_u32 v24, s45, v3
	s_delay_alu instid0(VALU_DEP_2) | instskip(SKIP_1) | instid1(VALU_DEP_2)
	v_add_nc_u32_e32 v22, v23, v22
	v_mul_lo_u32 v23, s1, v3
	v_add_nc_u32_e32 v22, v22, v24
	s_delay_alu instid0(VALU_DEP_2) | instskip(NEXT) | instid1(VALU_DEP_2)
	v_mul_hi_u32 v24, v3, v23
	v_mul_lo_u32 v25, v3, v22
	v_mul_hi_u32 v26, v3, v22
	v_mul_hi_u32 v27, v21, v23
	v_mul_lo_u32 v23, v21, v23
	v_mul_hi_u32 v28, v21, v22
	v_mul_lo_u32 v22, v21, v22
	v_add_co_u32 v24, vcc_lo, v24, v25
	v_add_co_ci_u32_e32 v25, vcc_lo, 0, v26, vcc_lo
	s_delay_alu instid0(VALU_DEP_2) | instskip(NEXT) | instid1(VALU_DEP_2)
	v_add_co_u32 v23, vcc_lo, v24, v23
	v_add_co_ci_u32_e32 v23, vcc_lo, v25, v27, vcc_lo
	v_add_co_ci_u32_e32 v24, vcc_lo, 0, v28, vcc_lo
	s_delay_alu instid0(VALU_DEP_2) | instskip(NEXT) | instid1(VALU_DEP_2)
	v_add_co_u32 v22, vcc_lo, v23, v22
	v_add_co_ci_u32_e32 v23, vcc_lo, 0, v24, vcc_lo
	s_delay_alu instid0(VALU_DEP_2) | instskip(NEXT) | instid1(VALU_DEP_2)
	v_add_co_u32 v3, vcc_lo, v3, v22
	v_add_co_ci_u32_e32 v21, vcc_lo, v21, v23, vcc_lo
	s_delay_alu instid0(VALU_DEP_2) | instskip(SKIP_1) | instid1(VALU_DEP_3)
	v_mul_hi_u32 v22, s1, v3
	v_mul_lo_u32 v24, s45, v3
	v_mul_lo_u32 v23, s1, v21
	s_delay_alu instid0(VALU_DEP_1) | instskip(SKIP_1) | instid1(VALU_DEP_2)
	v_add_nc_u32_e32 v22, v22, v23
	v_mul_lo_u32 v23, s1, v3
	v_add_nc_u32_e32 v22, v22, v24
	s_delay_alu instid0(VALU_DEP_2) | instskip(NEXT) | instid1(VALU_DEP_2)
	v_mul_hi_u32 v24, v3, v23
	v_mul_lo_u32 v25, v3, v22
	v_mul_hi_u32 v26, v3, v22
	v_mul_hi_u32 v27, v21, v23
	v_mul_lo_u32 v23, v21, v23
	v_mul_hi_u32 v28, v21, v22
	v_mul_lo_u32 v22, v21, v22
	v_add_co_u32 v24, vcc_lo, v24, v25
	v_add_co_ci_u32_e32 v25, vcc_lo, 0, v26, vcc_lo
	s_delay_alu instid0(VALU_DEP_2) | instskip(NEXT) | instid1(VALU_DEP_2)
	v_add_co_u32 v23, vcc_lo, v24, v23
	v_add_co_ci_u32_e32 v23, vcc_lo, v25, v27, vcc_lo
	v_add_co_ci_u32_e32 v24, vcc_lo, 0, v28, vcc_lo
	s_delay_alu instid0(VALU_DEP_2) | instskip(NEXT) | instid1(VALU_DEP_2)
	v_add_co_u32 v22, vcc_lo, v23, v22
	v_add_co_ci_u32_e32 v23, vcc_lo, 0, v24, vcc_lo
	s_delay_alu instid0(VALU_DEP_2) | instskip(NEXT) | instid1(VALU_DEP_2)
	v_add_co_u32 v3, vcc_lo, v3, v22
	v_add_co_ci_u32_e32 v27, vcc_lo, v21, v23, vcc_lo
	s_delay_alu instid0(VALU_DEP_2) | instskip(SKIP_1) | instid1(VALU_DEP_3)
	v_mul_hi_u32 v28, v13, v3
	v_mad_u64_u32 v[23:24], null, v14, v3, 0
	v_mad_u64_u32 v[21:22], null, v13, v27, 0
	;; [unrolled: 1-line block ×3, first 2 shown]
	s_delay_alu instid0(VALU_DEP_2) | instskip(NEXT) | instid1(VALU_DEP_3)
	v_add_co_u32 v3, vcc_lo, v28, v21
	v_add_co_ci_u32_e32 v21, vcc_lo, 0, v22, vcc_lo
	s_delay_alu instid0(VALU_DEP_2) | instskip(NEXT) | instid1(VALU_DEP_2)
	v_add_co_u32 v3, vcc_lo, v3, v23
	v_add_co_ci_u32_e32 v3, vcc_lo, v21, v24, vcc_lo
	v_add_co_ci_u32_e32 v21, vcc_lo, 0, v26, vcc_lo
	s_delay_alu instid0(VALU_DEP_2) | instskip(NEXT) | instid1(VALU_DEP_2)
	v_add_co_u32 v3, vcc_lo, v3, v25
	v_add_co_ci_u32_e32 v23, vcc_lo, 0, v21, vcc_lo
	s_delay_alu instid0(VALU_DEP_2) | instskip(SKIP_1) | instid1(VALU_DEP_3)
	v_mul_lo_u32 v24, s27, v3
	v_mad_u64_u32 v[21:22], null, s26, v3, 0
	v_mul_lo_u32 v25, s26, v23
	s_delay_alu instid0(VALU_DEP_2) | instskip(NEXT) | instid1(VALU_DEP_2)
	v_sub_co_u32 v21, vcc_lo, v13, v21
	v_add3_u32 v22, v22, v25, v24
	s_delay_alu instid0(VALU_DEP_1) | instskip(NEXT) | instid1(VALU_DEP_1)
	v_sub_nc_u32_e32 v24, v14, v22
	v_subrev_co_ci_u32_e64 v24, s1, s27, v24, vcc_lo
	v_add_co_u32 v25, s1, v3, 2
	s_delay_alu instid0(VALU_DEP_1) | instskip(SKIP_3) | instid1(VALU_DEP_3)
	v_add_co_ci_u32_e64 v26, s1, 0, v23, s1
	v_sub_co_u32 v27, s1, v21, s26
	v_sub_co_ci_u32_e32 v22, vcc_lo, v14, v22, vcc_lo
	v_subrev_co_ci_u32_e64 v24, s1, 0, v24, s1
	v_cmp_le_u32_e32 vcc_lo, s26, v27
	s_delay_alu instid0(VALU_DEP_3) | instskip(SKIP_1) | instid1(VALU_DEP_4)
	v_cmp_eq_u32_e64 s1, s27, v22
	v_cndmask_b32_e64 v27, 0, -1, vcc_lo
	v_cmp_le_u32_e32 vcc_lo, s27, v24
	v_cndmask_b32_e64 v28, 0, -1, vcc_lo
	v_cmp_le_u32_e32 vcc_lo, s26, v21
	;; [unrolled: 2-line block ×3, first 2 shown]
	v_cndmask_b32_e64 v29, 0, -1, vcc_lo
	v_cmp_eq_u32_e32 vcc_lo, s27, v24
	s_delay_alu instid0(VALU_DEP_2) | instskip(SKIP_3) | instid1(VALU_DEP_3)
	v_cndmask_b32_e64 v21, v29, v21, s1
	v_cndmask_b32_e32 v24, v28, v27, vcc_lo
	v_add_co_u32 v27, vcc_lo, v3, 1
	v_add_co_ci_u32_e32 v28, vcc_lo, 0, v23, vcc_lo
	v_cmp_ne_u32_e32 vcc_lo, 0, v24
	s_delay_alu instid0(VALU_DEP_3) | instskip(NEXT) | instid1(VALU_DEP_3)
	v_cndmask_b32_e32 v24, v27, v25, vcc_lo
	v_cndmask_b32_e32 v22, v28, v26, vcc_lo
	v_cmp_ne_u32_e32 vcc_lo, 0, v21
	s_delay_alu instid0(VALU_DEP_3) | instskip(NEXT) | instid1(VALU_DEP_3)
	v_cndmask_b32_e32 v21, v3, v24, vcc_lo
	v_cndmask_b32_e32 v22, v23, v22, vcc_lo
.LBB98_37:                              ;   in Loop: Header=BB98_35 Depth=2
	s_and_not1_saveexec_b32 s1, s44
	s_cbranch_execz .LBB98_39
; %bb.38:                               ;   in Loop: Header=BB98_35 Depth=2
	v_cvt_f32_u32_e32 v3, s26
	s_sub_i32 s44, 0, s26
	s_delay_alu instid0(VALU_DEP_1) | instskip(SKIP_2) | instid1(VALU_DEP_1)
	v_rcp_iflag_f32_e32 v3, v3
	s_waitcnt_depctr 0xfff
	v_mul_f32_e32 v3, 0x4f7ffffe, v3
	v_cvt_u32_f32_e32 v3, v3
	s_delay_alu instid0(VALU_DEP_1) | instskip(NEXT) | instid1(VALU_DEP_1)
	v_mul_lo_u32 v21, s44, v3
	v_mul_hi_u32 v21, v3, v21
	s_delay_alu instid0(VALU_DEP_1) | instskip(NEXT) | instid1(VALU_DEP_1)
	v_add_nc_u32_e32 v3, v3, v21
	v_mul_hi_u32 v3, v13, v3
	s_delay_alu instid0(VALU_DEP_1) | instskip(SKIP_1) | instid1(VALU_DEP_2)
	v_mul_lo_u32 v21, v3, s26
	v_add_nc_u32_e32 v22, 1, v3
	v_sub_nc_u32_e32 v21, v13, v21
	s_delay_alu instid0(VALU_DEP_1) | instskip(SKIP_1) | instid1(VALU_DEP_2)
	v_subrev_nc_u32_e32 v23, s26, v21
	v_cmp_le_u32_e32 vcc_lo, s26, v21
	v_cndmask_b32_e32 v21, v21, v23, vcc_lo
	v_cndmask_b32_e32 v3, v3, v22, vcc_lo
	s_delay_alu instid0(VALU_DEP_2) | instskip(NEXT) | instid1(VALU_DEP_2)
	v_cmp_le_u32_e32 vcc_lo, s26, v21
	v_add_nc_u32_e32 v22, 1, v3
	s_delay_alu instid0(VALU_DEP_1)
	v_dual_cndmask_b32 v21, v3, v22 :: v_dual_mov_b32 v22, v2
.LBB98_39:                              ;   in Loop: Header=BB98_35 Depth=2
	s_or_b32 exec_lo, exec_lo, s1
	s_load_b64 s[44:45], s[24:25], 0xc8
	s_delay_alu instid0(VALU_DEP_1) | instskip(NEXT) | instid1(VALU_DEP_2)
	v_mul_lo_u32 v3, v22, s26
	v_mul_lo_u32 v25, v21, s27
	v_mad_u64_u32 v[23:24], null, v21, s26, 0
	s_add_i32 s43, s43, -1
	s_add_u32 s24, s24, -8
	s_addc_u32 s25, s25, -1
	s_cmp_gt_u32 s43, 2
	s_delay_alu instid0(VALU_DEP_1) | instskip(NEXT) | instid1(VALU_DEP_2)
	v_add3_u32 v3, v24, v25, v3
	v_sub_co_u32 v23, vcc_lo, v13, v23
	s_delay_alu instid0(VALU_DEP_2) | instskip(SKIP_1) | instid1(VALU_DEP_2)
	v_sub_co_ci_u32_e32 v3, vcc_lo, v14, v3, vcc_lo
	s_waitcnt lgkmcnt(0)
	v_mul_lo_u32 v24, s45, v23
	s_delay_alu instid0(VALU_DEP_2) | instskip(SKIP_1) | instid1(VALU_DEP_1)
	v_mul_lo_u32 v3, s44, v3
	v_mad_u64_u32 v[13:14], null, s44, v23, v[19:20]
	v_add3_u32 v20, v24, v14, v3
	s_delay_alu instid0(VALU_DEP_2)
	v_mov_b32_e32 v19, v13
	s_cbranch_scc0 .LBB98_46
; %bb.40:                               ;   in Loop: Header=BB98_35 Depth=2
	v_dual_mov_b32 v13, v21 :: v_dual_mov_b32 v14, v22
	s_branch .LBB98_35
.LBB98_41:                              ;   in Loop: Header=BB98_42 Depth=2
	s_or_b32 exec_lo, exec_lo, s0
	s_load_b64 s[44:45], s[24:25], 0xc8
	s_delay_alu instid0(VALU_DEP_1)
	v_mul_lo_u32 v3, v16, s26
	v_mul_lo_u32 v21, v15, s27
	v_mad_u64_u32 v[19:20], null, v15, s26, 0
	s_add_i32 s42, s42, -1
	s_add_u32 s24, s24, -8
	s_addc_u32 s25, s25, -1
	s_cmp_gt_u32 s42, 2
	s_delay_alu instid0(VALU_DEP_1) | instskip(NEXT) | instid1(VALU_DEP_2)
	v_add3_u32 v3, v20, v21, v3
	v_sub_co_u32 v19, vcc_lo, v13, v19
	s_delay_alu instid0(VALU_DEP_2) | instskip(SKIP_1) | instid1(VALU_DEP_2)
	v_sub_co_ci_u32_e32 v3, vcc_lo, v14, v3, vcc_lo
	s_waitcnt lgkmcnt(0)
	v_mul_lo_u32 v20, s45, v19
	s_delay_alu instid0(VALU_DEP_2) | instskip(SKIP_1) | instid1(VALU_DEP_1)
	v_mul_lo_u32 v3, s44, v3
	v_mad_u64_u32 v[13:14], null, s44, v19, v[17:18]
	v_add3_u32 v18, v20, v14, v3
	s_delay_alu instid0(VALU_DEP_2)
	v_mov_b32_e32 v17, v13
	v_dual_mov_b32 v13, v15 :: v_dual_mov_b32 v14, v16
	s_cbranch_scc0 .LBB98_32
.LBB98_42:                              ;   Parent Loop BB98_3 Depth=1
                                        ; =>  This Inner Loop Header: Depth=2
	s_load_b64 s[26:27], s[24:25], 0x0
                                        ; implicit-def: $vgpr15_vgpr16
	s_mov_b32 s0, exec_lo
	s_waitcnt lgkmcnt(0)
	v_or_b32_e32 v3, s27, v14
	s_delay_alu instid0(VALU_DEP_1)
	v_cmpx_ne_u64_e32 0, v[2:3]
	s_xor_b32 s43, exec_lo, s0
	s_cbranch_execz .LBB98_44
; %bb.43:                               ;   in Loop: Header=BB98_42 Depth=2
	v_cvt_f32_u32_e32 v3, s26
	v_cvt_f32_u32_e32 v15, s27
	s_sub_u32 s0, 0, s26
	s_subb_u32 s44, 0, s27
	s_delay_alu instid0(VALU_DEP_1) | instskip(NEXT) | instid1(VALU_DEP_1)
	v_fmac_f32_e32 v3, 0x4f800000, v15
	v_rcp_f32_e32 v3, v3
	s_waitcnt_depctr 0xfff
	v_mul_f32_e32 v3, 0x5f7ffffc, v3
	s_delay_alu instid0(VALU_DEP_1) | instskip(NEXT) | instid1(VALU_DEP_1)
	v_mul_f32_e32 v15, 0x2f800000, v3
	v_trunc_f32_e32 v15, v15
	s_delay_alu instid0(VALU_DEP_1) | instskip(SKIP_1) | instid1(VALU_DEP_2)
	v_fmac_f32_e32 v3, 0xcf800000, v15
	v_cvt_u32_f32_e32 v15, v15
	v_cvt_u32_f32_e32 v3, v3
	s_delay_alu instid0(VALU_DEP_2) | instskip(NEXT) | instid1(VALU_DEP_2)
	v_mul_lo_u32 v16, s0, v15
	v_mul_hi_u32 v19, s0, v3
	v_mul_lo_u32 v20, s44, v3
	s_delay_alu instid0(VALU_DEP_2) | instskip(SKIP_1) | instid1(VALU_DEP_2)
	v_add_nc_u32_e32 v16, v19, v16
	v_mul_lo_u32 v19, s0, v3
	v_add_nc_u32_e32 v16, v16, v20
	s_delay_alu instid0(VALU_DEP_2) | instskip(NEXT) | instid1(VALU_DEP_2)
	v_mul_hi_u32 v20, v3, v19
	v_mul_lo_u32 v21, v3, v16
	v_mul_hi_u32 v22, v3, v16
	v_mul_hi_u32 v23, v15, v19
	v_mul_lo_u32 v19, v15, v19
	v_mul_hi_u32 v24, v15, v16
	v_mul_lo_u32 v16, v15, v16
	v_add_co_u32 v20, vcc_lo, v20, v21
	v_add_co_ci_u32_e32 v21, vcc_lo, 0, v22, vcc_lo
	s_delay_alu instid0(VALU_DEP_2) | instskip(NEXT) | instid1(VALU_DEP_2)
	v_add_co_u32 v19, vcc_lo, v20, v19
	v_add_co_ci_u32_e32 v19, vcc_lo, v21, v23, vcc_lo
	v_add_co_ci_u32_e32 v20, vcc_lo, 0, v24, vcc_lo
	s_delay_alu instid0(VALU_DEP_2) | instskip(NEXT) | instid1(VALU_DEP_2)
	v_add_co_u32 v16, vcc_lo, v19, v16
	v_add_co_ci_u32_e32 v19, vcc_lo, 0, v20, vcc_lo
	s_delay_alu instid0(VALU_DEP_2) | instskip(NEXT) | instid1(VALU_DEP_2)
	v_add_co_u32 v3, vcc_lo, v3, v16
	v_add_co_ci_u32_e32 v15, vcc_lo, v15, v19, vcc_lo
	s_delay_alu instid0(VALU_DEP_2) | instskip(SKIP_1) | instid1(VALU_DEP_3)
	v_mul_hi_u32 v16, s0, v3
	v_mul_lo_u32 v20, s44, v3
	v_mul_lo_u32 v19, s0, v15
	s_delay_alu instid0(VALU_DEP_1) | instskip(SKIP_1) | instid1(VALU_DEP_2)
	v_add_nc_u32_e32 v16, v16, v19
	v_mul_lo_u32 v19, s0, v3
	v_add_nc_u32_e32 v16, v16, v20
	s_delay_alu instid0(VALU_DEP_2) | instskip(NEXT) | instid1(VALU_DEP_2)
	v_mul_hi_u32 v20, v3, v19
	v_mul_lo_u32 v21, v3, v16
	v_mul_hi_u32 v22, v3, v16
	v_mul_hi_u32 v23, v15, v19
	v_mul_lo_u32 v19, v15, v19
	v_mul_hi_u32 v24, v15, v16
	v_mul_lo_u32 v16, v15, v16
	v_add_co_u32 v20, vcc_lo, v20, v21
	v_add_co_ci_u32_e32 v21, vcc_lo, 0, v22, vcc_lo
	s_delay_alu instid0(VALU_DEP_2) | instskip(NEXT) | instid1(VALU_DEP_2)
	v_add_co_u32 v19, vcc_lo, v20, v19
	v_add_co_ci_u32_e32 v19, vcc_lo, v21, v23, vcc_lo
	v_add_co_ci_u32_e32 v20, vcc_lo, 0, v24, vcc_lo
	s_delay_alu instid0(VALU_DEP_2) | instskip(NEXT) | instid1(VALU_DEP_2)
	v_add_co_u32 v16, vcc_lo, v19, v16
	v_add_co_ci_u32_e32 v19, vcc_lo, 0, v20, vcc_lo
	s_delay_alu instid0(VALU_DEP_2) | instskip(NEXT) | instid1(VALU_DEP_2)
	v_add_co_u32 v3, vcc_lo, v3, v16
	v_add_co_ci_u32_e32 v23, vcc_lo, v15, v19, vcc_lo
	s_delay_alu instid0(VALU_DEP_2) | instskip(SKIP_1) | instid1(VALU_DEP_3)
	v_mul_hi_u32 v24, v13, v3
	v_mad_u64_u32 v[19:20], null, v14, v3, 0
	v_mad_u64_u32 v[15:16], null, v13, v23, 0
	;; [unrolled: 1-line block ×3, first 2 shown]
	s_delay_alu instid0(VALU_DEP_2) | instskip(NEXT) | instid1(VALU_DEP_3)
	v_add_co_u32 v3, vcc_lo, v24, v15
	v_add_co_ci_u32_e32 v15, vcc_lo, 0, v16, vcc_lo
	s_delay_alu instid0(VALU_DEP_2) | instskip(NEXT) | instid1(VALU_DEP_2)
	v_add_co_u32 v3, vcc_lo, v3, v19
	v_add_co_ci_u32_e32 v3, vcc_lo, v15, v20, vcc_lo
	v_add_co_ci_u32_e32 v15, vcc_lo, 0, v22, vcc_lo
	s_delay_alu instid0(VALU_DEP_2) | instskip(NEXT) | instid1(VALU_DEP_2)
	v_add_co_u32 v3, vcc_lo, v3, v21
	v_add_co_ci_u32_e32 v19, vcc_lo, 0, v15, vcc_lo
	s_delay_alu instid0(VALU_DEP_2) | instskip(SKIP_1) | instid1(VALU_DEP_3)
	v_mul_lo_u32 v20, s27, v3
	v_mad_u64_u32 v[15:16], null, s26, v3, 0
	v_mul_lo_u32 v21, s26, v19
	s_delay_alu instid0(VALU_DEP_2) | instskip(NEXT) | instid1(VALU_DEP_2)
	v_sub_co_u32 v15, vcc_lo, v13, v15
	v_add3_u32 v16, v16, v21, v20
	s_delay_alu instid0(VALU_DEP_1) | instskip(NEXT) | instid1(VALU_DEP_1)
	v_sub_nc_u32_e32 v20, v14, v16
	v_subrev_co_ci_u32_e64 v20, s0, s27, v20, vcc_lo
	v_add_co_u32 v21, s0, v3, 2
	s_delay_alu instid0(VALU_DEP_1) | instskip(SKIP_3) | instid1(VALU_DEP_3)
	v_add_co_ci_u32_e64 v22, s0, 0, v19, s0
	v_sub_co_u32 v23, s0, v15, s26
	v_sub_co_ci_u32_e32 v16, vcc_lo, v14, v16, vcc_lo
	v_subrev_co_ci_u32_e64 v20, s0, 0, v20, s0
	v_cmp_le_u32_e32 vcc_lo, s26, v23
	s_delay_alu instid0(VALU_DEP_3) | instskip(SKIP_1) | instid1(VALU_DEP_4)
	v_cmp_eq_u32_e64 s0, s27, v16
	v_cndmask_b32_e64 v23, 0, -1, vcc_lo
	v_cmp_le_u32_e32 vcc_lo, s27, v20
	v_cndmask_b32_e64 v24, 0, -1, vcc_lo
	v_cmp_le_u32_e32 vcc_lo, s26, v15
	v_cndmask_b32_e64 v15, 0, -1, vcc_lo
	v_cmp_le_u32_e32 vcc_lo, s27, v16
	v_cndmask_b32_e64 v25, 0, -1, vcc_lo
	v_cmp_eq_u32_e32 vcc_lo, s27, v20
	s_delay_alu instid0(VALU_DEP_2) | instskip(SKIP_3) | instid1(VALU_DEP_3)
	v_cndmask_b32_e64 v15, v25, v15, s0
	v_cndmask_b32_e32 v20, v24, v23, vcc_lo
	v_add_co_u32 v23, vcc_lo, v3, 1
	v_add_co_ci_u32_e32 v24, vcc_lo, 0, v19, vcc_lo
	v_cmp_ne_u32_e32 vcc_lo, 0, v20
	s_delay_alu instid0(VALU_DEP_2) | instskip(NEXT) | instid1(VALU_DEP_4)
	v_cndmask_b32_e32 v16, v24, v22, vcc_lo
	v_cndmask_b32_e32 v20, v23, v21, vcc_lo
	v_cmp_ne_u32_e32 vcc_lo, 0, v15
	s_delay_alu instid0(VALU_DEP_2) | instskip(NEXT) | instid1(VALU_DEP_4)
	v_cndmask_b32_e32 v15, v3, v20, vcc_lo
	v_cndmask_b32_e32 v16, v19, v16, vcc_lo
.LBB98_44:                              ;   in Loop: Header=BB98_42 Depth=2
	s_and_not1_saveexec_b32 s0, s43
	s_cbranch_execz .LBB98_41
; %bb.45:                               ;   in Loop: Header=BB98_42 Depth=2
	v_cvt_f32_u32_e32 v3, s26
	s_sub_i32 s43, 0, s26
	s_delay_alu instid0(VALU_DEP_1) | instskip(SKIP_2) | instid1(VALU_DEP_1)
	v_rcp_iflag_f32_e32 v3, v3
	s_waitcnt_depctr 0xfff
	v_mul_f32_e32 v3, 0x4f7ffffe, v3
	v_cvt_u32_f32_e32 v3, v3
	s_delay_alu instid0(VALU_DEP_1) | instskip(NEXT) | instid1(VALU_DEP_1)
	v_mul_lo_u32 v15, s43, v3
	v_mul_hi_u32 v15, v3, v15
	s_delay_alu instid0(VALU_DEP_1) | instskip(NEXT) | instid1(VALU_DEP_1)
	v_add_nc_u32_e32 v3, v3, v15
	v_mul_hi_u32 v3, v13, v3
	s_delay_alu instid0(VALU_DEP_1) | instskip(SKIP_1) | instid1(VALU_DEP_2)
	v_mul_lo_u32 v15, v3, s26
	v_add_nc_u32_e32 v16, 1, v3
	v_sub_nc_u32_e32 v15, v13, v15
	s_delay_alu instid0(VALU_DEP_1) | instskip(SKIP_1) | instid1(VALU_DEP_2)
	v_subrev_nc_u32_e32 v19, s26, v15
	v_cmp_le_u32_e32 vcc_lo, s26, v15
	v_cndmask_b32_e32 v15, v15, v19, vcc_lo
	v_cndmask_b32_e32 v3, v3, v16, vcc_lo
	s_delay_alu instid0(VALU_DEP_2) | instskip(NEXT) | instid1(VALU_DEP_2)
	v_cmp_le_u32_e32 vcc_lo, s26, v15
	v_add_nc_u32_e32 v16, 1, v3
	s_delay_alu instid0(VALU_DEP_1)
	v_dual_cndmask_b32 v15, v3, v16 :: v_dual_mov_b32 v16, v2
	s_branch .LBB98_41
.LBB98_46:                              ;   in Loop: Header=BB98_3 Depth=1
	s_delay_alu instid0(VALU_DEP_1) | instskip(SKIP_2) | instid1(VALU_DEP_1)
	v_mad_u64_u32 v[13:14], null, s14, v21, v[19:20]
	v_mul_lo_u32 v3, s14, v22
	v_mul_lo_u32 v19, s15, v21
	v_add3_u32 v14, v19, v14, v3
.LBB98_47:                              ;   in Loop: Header=BB98_3 Depth=1
	s_or_b32 exec_lo, exec_lo, s42
	v_mov_b32_e32 v19, 0
	v_mov_b32_e32 v20, 0
	s_and_saveexec_b32 s1, s0
	s_cbranch_execz .LBB98_50
; %bb.48:                               ;   in Loop: Header=BB98_3 Depth=1
	v_mov_b32_e32 v21, 0
	v_mov_b32_e32 v22, 0
	s_and_not1_b32 vcc_lo, exec_lo, s29
	s_mov_b64 s[24:25], s[22:23]
	s_mov_b32 s42, s34
	s_cbranch_vccz .LBB98_59
.LBB98_49:                              ;   in Loop: Header=BB98_3 Depth=1
	s_delay_alu instid0(VALU_DEP_1) | instskip(NEXT) | instid1(VALU_DEP_2)
	v_mad_u64_u32 v[19:20], null, s2, v17, v[21:22]
	v_mul_lo_u32 v3, s2, v18
	v_mul_lo_u32 v17, s3, v17
	s_delay_alu instid0(VALU_DEP_1)
	v_add3_u32 v20, v17, v20, v3
.LBB98_50:                              ;   in Loop: Header=BB98_3 Depth=1
	s_or_b32 exec_lo, exec_lo, s1
	v_dual_mov_b32 v22, v5 :: v_dual_mov_b32 v17, 0
	v_or_b32_e32 v21, 3, v4
	v_mov_b32_e32 v18, 0
	v_cmp_lt_i32_e64 s0, 3, v32
	s_delay_alu instid0(VALU_DEP_1)
	s_and_saveexec_b32 s42, s0
	s_cbranch_execz .LBB98_64
; %bb.51:                               ;   in Loop: Header=BB98_3 Depth=1
	v_mov_b32_e32 v23, 0
	v_dual_mov_b32 v24, 0 :: v_dual_mov_b32 v17, v21
	v_mov_b32_e32 v18, v22
	v_dual_mov_b32 v26, v22 :: v_dual_mov_b32 v25, v21
	s_and_not1_b32 vcc_lo, exec_lo, s28
	s_mov_b64 s[24:25], s[20:21]
	s_mov_b32 s43, s33
	s_cbranch_vccnz .LBB98_63
.LBB98_52:                              ;   Parent Loop BB98_3 Depth=1
                                        ; =>  This Inner Loop Header: Depth=2
	s_load_b64 s[26:27], s[24:25], 0x0
                                        ; implicit-def: $vgpr25_vgpr26
	s_mov_b32 s1, exec_lo
	s_waitcnt lgkmcnt(0)
	v_or_b32_e32 v3, s27, v18
	s_delay_alu instid0(VALU_DEP_1)
	v_cmpx_ne_u64_e32 0, v[2:3]
	s_xor_b32 s44, exec_lo, s1
	s_cbranch_execz .LBB98_54
; %bb.53:                               ;   in Loop: Header=BB98_52 Depth=2
	v_cvt_f32_u32_e32 v3, s26
	v_cvt_f32_u32_e32 v25, s27
	s_sub_u32 s1, 0, s26
	s_subb_u32 s45, 0, s27
	s_delay_alu instid0(VALU_DEP_1) | instskip(NEXT) | instid1(VALU_DEP_1)
	v_fmac_f32_e32 v3, 0x4f800000, v25
	v_rcp_f32_e32 v3, v3
	s_waitcnt_depctr 0xfff
	v_mul_f32_e32 v3, 0x5f7ffffc, v3
	s_delay_alu instid0(VALU_DEP_1) | instskip(NEXT) | instid1(VALU_DEP_1)
	v_mul_f32_e32 v25, 0x2f800000, v3
	v_trunc_f32_e32 v25, v25
	s_delay_alu instid0(VALU_DEP_1) | instskip(SKIP_1) | instid1(VALU_DEP_2)
	v_fmac_f32_e32 v3, 0xcf800000, v25
	v_cvt_u32_f32_e32 v25, v25
	v_cvt_u32_f32_e32 v3, v3
	s_delay_alu instid0(VALU_DEP_2) | instskip(NEXT) | instid1(VALU_DEP_2)
	v_mul_lo_u32 v26, s1, v25
	v_mul_hi_u32 v27, s1, v3
	v_mul_lo_u32 v28, s45, v3
	s_delay_alu instid0(VALU_DEP_2) | instskip(SKIP_1) | instid1(VALU_DEP_2)
	v_add_nc_u32_e32 v26, v27, v26
	v_mul_lo_u32 v27, s1, v3
	v_add_nc_u32_e32 v26, v26, v28
	s_delay_alu instid0(VALU_DEP_2) | instskip(NEXT) | instid1(VALU_DEP_2)
	v_mul_hi_u32 v28, v3, v27
	v_mul_lo_u32 v29, v3, v26
	v_mul_hi_u32 v30, v3, v26
	v_mul_hi_u32 v31, v25, v27
	v_mul_lo_u32 v27, v25, v27
	v_mul_hi_u32 v33, v25, v26
	v_mul_lo_u32 v26, v25, v26
	v_add_co_u32 v28, vcc_lo, v28, v29
	v_add_co_ci_u32_e32 v29, vcc_lo, 0, v30, vcc_lo
	s_delay_alu instid0(VALU_DEP_2) | instskip(NEXT) | instid1(VALU_DEP_2)
	v_add_co_u32 v27, vcc_lo, v28, v27
	v_add_co_ci_u32_e32 v27, vcc_lo, v29, v31, vcc_lo
	v_add_co_ci_u32_e32 v28, vcc_lo, 0, v33, vcc_lo
	s_delay_alu instid0(VALU_DEP_2) | instskip(NEXT) | instid1(VALU_DEP_2)
	v_add_co_u32 v26, vcc_lo, v27, v26
	v_add_co_ci_u32_e32 v27, vcc_lo, 0, v28, vcc_lo
	s_delay_alu instid0(VALU_DEP_2) | instskip(NEXT) | instid1(VALU_DEP_2)
	v_add_co_u32 v3, vcc_lo, v3, v26
	v_add_co_ci_u32_e32 v25, vcc_lo, v25, v27, vcc_lo
	s_delay_alu instid0(VALU_DEP_2) | instskip(SKIP_1) | instid1(VALU_DEP_3)
	v_mul_hi_u32 v26, s1, v3
	v_mul_lo_u32 v28, s45, v3
	v_mul_lo_u32 v27, s1, v25
	s_delay_alu instid0(VALU_DEP_1) | instskip(SKIP_1) | instid1(VALU_DEP_2)
	v_add_nc_u32_e32 v26, v26, v27
	v_mul_lo_u32 v27, s1, v3
	v_add_nc_u32_e32 v26, v26, v28
	s_delay_alu instid0(VALU_DEP_2) | instskip(NEXT) | instid1(VALU_DEP_2)
	v_mul_hi_u32 v28, v3, v27
	v_mul_lo_u32 v29, v3, v26
	v_mul_hi_u32 v30, v3, v26
	v_mul_hi_u32 v31, v25, v27
	v_mul_lo_u32 v27, v25, v27
	v_mul_hi_u32 v33, v25, v26
	v_mul_lo_u32 v26, v25, v26
	v_add_co_u32 v28, vcc_lo, v28, v29
	v_add_co_ci_u32_e32 v29, vcc_lo, 0, v30, vcc_lo
	s_delay_alu instid0(VALU_DEP_2) | instskip(NEXT) | instid1(VALU_DEP_2)
	v_add_co_u32 v27, vcc_lo, v28, v27
	v_add_co_ci_u32_e32 v27, vcc_lo, v29, v31, vcc_lo
	v_add_co_ci_u32_e32 v28, vcc_lo, 0, v33, vcc_lo
	s_delay_alu instid0(VALU_DEP_2) | instskip(NEXT) | instid1(VALU_DEP_2)
	v_add_co_u32 v26, vcc_lo, v27, v26
	v_add_co_ci_u32_e32 v27, vcc_lo, 0, v28, vcc_lo
	s_delay_alu instid0(VALU_DEP_2) | instskip(NEXT) | instid1(VALU_DEP_2)
	v_add_co_u32 v3, vcc_lo, v3, v26
	v_add_co_ci_u32_e32 v31, vcc_lo, v25, v27, vcc_lo
	s_delay_alu instid0(VALU_DEP_2) | instskip(SKIP_1) | instid1(VALU_DEP_3)
	v_mul_hi_u32 v33, v17, v3
	v_mad_u64_u32 v[27:28], null, v18, v3, 0
	v_mad_u64_u32 v[25:26], null, v17, v31, 0
	;; [unrolled: 1-line block ×3, first 2 shown]
	s_delay_alu instid0(VALU_DEP_2) | instskip(NEXT) | instid1(VALU_DEP_3)
	v_add_co_u32 v3, vcc_lo, v33, v25
	v_add_co_ci_u32_e32 v25, vcc_lo, 0, v26, vcc_lo
	s_delay_alu instid0(VALU_DEP_2) | instskip(NEXT) | instid1(VALU_DEP_2)
	v_add_co_u32 v3, vcc_lo, v3, v27
	v_add_co_ci_u32_e32 v3, vcc_lo, v25, v28, vcc_lo
	v_add_co_ci_u32_e32 v25, vcc_lo, 0, v30, vcc_lo
	s_delay_alu instid0(VALU_DEP_2) | instskip(NEXT) | instid1(VALU_DEP_2)
	v_add_co_u32 v3, vcc_lo, v3, v29
	v_add_co_ci_u32_e32 v27, vcc_lo, 0, v25, vcc_lo
	s_delay_alu instid0(VALU_DEP_2) | instskip(SKIP_1) | instid1(VALU_DEP_3)
	v_mul_lo_u32 v28, s27, v3
	v_mad_u64_u32 v[25:26], null, s26, v3, 0
	v_mul_lo_u32 v29, s26, v27
	s_delay_alu instid0(VALU_DEP_2) | instskip(NEXT) | instid1(VALU_DEP_2)
	v_sub_co_u32 v25, vcc_lo, v17, v25
	v_add3_u32 v26, v26, v29, v28
	s_delay_alu instid0(VALU_DEP_1) | instskip(NEXT) | instid1(VALU_DEP_1)
	v_sub_nc_u32_e32 v28, v18, v26
	v_subrev_co_ci_u32_e64 v28, s1, s27, v28, vcc_lo
	v_add_co_u32 v29, s1, v3, 2
	s_delay_alu instid0(VALU_DEP_1) | instskip(SKIP_3) | instid1(VALU_DEP_3)
	v_add_co_ci_u32_e64 v30, s1, 0, v27, s1
	v_sub_co_u32 v31, s1, v25, s26
	v_sub_co_ci_u32_e32 v26, vcc_lo, v18, v26, vcc_lo
	v_subrev_co_ci_u32_e64 v28, s1, 0, v28, s1
	v_cmp_le_u32_e32 vcc_lo, s26, v31
	s_delay_alu instid0(VALU_DEP_3) | instskip(SKIP_1) | instid1(VALU_DEP_4)
	v_cmp_eq_u32_e64 s1, s27, v26
	v_cndmask_b32_e64 v31, 0, -1, vcc_lo
	v_cmp_le_u32_e32 vcc_lo, s27, v28
	v_cndmask_b32_e64 v33, 0, -1, vcc_lo
	v_cmp_le_u32_e32 vcc_lo, s26, v25
	;; [unrolled: 2-line block ×3, first 2 shown]
	v_cndmask_b32_e64 v34, 0, -1, vcc_lo
	v_cmp_eq_u32_e32 vcc_lo, s27, v28
	s_delay_alu instid0(VALU_DEP_2) | instskip(SKIP_3) | instid1(VALU_DEP_3)
	v_cndmask_b32_e64 v25, v34, v25, s1
	v_cndmask_b32_e32 v28, v33, v31, vcc_lo
	v_add_co_u32 v31, vcc_lo, v3, 1
	v_add_co_ci_u32_e32 v33, vcc_lo, 0, v27, vcc_lo
	v_cmp_ne_u32_e32 vcc_lo, 0, v28
	s_delay_alu instid0(VALU_DEP_3) | instskip(NEXT) | instid1(VALU_DEP_3)
	v_cndmask_b32_e32 v28, v31, v29, vcc_lo
	v_cndmask_b32_e32 v26, v33, v30, vcc_lo
	v_cmp_ne_u32_e32 vcc_lo, 0, v25
	s_delay_alu instid0(VALU_DEP_3) | instskip(NEXT) | instid1(VALU_DEP_3)
	v_cndmask_b32_e32 v25, v3, v28, vcc_lo
	v_cndmask_b32_e32 v26, v27, v26, vcc_lo
.LBB98_54:                              ;   in Loop: Header=BB98_52 Depth=2
	s_and_not1_saveexec_b32 s1, s44
	s_cbranch_execz .LBB98_56
; %bb.55:                               ;   in Loop: Header=BB98_52 Depth=2
	v_cvt_f32_u32_e32 v3, s26
	s_sub_i32 s44, 0, s26
	s_delay_alu instid0(VALU_DEP_1) | instskip(SKIP_2) | instid1(VALU_DEP_1)
	v_rcp_iflag_f32_e32 v3, v3
	s_waitcnt_depctr 0xfff
	v_mul_f32_e32 v3, 0x4f7ffffe, v3
	v_cvt_u32_f32_e32 v3, v3
	s_delay_alu instid0(VALU_DEP_1) | instskip(NEXT) | instid1(VALU_DEP_1)
	v_mul_lo_u32 v25, s44, v3
	v_mul_hi_u32 v25, v3, v25
	s_delay_alu instid0(VALU_DEP_1) | instskip(NEXT) | instid1(VALU_DEP_1)
	v_add_nc_u32_e32 v3, v3, v25
	v_mul_hi_u32 v3, v17, v3
	s_delay_alu instid0(VALU_DEP_1) | instskip(SKIP_1) | instid1(VALU_DEP_2)
	v_mul_lo_u32 v25, v3, s26
	v_add_nc_u32_e32 v26, 1, v3
	v_sub_nc_u32_e32 v25, v17, v25
	s_delay_alu instid0(VALU_DEP_1) | instskip(SKIP_1) | instid1(VALU_DEP_2)
	v_subrev_nc_u32_e32 v27, s26, v25
	v_cmp_le_u32_e32 vcc_lo, s26, v25
	v_cndmask_b32_e32 v25, v25, v27, vcc_lo
	v_cndmask_b32_e32 v3, v3, v26, vcc_lo
	s_delay_alu instid0(VALU_DEP_2) | instskip(NEXT) | instid1(VALU_DEP_2)
	v_cmp_le_u32_e32 vcc_lo, s26, v25
	v_add_nc_u32_e32 v26, 1, v3
	s_delay_alu instid0(VALU_DEP_1)
	v_dual_cndmask_b32 v25, v3, v26 :: v_dual_mov_b32 v26, v2
.LBB98_56:                              ;   in Loop: Header=BB98_52 Depth=2
	s_or_b32 exec_lo, exec_lo, s1
	s_load_b64 s[44:45], s[24:25], 0xc8
	s_delay_alu instid0(VALU_DEP_1) | instskip(NEXT) | instid1(VALU_DEP_2)
	v_mul_lo_u32 v3, v26, s26
	v_mul_lo_u32 v29, v25, s27
	v_mad_u64_u32 v[27:28], null, v25, s26, 0
	s_add_i32 s43, s43, -1
	s_add_u32 s24, s24, -8
	s_addc_u32 s25, s25, -1
	s_cmp_gt_u32 s43, 2
	s_delay_alu instid0(VALU_DEP_1) | instskip(NEXT) | instid1(VALU_DEP_2)
	v_add3_u32 v3, v28, v29, v3
	v_sub_co_u32 v27, vcc_lo, v17, v27
	s_delay_alu instid0(VALU_DEP_2) | instskip(SKIP_1) | instid1(VALU_DEP_2)
	v_sub_co_ci_u32_e32 v3, vcc_lo, v18, v3, vcc_lo
	s_waitcnt lgkmcnt(0)
	v_mul_lo_u32 v28, s45, v27
	s_delay_alu instid0(VALU_DEP_2) | instskip(SKIP_1) | instid1(VALU_DEP_1)
	v_mul_lo_u32 v3, s44, v3
	v_mad_u64_u32 v[17:18], null, s44, v27, v[23:24]
	v_add3_u32 v24, v28, v18, v3
	s_delay_alu instid0(VALU_DEP_2)
	v_mov_b32_e32 v23, v17
	s_cbranch_scc0 .LBB98_63
; %bb.57:                               ;   in Loop: Header=BB98_52 Depth=2
	v_dual_mov_b32 v17, v25 :: v_dual_mov_b32 v18, v26
	s_branch .LBB98_52
.LBB98_58:                              ;   in Loop: Header=BB98_59 Depth=2
	s_or_b32 exec_lo, exec_lo, s0
	s_load_b64 s[44:45], s[24:25], 0xc8
	s_delay_alu instid0(VALU_DEP_1)
	v_mul_lo_u32 v3, v20, s26
	v_mul_lo_u32 v25, v19, s27
	v_mad_u64_u32 v[23:24], null, v19, s26, 0
	s_add_i32 s42, s42, -1
	s_add_u32 s24, s24, -8
	s_addc_u32 s25, s25, -1
	s_cmp_gt_u32 s42, 2
	s_delay_alu instid0(VALU_DEP_1) | instskip(NEXT) | instid1(VALU_DEP_2)
	v_add3_u32 v3, v24, v25, v3
	v_sub_co_u32 v23, vcc_lo, v17, v23
	s_delay_alu instid0(VALU_DEP_2) | instskip(SKIP_1) | instid1(VALU_DEP_2)
	v_sub_co_ci_u32_e32 v3, vcc_lo, v18, v3, vcc_lo
	s_waitcnt lgkmcnt(0)
	v_mul_lo_u32 v24, s45, v23
	s_delay_alu instid0(VALU_DEP_2) | instskip(SKIP_1) | instid1(VALU_DEP_1)
	v_mul_lo_u32 v3, s44, v3
	v_mad_u64_u32 v[17:18], null, s44, v23, v[21:22]
	v_add3_u32 v22, v24, v18, v3
	s_delay_alu instid0(VALU_DEP_2)
	v_mov_b32_e32 v21, v17
	v_dual_mov_b32 v17, v19 :: v_dual_mov_b32 v18, v20
	s_cbranch_scc0 .LBB98_49
.LBB98_59:                              ;   Parent Loop BB98_3 Depth=1
                                        ; =>  This Inner Loop Header: Depth=2
	s_load_b64 s[26:27], s[24:25], 0x0
                                        ; implicit-def: $vgpr19_vgpr20
	s_mov_b32 s0, exec_lo
	s_waitcnt lgkmcnt(0)
	v_or_b32_e32 v3, s27, v18
	s_delay_alu instid0(VALU_DEP_1)
	v_cmpx_ne_u64_e32 0, v[2:3]
	s_xor_b32 s43, exec_lo, s0
	s_cbranch_execz .LBB98_61
; %bb.60:                               ;   in Loop: Header=BB98_59 Depth=2
	v_cvt_f32_u32_e32 v3, s26
	v_cvt_f32_u32_e32 v19, s27
	s_sub_u32 s0, 0, s26
	s_subb_u32 s44, 0, s27
	s_delay_alu instid0(VALU_DEP_1) | instskip(NEXT) | instid1(VALU_DEP_1)
	v_fmac_f32_e32 v3, 0x4f800000, v19
	v_rcp_f32_e32 v3, v3
	s_waitcnt_depctr 0xfff
	v_mul_f32_e32 v3, 0x5f7ffffc, v3
	s_delay_alu instid0(VALU_DEP_1) | instskip(NEXT) | instid1(VALU_DEP_1)
	v_mul_f32_e32 v19, 0x2f800000, v3
	v_trunc_f32_e32 v19, v19
	s_delay_alu instid0(VALU_DEP_1) | instskip(SKIP_1) | instid1(VALU_DEP_2)
	v_fmac_f32_e32 v3, 0xcf800000, v19
	v_cvt_u32_f32_e32 v19, v19
	v_cvt_u32_f32_e32 v3, v3
	s_delay_alu instid0(VALU_DEP_2) | instskip(NEXT) | instid1(VALU_DEP_2)
	v_mul_lo_u32 v20, s0, v19
	v_mul_hi_u32 v23, s0, v3
	v_mul_lo_u32 v24, s44, v3
	s_delay_alu instid0(VALU_DEP_2) | instskip(SKIP_1) | instid1(VALU_DEP_2)
	v_add_nc_u32_e32 v20, v23, v20
	v_mul_lo_u32 v23, s0, v3
	v_add_nc_u32_e32 v20, v20, v24
	s_delay_alu instid0(VALU_DEP_2) | instskip(NEXT) | instid1(VALU_DEP_2)
	v_mul_hi_u32 v24, v3, v23
	v_mul_lo_u32 v25, v3, v20
	v_mul_hi_u32 v26, v3, v20
	v_mul_hi_u32 v27, v19, v23
	v_mul_lo_u32 v23, v19, v23
	v_mul_hi_u32 v28, v19, v20
	v_mul_lo_u32 v20, v19, v20
	v_add_co_u32 v24, vcc_lo, v24, v25
	v_add_co_ci_u32_e32 v25, vcc_lo, 0, v26, vcc_lo
	s_delay_alu instid0(VALU_DEP_2) | instskip(NEXT) | instid1(VALU_DEP_2)
	v_add_co_u32 v23, vcc_lo, v24, v23
	v_add_co_ci_u32_e32 v23, vcc_lo, v25, v27, vcc_lo
	v_add_co_ci_u32_e32 v24, vcc_lo, 0, v28, vcc_lo
	s_delay_alu instid0(VALU_DEP_2) | instskip(NEXT) | instid1(VALU_DEP_2)
	v_add_co_u32 v20, vcc_lo, v23, v20
	v_add_co_ci_u32_e32 v23, vcc_lo, 0, v24, vcc_lo
	s_delay_alu instid0(VALU_DEP_2) | instskip(NEXT) | instid1(VALU_DEP_2)
	v_add_co_u32 v3, vcc_lo, v3, v20
	v_add_co_ci_u32_e32 v19, vcc_lo, v19, v23, vcc_lo
	s_delay_alu instid0(VALU_DEP_2) | instskip(SKIP_1) | instid1(VALU_DEP_3)
	v_mul_hi_u32 v20, s0, v3
	v_mul_lo_u32 v24, s44, v3
	v_mul_lo_u32 v23, s0, v19
	s_delay_alu instid0(VALU_DEP_1) | instskip(SKIP_1) | instid1(VALU_DEP_2)
	v_add_nc_u32_e32 v20, v20, v23
	v_mul_lo_u32 v23, s0, v3
	v_add_nc_u32_e32 v20, v20, v24
	s_delay_alu instid0(VALU_DEP_2) | instskip(NEXT) | instid1(VALU_DEP_2)
	v_mul_hi_u32 v24, v3, v23
	v_mul_lo_u32 v25, v3, v20
	v_mul_hi_u32 v26, v3, v20
	v_mul_hi_u32 v27, v19, v23
	v_mul_lo_u32 v23, v19, v23
	v_mul_hi_u32 v28, v19, v20
	v_mul_lo_u32 v20, v19, v20
	v_add_co_u32 v24, vcc_lo, v24, v25
	v_add_co_ci_u32_e32 v25, vcc_lo, 0, v26, vcc_lo
	s_delay_alu instid0(VALU_DEP_2) | instskip(NEXT) | instid1(VALU_DEP_2)
	v_add_co_u32 v23, vcc_lo, v24, v23
	v_add_co_ci_u32_e32 v23, vcc_lo, v25, v27, vcc_lo
	v_add_co_ci_u32_e32 v24, vcc_lo, 0, v28, vcc_lo
	s_delay_alu instid0(VALU_DEP_2) | instskip(NEXT) | instid1(VALU_DEP_2)
	v_add_co_u32 v20, vcc_lo, v23, v20
	v_add_co_ci_u32_e32 v23, vcc_lo, 0, v24, vcc_lo
	s_delay_alu instid0(VALU_DEP_2) | instskip(NEXT) | instid1(VALU_DEP_2)
	v_add_co_u32 v3, vcc_lo, v3, v20
	v_add_co_ci_u32_e32 v27, vcc_lo, v19, v23, vcc_lo
	s_delay_alu instid0(VALU_DEP_2) | instskip(SKIP_1) | instid1(VALU_DEP_3)
	v_mul_hi_u32 v28, v17, v3
	v_mad_u64_u32 v[23:24], null, v18, v3, 0
	v_mad_u64_u32 v[19:20], null, v17, v27, 0
	;; [unrolled: 1-line block ×3, first 2 shown]
	s_delay_alu instid0(VALU_DEP_2) | instskip(NEXT) | instid1(VALU_DEP_3)
	v_add_co_u32 v3, vcc_lo, v28, v19
	v_add_co_ci_u32_e32 v19, vcc_lo, 0, v20, vcc_lo
	s_delay_alu instid0(VALU_DEP_2) | instskip(NEXT) | instid1(VALU_DEP_2)
	v_add_co_u32 v3, vcc_lo, v3, v23
	v_add_co_ci_u32_e32 v3, vcc_lo, v19, v24, vcc_lo
	v_add_co_ci_u32_e32 v19, vcc_lo, 0, v26, vcc_lo
	s_delay_alu instid0(VALU_DEP_2) | instskip(NEXT) | instid1(VALU_DEP_2)
	v_add_co_u32 v3, vcc_lo, v3, v25
	v_add_co_ci_u32_e32 v23, vcc_lo, 0, v19, vcc_lo
	s_delay_alu instid0(VALU_DEP_2) | instskip(SKIP_1) | instid1(VALU_DEP_3)
	v_mul_lo_u32 v24, s27, v3
	v_mad_u64_u32 v[19:20], null, s26, v3, 0
	v_mul_lo_u32 v25, s26, v23
	s_delay_alu instid0(VALU_DEP_2) | instskip(NEXT) | instid1(VALU_DEP_2)
	v_sub_co_u32 v19, vcc_lo, v17, v19
	v_add3_u32 v20, v20, v25, v24
	s_delay_alu instid0(VALU_DEP_1) | instskip(NEXT) | instid1(VALU_DEP_1)
	v_sub_nc_u32_e32 v24, v18, v20
	v_subrev_co_ci_u32_e64 v24, s0, s27, v24, vcc_lo
	v_add_co_u32 v25, s0, v3, 2
	s_delay_alu instid0(VALU_DEP_1) | instskip(SKIP_3) | instid1(VALU_DEP_3)
	v_add_co_ci_u32_e64 v26, s0, 0, v23, s0
	v_sub_co_u32 v27, s0, v19, s26
	v_sub_co_ci_u32_e32 v20, vcc_lo, v18, v20, vcc_lo
	v_subrev_co_ci_u32_e64 v24, s0, 0, v24, s0
	v_cmp_le_u32_e32 vcc_lo, s26, v27
	s_delay_alu instid0(VALU_DEP_3) | instskip(SKIP_1) | instid1(VALU_DEP_4)
	v_cmp_eq_u32_e64 s0, s27, v20
	v_cndmask_b32_e64 v27, 0, -1, vcc_lo
	v_cmp_le_u32_e32 vcc_lo, s27, v24
	v_cndmask_b32_e64 v28, 0, -1, vcc_lo
	v_cmp_le_u32_e32 vcc_lo, s26, v19
	;; [unrolled: 2-line block ×3, first 2 shown]
	v_cndmask_b32_e64 v29, 0, -1, vcc_lo
	v_cmp_eq_u32_e32 vcc_lo, s27, v24
	s_delay_alu instid0(VALU_DEP_2) | instskip(SKIP_3) | instid1(VALU_DEP_3)
	v_cndmask_b32_e64 v19, v29, v19, s0
	v_cndmask_b32_e32 v24, v28, v27, vcc_lo
	v_add_co_u32 v27, vcc_lo, v3, 1
	v_add_co_ci_u32_e32 v28, vcc_lo, 0, v23, vcc_lo
	v_cmp_ne_u32_e32 vcc_lo, 0, v24
	s_delay_alu instid0(VALU_DEP_2) | instskip(NEXT) | instid1(VALU_DEP_4)
	v_cndmask_b32_e32 v20, v28, v26, vcc_lo
	v_cndmask_b32_e32 v24, v27, v25, vcc_lo
	v_cmp_ne_u32_e32 vcc_lo, 0, v19
	s_delay_alu instid0(VALU_DEP_2) | instskip(NEXT) | instid1(VALU_DEP_4)
	v_cndmask_b32_e32 v19, v3, v24, vcc_lo
	v_cndmask_b32_e32 v20, v23, v20, vcc_lo
.LBB98_61:                              ;   in Loop: Header=BB98_59 Depth=2
	s_and_not1_saveexec_b32 s0, s43
	s_cbranch_execz .LBB98_58
; %bb.62:                               ;   in Loop: Header=BB98_59 Depth=2
	v_cvt_f32_u32_e32 v3, s26
	s_sub_i32 s43, 0, s26
	s_delay_alu instid0(VALU_DEP_1) | instskip(SKIP_2) | instid1(VALU_DEP_1)
	v_rcp_iflag_f32_e32 v3, v3
	s_waitcnt_depctr 0xfff
	v_mul_f32_e32 v3, 0x4f7ffffe, v3
	v_cvt_u32_f32_e32 v3, v3
	s_delay_alu instid0(VALU_DEP_1) | instskip(NEXT) | instid1(VALU_DEP_1)
	v_mul_lo_u32 v19, s43, v3
	v_mul_hi_u32 v19, v3, v19
	s_delay_alu instid0(VALU_DEP_1) | instskip(NEXT) | instid1(VALU_DEP_1)
	v_add_nc_u32_e32 v3, v3, v19
	v_mul_hi_u32 v3, v17, v3
	s_delay_alu instid0(VALU_DEP_1) | instskip(SKIP_1) | instid1(VALU_DEP_2)
	v_mul_lo_u32 v19, v3, s26
	v_add_nc_u32_e32 v20, 1, v3
	v_sub_nc_u32_e32 v19, v17, v19
	s_delay_alu instid0(VALU_DEP_1) | instskip(SKIP_1) | instid1(VALU_DEP_2)
	v_subrev_nc_u32_e32 v23, s26, v19
	v_cmp_le_u32_e32 vcc_lo, s26, v19
	v_cndmask_b32_e32 v19, v19, v23, vcc_lo
	v_cndmask_b32_e32 v3, v3, v20, vcc_lo
	s_delay_alu instid0(VALU_DEP_2) | instskip(NEXT) | instid1(VALU_DEP_2)
	v_cmp_le_u32_e32 vcc_lo, s26, v19
	v_add_nc_u32_e32 v20, 1, v3
	s_delay_alu instid0(VALU_DEP_1)
	v_dual_cndmask_b32 v19, v3, v20 :: v_dual_mov_b32 v20, v2
	s_branch .LBB98_58
.LBB98_63:                              ;   in Loop: Header=BB98_3 Depth=1
	s_delay_alu instid0(VALU_DEP_1) | instskip(SKIP_2) | instid1(VALU_DEP_1)
	v_mad_u64_u32 v[17:18], null, s14, v25, v[23:24]
	v_mul_lo_u32 v3, s14, v26
	v_mul_lo_u32 v23, s15, v25
	v_add3_u32 v18, v23, v18, v3
.LBB98_64:                              ;   in Loop: Header=BB98_3 Depth=1
	s_or_b32 exec_lo, exec_lo, s42
	v_mov_b32_e32 v25, 0
	v_mov_b32_e32 v26, 0
	s_and_saveexec_b32 s1, s0
	s_cbranch_execz .LBB98_67
; %bb.65:                               ;   in Loop: Header=BB98_3 Depth=1
	v_mov_b32_e32 v23, 0
	v_mov_b32_e32 v24, 0
	s_and_not1_b32 vcc_lo, exec_lo, s29
	s_mov_b64 s[24:25], s[22:23]
	s_mov_b32 s42, s34
	s_cbranch_vccz .LBB98_97
.LBB98_66:                              ;   in Loop: Header=BB98_3 Depth=1
	s_delay_alu instid0(VALU_DEP_1) | instskip(NEXT) | instid1(VALU_DEP_2)
	v_mad_u64_u32 v[25:26], null, s2, v21, v[23:24]
	v_mul_lo_u32 v3, s2, v22
	v_mul_lo_u32 v21, s3, v21
	s_delay_alu instid0(VALU_DEP_1)
	v_add3_u32 v26, v21, v26, v3
.LBB98_67:                              ;   in Loop: Header=BB98_3 Depth=1
	s_or_b32 exec_lo, exec_lo, s1
	v_lshlrev_b64 v[11:12], 2, v[11:12]
	v_lshlrev_b64 v[15:16], 2, v[15:16]
	;; [unrolled: 1-line block ×4, first 2 shown]
	s_delay_alu instid0(VALU_DEP_4)
	v_add_co_u32 v11, vcc_lo, s12, v11
	v_add_co_ci_u32_e32 v12, vcc_lo, s13, v12, vcc_lo
	v_add_co_u32 v15, vcc_lo, s12, v15
	v_add_co_ci_u32_e32 v16, vcc_lo, s13, v16, vcc_lo
	;; [unrolled: 2-line block ×4, first 2 shown]
	s_clause 0x3
	global_load_b32 v3, v[11:12], off
	global_load_b32 v33, v[15:16], off
	;; [unrolled: 1-line block ×4, first 2 shown]
	v_dual_mov_b32 v20, s9 :: v_dual_mov_b32 v19, s8
	v_dual_mov_b32 v22, s7 :: v_dual_mov_b32 v21, s6
	s_and_not1_b32 vcc_lo, exec_lo, s30
	s_cbranch_vccnz .LBB98_69
; %bb.68:                               ;   in Loop: Header=BB98_3 Depth=1
	v_dual_mov_b32 v12, s9 :: v_dual_mov_b32 v11, s8
	v_dual_mov_b32 v16, s7 :: v_dual_mov_b32 v15, s6
	flat_load_b64 v[11:12], v[11:12]
	flat_load_b64 v[21:22], v[15:16]
	s_waitcnt vmcnt(1) lgkmcnt(1)
	v_add_co_u32 v19, vcc_lo, v11, s10
	v_add_co_ci_u32_e32 v20, vcc_lo, s11, v12, vcc_lo
.LBB98_69:                              ;   in Loop: Header=BB98_3 Depth=1
	s_delay_alu instid0(VALU_DEP_1)
	v_alignbit_b32 v23, v20, v19, 2
	v_lshrrev_b32_e32 v15, 2, v20
	s_waitcnt vmcnt(0) lgkmcnt(0)
	v_add_nc_u32_e32 v36, 0x9e3779b9, v21
	v_add_nc_u32_e32 v38, 0x3c6ef372, v21
	;; [unrolled: 1-line block ×3, first 2 shown]
	v_add_co_u32 v16, vcc_lo, v23, 1
	s_delay_alu instid0(VALU_DEP_1) | instskip(SKIP_4) | instid1(VALU_DEP_4)
	v_cndmask_b32_e64 v11, 0, 1, vcc_lo
	v_add_co_ci_u32_e32 v20, vcc_lo, 0, v15, vcc_lo
	v_xor3_b32 v25, v0, v21, v15
	v_add_nc_u32_e32 v40, 0x32370b8f, v22
	v_add_nc_u32_e32 v41, 0xed9eba14, v22
	v_cmp_eq_u32_e32 vcc_lo, 0, v20
	v_add_nc_u32_e32 v42, 0x646e171e, v22
	v_add_nc_u32_e32 v43, 0x1fd5c5a3, v22
	s_mov_b32 s0, exec_lo
	v_dual_cndmask_b32 v24, 0, v11 :: v_dual_add_nc_u32 v37, 0xbb67ae85, v22
	v_mad_u64_u32 v[11:12], null, 0xd2511f53, v16, 0
	v_mad_u64_u32 v[15:16], null, 0xd2511f53, v23, 0
	s_delay_alu instid0(VALU_DEP_3) | instskip(NEXT) | instid1(VALU_DEP_3)
	v_add_nc_u32_e32 v27, v24, v1
	v_xor_b32_e32 v12, v12, v22
	s_delay_alu instid0(VALU_DEP_2) | instskip(SKIP_1) | instid1(VALU_DEP_1)
	v_cmp_eq_u32_e32 vcc_lo, 0, v27
	v_cndmask_b32_e32 v24, 0, v24, vcc_lo
	v_xor_b32_e32 v12, v24, v12
	v_mad_u64_u32 v[23:24], null, 0xd2511f53, v25, 0
	v_mad_u64_u32 v[25:26], null, 0xcd9e8d57, v27, 0
	s_delay_alu instid0(VALU_DEP_3) | instskip(SKIP_1) | instid1(VALU_DEP_4)
	v_mad_u64_u32 v[27:28], null, 0xcd9e8d57, v12, 0
	v_xor_b32_e32 v12, v16, v22
	v_xor3_b32 v29, v37, v24, v15
	s_delay_alu instid0(VALU_DEP_2) | instskip(SKIP_2) | instid1(VALU_DEP_4)
	v_mad_u64_u32 v[15:16], null, 0xcd9e8d57, v12, 0
	v_xor3_b32 v12, v26, v21, v20
	v_xor3_b32 v20, v36, v28, v25
	v_mad_u64_u32 v[24:25], null, 0xcd9e8d57, v29, 0
	s_delay_alu instid0(VALU_DEP_3) | instskip(NEXT) | instid1(VALU_DEP_3)
	v_mad_u64_u32 v[28:29], null, 0xd2511f53, v12, 0
	v_mad_u64_u32 v[30:31], null, 0xd2511f53, v20, 0
	v_xor3_b32 v12, v6, v16, v36
	s_delay_alu instid0(VALU_DEP_4) | instskip(SKIP_2) | instid1(VALU_DEP_4)
	v_xor3_b32 v25, v38, v25, v15
	v_add_nc_u32_e32 v20, 0xdaa66d2b, v21
	v_xor3_b32 v29, v37, v29, v11
	v_mad_u64_u32 v[15:16], null, 0xd2511f53, v12, 0
	v_xor3_b32 v31, v39, v31, v28
	v_mad_u64_u32 v[11:12], null, 0xd2511f53, v25, 0
	s_delay_alu instid0(VALU_DEP_4) | instskip(NEXT) | instid1(VALU_DEP_3)
	v_mad_u64_u32 v[25:26], null, 0xcd9e8d57, v29, 0
	v_mad_u64_u32 v[28:29], null, 0xcd9e8d57, v31, 0
	v_xor3_b32 v23, v39, v16, v23
	v_add_nc_u32_e32 v31, 0x78dde6e4, v21
	v_xor3_b32 v12, v40, v12, v15
	s_delay_alu instid0(VALU_DEP_3) | instskip(SKIP_2) | instid1(VALU_DEP_4)
	v_mad_u64_u32 v[15:16], null, 0xcd9e8d57, v23, 0
	v_xor3_b32 v23, v38, v26, v27
	v_xor3_b32 v27, v20, v29, v25
	v_mad_u64_u32 v[25:26], null, 0xcd9e8d57, v12, 0
	s_delay_alu instid0(VALU_DEP_3) | instskip(NEXT) | instid1(VALU_DEP_3)
	v_mad_u64_u32 v[36:37], null, 0xd2511f53, v23, 0
	v_mad_u64_u32 v[38:39], null, 0xd2511f53, v27, 0
	v_xor3_b32 v12, v20, v16, v24
	s_delay_alu instid0(VALU_DEP_4) | instskip(SKIP_2) | instid1(VALU_DEP_4)
	v_xor3_b32 v23, v31, v26, v15
	v_add_nc_u32_e32 v20, 0x1715609d, v21
	v_add_nc_u32_e32 v27, 0xa9066899, v22
	v_mad_u64_u32 v[15:16], null, 0xd2511f53, v12, 0
	v_xor3_b32 v12, v40, v37, v30
	v_xor3_b32 v26, v41, v39, v36
	v_mad_u64_u32 v[29:30], null, 0xd2511f53, v23, 0
	s_delay_alu instid0(VALU_DEP_3) | instskip(NEXT) | instid1(VALU_DEP_3)
	v_mad_u64_u32 v[23:24], null, 0xcd9e8d57, v12, 0
	v_mad_u64_u32 v[36:37], null, 0xcd9e8d57, v26, 0
	v_xor3_b32 v16, v41, v16, v11
	s_delay_alu instid0(VALU_DEP_4) | instskip(SKIP_2) | instid1(VALU_DEP_4)
	v_xor3_b32 v26, v27, v30, v15
	v_add_nc_u32_e32 v41, 0xb54cda56, v21
	v_xor3_b32 v28, v31, v24, v28
	v_mad_u64_u32 v[11:12], null, 0xcd9e8d57, v16, 0
	v_xor3_b32 v30, v20, v37, v23
	v_mad_u64_u32 v[15:16], null, 0xcd9e8d57, v26, 0
	s_delay_alu instid0(VALU_DEP_4) | instskip(NEXT) | instid1(VALU_DEP_3)
	v_mad_u64_u32 v[23:24], null, 0xd2511f53, v28, 0
	v_mad_u64_u32 v[39:40], null, 0xd2511f53, v30, 0
	v_xor3_b32 v20, v20, v12, v25
	v_add_nc_u32_e32 v28, 0x5384540f, v21
	v_xor3_b32 v16, v41, v16, v11
	v_add_nc_u32_e32 v37, 0xdb3d7428, v22
	s_delay_alu instid0(VALU_DEP_4) | instskip(SKIP_4) | instid1(VALU_DEP_4)
	v_mad_u64_u32 v[11:12], null, 0xd2511f53, v20, 0
	v_xor3_b32 v20, v27, v24, v38
	v_xor3_b32 v25, v42, v40, v23
	v_mad_u64_u32 v[23:24], null, 0xd2511f53, v16, 0
	v_add_nc_u32_e32 v38, 0x96a522ad, v22
	v_mad_u64_u32 v[30:31], null, 0xcd9e8d57, v20, 0
	s_delay_alu instid0(VALU_DEP_4) | instskip(SKIP_3) | instid1(VALU_DEP_3)
	v_mad_u64_u32 v[26:27], null, 0xcd9e8d57, v25, 0
	v_xor3_b32 v16, v42, v12, v29
	v_xor3_b32 v29, v43, v24, v11
	v_add_co_u32 v20, null, 0xf1bbcdc8, v21
	v_mad_u64_u32 v[11:12], null, 0xcd9e8d57, v16, 0
	v_xor3_b32 v16, v41, v31, v36
	v_xor3_b32 v27, v28, v27, v30
	v_mad_u64_u32 v[24:25], null, 0xcd9e8d57, v29, 0
	v_and_b32_e32 v36, 3, v19
	s_delay_alu instid0(VALU_DEP_4) | instskip(NEXT) | instid1(VALU_DEP_4)
	v_mad_u64_u32 v[40:41], null, 0xd2511f53, v16, 0
	v_mad_u64_u32 v[29:30], null, 0xd2511f53, v27, 0
	v_xor3_b32 v12, v28, v12, v15
	v_xor3_b32 v15, v20, v25, v11
	s_delay_alu instid0(VALU_DEP_4) | instskip(NEXT) | instid1(VALU_DEP_3)
	v_xor3_b32 v16, v43, v41, v39
	v_mad_u64_u32 v[27:28], null, 0xd2511f53, v12, 0
	v_xor3_b32 v25, v37, v30, v40
	s_delay_alu instid0(VALU_DEP_4) | instskip(NEXT) | instid1(VALU_DEP_4)
	v_mad_u64_u32 v[11:12], null, 0xd2511f53, v15, 0
	v_mad_u64_u32 v[30:31], null, 0xcd9e8d57, v16, 0
	s_delay_alu instid0(VALU_DEP_3) | instskip(SKIP_1) | instid1(VALU_DEP_4)
	v_mad_u64_u32 v[15:16], null, 0xcd9e8d57, v25, 0
	v_add_nc_u32_e32 v25, 0x8ff34781, v21
                                        ; implicit-def: $vgpr21
	v_xor3_b32 v22, v12, v27, v38
	s_delay_alu instid0(VALU_DEP_2)
	v_xor3_b32 v12, v16, v30, v25
	v_cmpx_lt_i32_e32 1, v36
	s_xor_b32 s0, exec_lo, s0
	s_cbranch_execz .LBB98_75
; %bb.70:                               ;   in Loop: Header=BB98_3 Depth=1
	s_mov_b32 s1, exec_lo
                                        ; implicit-def: $vgpr21
	v_cmpx_lt_i32_e32 2, v36
	s_xor_b32 s1, exec_lo, s1
; %bb.71:                               ;   in Loop: Header=BB98_3 Depth=1
	v_xor3_b32 v16, v20, v31, v26
                                        ; implicit-def: $vgpr22
	s_delay_alu instid0(VALU_DEP_1) | instskip(NEXT) | instid1(VALU_DEP_1)
	v_mul_hi_u32 v16, 0xd2511f53, v16
	v_xor3_b32 v21, v16, v29, v38
; %bb.72:                               ;   in Loop: Header=BB98_3 Depth=1
	s_and_not1_saveexec_b32 s1, s1
; %bb.73:                               ;   in Loop: Header=BB98_3 Depth=1
	v_mov_b32_e32 v21, v15
	v_dual_mov_b32 v15, v12 :: v_dual_mov_b32 v12, v11
	v_mov_b32_e32 v11, v22
; %bb.74:                               ;   in Loop: Header=BB98_3 Depth=1
	s_or_b32 exec_lo, exec_lo, s1
                                        ; implicit-def: $vgpr23_vgpr24
                                        ; implicit-def: $vgpr36
                                        ; implicit-def: $vgpr22
                                        ; implicit-def: $vgpr37
                                        ; implicit-def: $vgpr27_vgpr28
                                        ; implicit-def: $vgpr24_vgpr25
                                        ; implicit-def: $vgpr25
.LBB98_75:                              ;   in Loop: Header=BB98_3 Depth=1
	s_and_not1_saveexec_b32 s0, s0
	s_cbranch_execz .LBB98_79
; %bb.76:                               ;   in Loop: Header=BB98_3 Depth=1
	v_xor3_b32 v15, v37, v28, v23
	v_mov_b32_e32 v21, v11
	s_mov_b32 s1, exec_lo
	s_delay_alu instid0(VALU_DEP_2) | instskip(NEXT) | instid1(VALU_DEP_1)
	v_mad_u64_u32 v[19:20], null, 0xcd9e8d57, v15, 0
	v_dual_mov_b32 v15, v22 :: v_dual_mov_b32 v16, v19
	s_delay_alu instid0(VALU_DEP_2)
	v_xor3_b32 v20, v20, v24, v25
	v_cmpx_eq_u32_e32 1, v36
; %bb.77:                               ;   in Loop: Header=BB98_3 Depth=1
	v_dual_mov_b32 v21, v12 :: v_dual_mov_b32 v16, v22
	v_mov_b32_e32 v15, v11
	v_mov_b32_e32 v20, v19
; %bb.78:                               ;   in Loop: Header=BB98_3 Depth=1
	s_or_b32 exec_lo, exec_lo, s1
	s_delay_alu instid0(VALU_DEP_1)
	v_mov_b32_e32 v11, v20
	v_mov_b32_e32 v12, v16
.LBB98_79:                              ;   in Loop: Header=BB98_3 Depth=1
	s_or_b32 exec_lo, exec_lo, s0
	v_min_i32_e32 v16, 4, v32
	s_mov_b32 s1, 0
	s_mov_b32 s43, 0
	;; [unrolled: 1-line block ×3, first 2 shown]
                                        ; implicit-def: $sgpr25
                                        ; implicit-def: $sgpr26
                                        ; implicit-def: $sgpr27
	s_mov_b32 s0, exec_lo
	v_cmpx_lt_i32_e32 2, v16
	s_xor_b32 s42, exec_lo, s0
	s_cbranch_execz .LBB98_91
; %bb.80:                               ;   in Loop: Header=BB98_3 Depth=1
	s_mov_b32 s0, -1
	s_mov_b32 s44, 0
	s_mov_b32 s26, exec_lo
                                        ; implicit-def: $sgpr24
                                        ; implicit-def: $sgpr25
	v_cmpx_lt_i32_e32 3, v16
	s_cbranch_execz .LBB98_86
; %bb.81:                               ;   in Loop: Header=BB98_3 Depth=1
	s_mov_b32 s0, 0
	s_mov_b32 s44, -1
	s_mov_b32 s27, exec_lo
                                        ; implicit-def: $sgpr24
                                        ; implicit-def: $sgpr25
	v_cmpx_eq_u32_e32 4, v16
	s_cbranch_execz .LBB98_85
; %bb.82:                               ;   in Loop: Header=BB98_3 Depth=1
	v_cmp_le_f32_e32 vcc_lo, 0, v35
	v_cmp_ge_f32_e64 s0, 1.0, v35
	s_mov_b32 s24, 0
	s_delay_alu instid0(VALU_DEP_1)
	s_and_b32 s44, vcc_lo, s0
	s_mov_b32 s0, 0
	s_and_saveexec_b32 s25, s44
	s_cbranch_execz .LBB98_84
; %bb.83:                               ;   in Loop: Header=BB98_3 Depth=1
	v_cvt_f32_u32_e32 v19, v21
	v_lshlrev_b64 v[17:18], 1, v[17:18]
	s_mov_b32 s0, exec_lo
	s_delay_alu instid0(VALU_DEP_2) | instskip(NEXT) | instid1(VALU_DEP_2)
	v_fmaak_f32 v19, 0x2f800000, v19, 0x2f800000
	v_add_co_u32 v17, vcc_lo, s16, v17
	s_delay_alu instid0(VALU_DEP_3) | instskip(NEXT) | instid1(VALU_DEP_3)
	v_add_co_ci_u32_e32 v18, vcc_lo, s17, v18, vcc_lo
	v_cmp_le_f32_e32 vcc_lo, v19, v35
	v_cndmask_b32_e64 v19, 0, 0x3c00, vcc_lo
	global_store_b16 v[17:18], v19, off
.LBB98_84:                              ;   in Loop: Header=BB98_3 Depth=1
	s_or_b32 exec_lo, exec_lo, s25
	s_mov_b32 s25, -1
	s_xor_b32 s44, exec_lo, -1
	s_and_b32 s0, s0, exec_lo
.LBB98_85:                              ;   in Loop: Header=BB98_3 Depth=1
	s_or_b32 exec_lo, exec_lo, s27
	s_delay_alu instid0(SALU_CYCLE_1)
	s_and_b32 s44, s44, exec_lo
	s_or_not1_b32 s0, s0, exec_lo
.LBB98_86:                              ;   in Loop: Header=BB98_3 Depth=1
	s_or_b32 exec_lo, exec_lo, s26
	s_mov_b32 s27, s24
	s_and_saveexec_b32 s26, s0
	s_cbranch_execz .LBB98_90
; %bb.87:                               ;   in Loop: Header=BB98_3 Depth=1
	v_cmp_le_f32_e32 vcc_lo, 0, v34
	v_cmp_ge_f32_e64 s0, 1.0, v34
	s_delay_alu instid0(VALU_DEP_1) | instskip(SKIP_2) | instid1(SALU_CYCLE_1)
	s_and_b32 s27, vcc_lo, s0
	s_mov_b32 s0, 0
	s_and_saveexec_b32 s43, s27
	s_xor_b32 s27, exec_lo, s43
	s_cbranch_execz .LBB98_89
; %bb.88:                               ;   in Loop: Header=BB98_3 Depth=1
	v_cvt_f32_u32_e32 v15, v15
	v_lshlrev_b64 v[13:14], 1, v[13:14]
	s_mov_b32 s0, exec_lo
	s_delay_alu instid0(VALU_DEP_2) | instskip(NEXT) | instid1(VALU_DEP_2)
	v_fmaak_f32 v15, 0x2f800000, v15, 0x2f800000
	v_add_co_u32 v13, vcc_lo, s16, v13
	s_delay_alu instid0(VALU_DEP_3) | instskip(NEXT) | instid1(VALU_DEP_3)
	v_add_co_ci_u32_e32 v14, vcc_lo, s17, v14, vcc_lo
	v_cmp_le_f32_e32 vcc_lo, v15, v34
	v_cndmask_b32_e64 v15, 0, 0x3c00, vcc_lo
	global_store_b16 v[13:14], v15, off
.LBB98_89:                              ;   in Loop: Header=BB98_3 Depth=1
	s_or_b32 exec_lo, exec_lo, s27
	s_delay_alu instid0(SALU_CYCLE_1)
	s_and_not1_b32 s27, s24, exec_lo
	s_or_b32 s24, s24, exec_lo
	s_and_not1_b32 s25, s25, exec_lo
	s_and_b32 s43, s0, exec_lo
.LBB98_90:                              ;   in Loop: Header=BB98_3 Depth=1
	s_or_b32 exec_lo, exec_lo, s26
	s_delay_alu instid0(SALU_CYCLE_1)
	s_and_b32 s27, s27, exec_lo
	s_and_b32 s26, s24, exec_lo
	;; [unrolled: 1-line block ×5, first 2 shown]
.LBB98_91:                              ;   in Loop: Header=BB98_3 Depth=1
	s_and_not1_saveexec_b32 s0, s42
; %bb.92:                               ;   in Loop: Header=BB98_3 Depth=1
	v_cmp_lt_i32_e32 vcc_lo, 1, v16
	s_and_not1_b32 s42, s43, exec_lo
	s_mov_b32 s1, exec_lo
	s_and_not1_b32 s27, s27, exec_lo
	s_and_not1_b32 s26, s26, exec_lo
	s_and_b32 s43, vcc_lo, exec_lo
	s_and_not1_b32 s25, s25, exec_lo
	s_or_b32 s43, s42, s43
; %bb.93:                               ;   in Loop: Header=BB98_3 Depth=1
	s_or_b32 exec_lo, exec_lo, s0
	s_mov_b32 s0, 0
	s_mov_b32 s42, s27
	s_and_saveexec_b32 s44, s43
	s_cbranch_execnz .LBB98_101
; %bb.94:                               ;   in Loop: Header=BB98_3 Depth=1
	s_or_b32 exec_lo, exec_lo, s44
	s_and_saveexec_b32 s43, s1
	s_cbranch_execnz .LBB98_104
.LBB98_95:                              ;   in Loop: Header=BB98_3 Depth=1
	s_or_b32 exec_lo, exec_lo, s43
	s_and_saveexec_b32 s1, s0
	s_cbranch_execnz .LBB98_105
	s_branch .LBB98_108
.LBB98_96:                              ;   in Loop: Header=BB98_97 Depth=2
	s_or_b32 exec_lo, exec_lo, s0
	s_load_b64 s[44:45], s[24:25], 0xc8
	s_delay_alu instid0(VALU_DEP_1)
	v_mul_lo_u32 v3, v26, s26
	v_mul_lo_u32 v29, v25, s27
	v_mad_u64_u32 v[27:28], null, v25, s26, 0
	s_add_i32 s42, s42, -1
	s_add_u32 s24, s24, -8
	s_addc_u32 s25, s25, -1
	s_cmp_gt_u32 s42, 2
	s_delay_alu instid0(VALU_DEP_1) | instskip(NEXT) | instid1(VALU_DEP_2)
	v_add3_u32 v3, v28, v29, v3
	v_sub_co_u32 v27, vcc_lo, v21, v27
	s_delay_alu instid0(VALU_DEP_2) | instskip(SKIP_1) | instid1(VALU_DEP_2)
	v_sub_co_ci_u32_e32 v3, vcc_lo, v22, v3, vcc_lo
	s_waitcnt lgkmcnt(0)
	v_mul_lo_u32 v28, s45, v27
	s_delay_alu instid0(VALU_DEP_2) | instskip(SKIP_1) | instid1(VALU_DEP_1)
	v_mul_lo_u32 v3, s44, v3
	v_mad_u64_u32 v[21:22], null, s44, v27, v[23:24]
	v_add3_u32 v24, v28, v22, v3
	s_delay_alu instid0(VALU_DEP_2)
	v_mov_b32_e32 v23, v21
	v_dual_mov_b32 v21, v25 :: v_dual_mov_b32 v22, v26
	s_cbranch_scc0 .LBB98_66
.LBB98_97:                              ;   Parent Loop BB98_3 Depth=1
                                        ; =>  This Inner Loop Header: Depth=2
	s_load_b64 s[26:27], s[24:25], 0x0
                                        ; implicit-def: $vgpr25_vgpr26
	s_mov_b32 s0, exec_lo
	s_waitcnt lgkmcnt(0)
	v_or_b32_e32 v3, s27, v22
	s_delay_alu instid0(VALU_DEP_1)
	v_cmpx_ne_u64_e32 0, v[2:3]
	s_xor_b32 s43, exec_lo, s0
	s_cbranch_execz .LBB98_99
; %bb.98:                               ;   in Loop: Header=BB98_97 Depth=2
	v_cvt_f32_u32_e32 v3, s26
	v_cvt_f32_u32_e32 v25, s27
	s_sub_u32 s0, 0, s26
	s_subb_u32 s44, 0, s27
	s_delay_alu instid0(VALU_DEP_1) | instskip(NEXT) | instid1(VALU_DEP_1)
	v_fmac_f32_e32 v3, 0x4f800000, v25
	v_rcp_f32_e32 v3, v3
	s_waitcnt_depctr 0xfff
	v_mul_f32_e32 v3, 0x5f7ffffc, v3
	s_delay_alu instid0(VALU_DEP_1) | instskip(NEXT) | instid1(VALU_DEP_1)
	v_mul_f32_e32 v25, 0x2f800000, v3
	v_trunc_f32_e32 v25, v25
	s_delay_alu instid0(VALU_DEP_1) | instskip(SKIP_1) | instid1(VALU_DEP_2)
	v_fmac_f32_e32 v3, 0xcf800000, v25
	v_cvt_u32_f32_e32 v25, v25
	v_cvt_u32_f32_e32 v3, v3
	s_delay_alu instid0(VALU_DEP_2) | instskip(NEXT) | instid1(VALU_DEP_2)
	v_mul_lo_u32 v26, s0, v25
	v_mul_hi_u32 v27, s0, v3
	v_mul_lo_u32 v28, s44, v3
	s_delay_alu instid0(VALU_DEP_2) | instskip(SKIP_1) | instid1(VALU_DEP_2)
	v_add_nc_u32_e32 v26, v27, v26
	v_mul_lo_u32 v27, s0, v3
	v_add_nc_u32_e32 v26, v26, v28
	s_delay_alu instid0(VALU_DEP_2) | instskip(NEXT) | instid1(VALU_DEP_2)
	v_mul_hi_u32 v28, v3, v27
	v_mul_lo_u32 v29, v3, v26
	v_mul_hi_u32 v30, v3, v26
	v_mul_hi_u32 v31, v25, v27
	v_mul_lo_u32 v27, v25, v27
	v_mul_hi_u32 v33, v25, v26
	v_mul_lo_u32 v26, v25, v26
	v_add_co_u32 v28, vcc_lo, v28, v29
	v_add_co_ci_u32_e32 v29, vcc_lo, 0, v30, vcc_lo
	s_delay_alu instid0(VALU_DEP_2) | instskip(NEXT) | instid1(VALU_DEP_2)
	v_add_co_u32 v27, vcc_lo, v28, v27
	v_add_co_ci_u32_e32 v27, vcc_lo, v29, v31, vcc_lo
	v_add_co_ci_u32_e32 v28, vcc_lo, 0, v33, vcc_lo
	s_delay_alu instid0(VALU_DEP_2) | instskip(NEXT) | instid1(VALU_DEP_2)
	v_add_co_u32 v26, vcc_lo, v27, v26
	v_add_co_ci_u32_e32 v27, vcc_lo, 0, v28, vcc_lo
	s_delay_alu instid0(VALU_DEP_2) | instskip(NEXT) | instid1(VALU_DEP_2)
	v_add_co_u32 v3, vcc_lo, v3, v26
	v_add_co_ci_u32_e32 v25, vcc_lo, v25, v27, vcc_lo
	s_delay_alu instid0(VALU_DEP_2) | instskip(SKIP_1) | instid1(VALU_DEP_3)
	v_mul_hi_u32 v26, s0, v3
	v_mul_lo_u32 v28, s44, v3
	v_mul_lo_u32 v27, s0, v25
	s_delay_alu instid0(VALU_DEP_1) | instskip(SKIP_1) | instid1(VALU_DEP_2)
	v_add_nc_u32_e32 v26, v26, v27
	v_mul_lo_u32 v27, s0, v3
	v_add_nc_u32_e32 v26, v26, v28
	s_delay_alu instid0(VALU_DEP_2) | instskip(NEXT) | instid1(VALU_DEP_2)
	v_mul_hi_u32 v28, v3, v27
	v_mul_lo_u32 v29, v3, v26
	v_mul_hi_u32 v30, v3, v26
	v_mul_hi_u32 v31, v25, v27
	v_mul_lo_u32 v27, v25, v27
	v_mul_hi_u32 v33, v25, v26
	v_mul_lo_u32 v26, v25, v26
	v_add_co_u32 v28, vcc_lo, v28, v29
	v_add_co_ci_u32_e32 v29, vcc_lo, 0, v30, vcc_lo
	s_delay_alu instid0(VALU_DEP_2) | instskip(NEXT) | instid1(VALU_DEP_2)
	v_add_co_u32 v27, vcc_lo, v28, v27
	v_add_co_ci_u32_e32 v27, vcc_lo, v29, v31, vcc_lo
	v_add_co_ci_u32_e32 v28, vcc_lo, 0, v33, vcc_lo
	s_delay_alu instid0(VALU_DEP_2) | instskip(NEXT) | instid1(VALU_DEP_2)
	v_add_co_u32 v26, vcc_lo, v27, v26
	v_add_co_ci_u32_e32 v27, vcc_lo, 0, v28, vcc_lo
	s_delay_alu instid0(VALU_DEP_2) | instskip(NEXT) | instid1(VALU_DEP_2)
	v_add_co_u32 v3, vcc_lo, v3, v26
	v_add_co_ci_u32_e32 v31, vcc_lo, v25, v27, vcc_lo
	s_delay_alu instid0(VALU_DEP_2) | instskip(SKIP_1) | instid1(VALU_DEP_3)
	v_mul_hi_u32 v33, v21, v3
	v_mad_u64_u32 v[27:28], null, v22, v3, 0
	v_mad_u64_u32 v[25:26], null, v21, v31, 0
	;; [unrolled: 1-line block ×3, first 2 shown]
	s_delay_alu instid0(VALU_DEP_2) | instskip(NEXT) | instid1(VALU_DEP_3)
	v_add_co_u32 v3, vcc_lo, v33, v25
	v_add_co_ci_u32_e32 v25, vcc_lo, 0, v26, vcc_lo
	s_delay_alu instid0(VALU_DEP_2) | instskip(NEXT) | instid1(VALU_DEP_2)
	v_add_co_u32 v3, vcc_lo, v3, v27
	v_add_co_ci_u32_e32 v3, vcc_lo, v25, v28, vcc_lo
	v_add_co_ci_u32_e32 v25, vcc_lo, 0, v30, vcc_lo
	s_delay_alu instid0(VALU_DEP_2) | instskip(NEXT) | instid1(VALU_DEP_2)
	v_add_co_u32 v3, vcc_lo, v3, v29
	v_add_co_ci_u32_e32 v27, vcc_lo, 0, v25, vcc_lo
	s_delay_alu instid0(VALU_DEP_2) | instskip(SKIP_1) | instid1(VALU_DEP_3)
	v_mul_lo_u32 v28, s27, v3
	v_mad_u64_u32 v[25:26], null, s26, v3, 0
	v_mul_lo_u32 v29, s26, v27
	s_delay_alu instid0(VALU_DEP_2) | instskip(NEXT) | instid1(VALU_DEP_2)
	v_sub_co_u32 v25, vcc_lo, v21, v25
	v_add3_u32 v26, v26, v29, v28
	s_delay_alu instid0(VALU_DEP_1) | instskip(NEXT) | instid1(VALU_DEP_1)
	v_sub_nc_u32_e32 v28, v22, v26
	v_subrev_co_ci_u32_e64 v28, s0, s27, v28, vcc_lo
	v_add_co_u32 v29, s0, v3, 2
	s_delay_alu instid0(VALU_DEP_1) | instskip(SKIP_3) | instid1(VALU_DEP_3)
	v_add_co_ci_u32_e64 v30, s0, 0, v27, s0
	v_sub_co_u32 v31, s0, v25, s26
	v_sub_co_ci_u32_e32 v26, vcc_lo, v22, v26, vcc_lo
	v_subrev_co_ci_u32_e64 v28, s0, 0, v28, s0
	v_cmp_le_u32_e32 vcc_lo, s26, v31
	s_delay_alu instid0(VALU_DEP_3) | instskip(SKIP_1) | instid1(VALU_DEP_4)
	v_cmp_eq_u32_e64 s0, s27, v26
	v_cndmask_b32_e64 v31, 0, -1, vcc_lo
	v_cmp_le_u32_e32 vcc_lo, s27, v28
	v_cndmask_b32_e64 v33, 0, -1, vcc_lo
	v_cmp_le_u32_e32 vcc_lo, s26, v25
	v_cndmask_b32_e64 v25, 0, -1, vcc_lo
	v_cmp_le_u32_e32 vcc_lo, s27, v26
	v_cndmask_b32_e64 v34, 0, -1, vcc_lo
	v_cmp_eq_u32_e32 vcc_lo, s27, v28
	s_delay_alu instid0(VALU_DEP_2) | instskip(SKIP_3) | instid1(VALU_DEP_3)
	v_cndmask_b32_e64 v25, v34, v25, s0
	v_cndmask_b32_e32 v28, v33, v31, vcc_lo
	v_add_co_u32 v31, vcc_lo, v3, 1
	v_add_co_ci_u32_e32 v33, vcc_lo, 0, v27, vcc_lo
	v_cmp_ne_u32_e32 vcc_lo, 0, v28
	s_delay_alu instid0(VALU_DEP_3) | instskip(NEXT) | instid1(VALU_DEP_3)
	v_cndmask_b32_e32 v28, v31, v29, vcc_lo
	v_cndmask_b32_e32 v26, v33, v30, vcc_lo
	v_cmp_ne_u32_e32 vcc_lo, 0, v25
	s_delay_alu instid0(VALU_DEP_3) | instskip(NEXT) | instid1(VALU_DEP_3)
	v_cndmask_b32_e32 v25, v3, v28, vcc_lo
	v_cndmask_b32_e32 v26, v27, v26, vcc_lo
.LBB98_99:                              ;   in Loop: Header=BB98_97 Depth=2
	s_and_not1_saveexec_b32 s0, s43
	s_cbranch_execz .LBB98_96
; %bb.100:                              ;   in Loop: Header=BB98_97 Depth=2
	v_cvt_f32_u32_e32 v3, s26
	s_sub_i32 s43, 0, s26
	s_delay_alu instid0(VALU_DEP_1) | instskip(SKIP_2) | instid1(VALU_DEP_1)
	v_rcp_iflag_f32_e32 v3, v3
	s_waitcnt_depctr 0xfff
	v_mul_f32_e32 v3, 0x4f7ffffe, v3
	v_cvt_u32_f32_e32 v3, v3
	s_delay_alu instid0(VALU_DEP_1) | instskip(NEXT) | instid1(VALU_DEP_1)
	v_mul_lo_u32 v25, s43, v3
	v_mul_hi_u32 v25, v3, v25
	s_delay_alu instid0(VALU_DEP_1) | instskip(NEXT) | instid1(VALU_DEP_1)
	v_add_nc_u32_e32 v3, v3, v25
	v_mul_hi_u32 v3, v21, v3
	s_delay_alu instid0(VALU_DEP_1) | instskip(SKIP_1) | instid1(VALU_DEP_2)
	v_mul_lo_u32 v25, v3, s26
	v_add_nc_u32_e32 v26, 1, v3
	v_sub_nc_u32_e32 v25, v21, v25
	s_delay_alu instid0(VALU_DEP_1) | instskip(SKIP_1) | instid1(VALU_DEP_2)
	v_subrev_nc_u32_e32 v27, s26, v25
	v_cmp_le_u32_e32 vcc_lo, s26, v25
	v_cndmask_b32_e32 v25, v25, v27, vcc_lo
	v_cndmask_b32_e32 v3, v3, v26, vcc_lo
	s_delay_alu instid0(VALU_DEP_2) | instskip(NEXT) | instid1(VALU_DEP_2)
	v_cmp_le_u32_e32 vcc_lo, s26, v25
	v_add_nc_u32_e32 v26, 1, v3
	s_delay_alu instid0(VALU_DEP_1)
	v_dual_cndmask_b32 v25, v3, v26 :: v_dual_mov_b32 v26, v2
	s_branch .LBB98_96
.LBB98_101:                             ;   in Loop: Header=BB98_3 Depth=1
	v_cmp_le_f32_e32 vcc_lo, 0, v33
	v_cmp_ge_f32_e64 s0, 1.0, v33
	s_delay_alu instid0(VALU_DEP_1) | instskip(SKIP_2) | instid1(SALU_CYCLE_1)
	s_and_b32 s42, vcc_lo, s0
	s_mov_b32 s0, 0
	s_and_saveexec_b32 s43, s42
	s_xor_b32 s42, exec_lo, s43
	s_cbranch_execz .LBB98_103
; %bb.102:                              ;   in Loop: Header=BB98_3 Depth=1
	v_cvt_f32_u32_e32 v12, v12
	v_lshlrev_b64 v[9:10], 1, v[9:10]
	s_mov_b32 s0, exec_lo
	s_delay_alu instid0(VALU_DEP_2) | instskip(NEXT) | instid1(VALU_DEP_2)
	v_fmaak_f32 v12, 0x2f800000, v12, 0x2f800000
	v_add_co_u32 v9, vcc_lo, s16, v9
	s_delay_alu instid0(VALU_DEP_3) | instskip(NEXT) | instid1(VALU_DEP_3)
	v_add_co_ci_u32_e32 v10, vcc_lo, s17, v10, vcc_lo
	v_cmp_le_f32_e32 vcc_lo, v12, v33
	v_cndmask_b32_e64 v12, 0, 0x3c00, vcc_lo
	global_store_b16 v[9:10], v12, off
.LBB98_103:                             ;   in Loop: Header=BB98_3 Depth=1
	s_or_b32 exec_lo, exec_lo, s42
	s_delay_alu instid0(SALU_CYCLE_1)
	s_and_not1_b32 s42, s27, exec_lo
	s_or_b32 s27, s27, exec_lo
	s_and_not1_b32 s26, s26, exec_lo
	s_and_not1_b32 s25, s25, exec_lo
	s_and_b32 s0, s0, exec_lo
	s_and_not1_b32 s1, s1, exec_lo
	s_or_b32 exec_lo, exec_lo, s44
	s_and_saveexec_b32 s43, s1
	s_cbranch_execz .LBB98_95
.LBB98_104:                             ;   in Loop: Header=BB98_3 Depth=1
	v_cmp_eq_u32_e32 vcc_lo, 1, v16
	s_and_not1_b32 s0, s0, exec_lo
	s_and_not1_b32 s42, s42, exec_lo
	;; [unrolled: 1-line block ×4, first 2 shown]
	s_and_b32 s1, vcc_lo, exec_lo
	s_and_not1_b32 s25, s25, exec_lo
	s_or_b32 s24, s24, exec_lo
	s_or_b32 s0, s0, s1
	s_or_b32 exec_lo, exec_lo, s43
	s_and_saveexec_b32 s1, s0
	s_cbranch_execz .LBB98_108
.LBB98_105:                             ;   in Loop: Header=BB98_3 Depth=1
	v_cmp_le_f32_e32 vcc_lo, 0, v3
	v_cmp_ge_f32_e64 s0, 1.0, v3
	s_delay_alu instid0(VALU_DEP_1)
	s_and_b32 s44, vcc_lo, s0
	s_mov_b32 s0, 0
	s_and_saveexec_b32 s43, s44
	s_cbranch_execz .LBB98_107
; %bb.106:                              ;   in Loop: Header=BB98_3 Depth=1
	v_cvt_f32_u32_e32 v9, v11
	v_lshlrev_b64 v[7:8], 1, v[7:8]
	s_mov_b32 s0, exec_lo
	s_delay_alu instid0(VALU_DEP_2) | instskip(NEXT) | instid1(VALU_DEP_2)
	v_fmaak_f32 v9, 0x2f800000, v9, 0x2f800000
	v_add_co_u32 v7, vcc_lo, s16, v7
	s_delay_alu instid0(VALU_DEP_3) | instskip(NEXT) | instid1(VALU_DEP_3)
	v_add_co_ci_u32_e32 v8, vcc_lo, s17, v8, vcc_lo
	v_cmp_le_f32_e32 vcc_lo, v9, v3
	v_cndmask_b32_e64 v3, 0, 0x3c00, vcc_lo
	global_store_b16 v[7:8], v3, off
.LBB98_107:                             ;   in Loop: Header=BB98_3 Depth=1
	s_or_b32 exec_lo, exec_lo, s43
	s_delay_alu instid0(SALU_CYCLE_1)
	s_and_not1_b32 s24, s24, exec_lo
	s_and_b32 s0, s0, exec_lo
	s_or_b32 s42, s42, exec_lo
	s_and_not1_b32 s27, s27, exec_lo
	s_and_not1_b32 s26, s26, exec_lo
	;; [unrolled: 1-line block ×3, first 2 shown]
	s_or_b32 s24, s24, s0
.LBB98_108:                             ;   in Loop: Header=BB98_3 Depth=1
	s_or_b32 exec_lo, exec_lo, s1
	s_delay_alu instid0(SALU_CYCLE_1)
	s_and_not1_b32 s1, s41, exec_lo
	s_and_b32 s41, s42, exec_lo
	s_and_not1_b32 s39, s39, exec_lo
	s_and_b32 s27, s27, exec_lo
	s_or_b32 s41, s1, s41
	s_or_b32 s39, s39, s27
	s_and_not1_b32 s1, s40, exec_lo
	s_and_b32 s26, s26, exec_lo
	s_and_not1_b32 s27, s38, exec_lo
	s_and_b32 s25, s25, exec_lo
	s_mov_b32 s0, -1
	s_or_b32 s40, s1, s26
	s_or_b32 s38, s27, s25
	s_and_saveexec_b32 s1, s24
	s_cbranch_execz .LBB98_2
; %bb.109:                              ;   in Loop: Header=BB98_3 Depth=1
	v_add_co_u32 v4, vcc_lo, v4, s31
	v_add_co_ci_u32_e32 v5, vcc_lo, 0, v5, vcc_lo
	s_and_not1_b32 s41, s41, exec_lo
	s_and_not1_b32 s39, s39, exec_lo
	;; [unrolled: 1-line block ×3, first 2 shown]
	s_delay_alu instid0(VALU_DEP_1)
	v_cmp_le_u64_e32 vcc_lo, s[4:5], v[4:5]
	s_and_not1_b32 s38, s38, exec_lo
	s_or_not1_b32 s0, vcc_lo, exec_lo
	s_branch .LBB98_2
.LBB98_110:
	s_or_b32 exec_lo, exec_lo, s19
	s_xor_b32 s3, s36, -1
	s_xor_b32 s4, s37, -1
	;; [unrolled: 1-line block ×3, first 2 shown]
	s_mov_b32 s1, 0
	s_and_saveexec_b32 s2, s0
	s_delay_alu instid0(SALU_CYCLE_1)
	s_xor_b32 s0, exec_lo, s2
	s_cbranch_execz .LBB98_119
; %bb.111:
	s_mov_b32 s2, 0
	s_and_saveexec_b32 s1, s4
	s_delay_alu instid0(SALU_CYCLE_1)
	s_xor_b32 s1, exec_lo, s1
	s_cbranch_execz .LBB98_117
; %bb.112:
	s_and_saveexec_b32 s4, s3
	s_delay_alu instid0(SALU_CYCLE_1)
	s_xor_b32 s3, exec_lo, s4
	s_cbranch_execz .LBB98_115
; %bb.113:
	s_and_saveexec_b32 s4, s18
	s_delay_alu instid0(SALU_CYCLE_1)
	s_xor_b32 s4, exec_lo, s4
	s_cbranch_execnz .LBB98_133
.LBB98_114:
	s_or_b32 exec_lo, exec_lo, s4
	s_delay_alu instid0(SALU_CYCLE_1)
	s_and_b32 s2, s2, exec_lo
.LBB98_115:
	s_and_not1_saveexec_b32 s3, s3
	s_cbranch_execnz .LBB98_129
.LBB98_116:
	s_or_b32 exec_lo, exec_lo, s3
	s_delay_alu instid0(SALU_CYCLE_1)
	s_and_b32 s2, s2, exec_lo
.LBB98_117:
	s_and_not1_saveexec_b32 s1, s1
	s_cbranch_execnz .LBB98_125
.LBB98_118:
	s_or_b32 exec_lo, exec_lo, s1
	s_delay_alu instid0(SALU_CYCLE_1)
	s_and_b32 s1, s2, exec_lo
.LBB98_119:
	s_and_not1_saveexec_b32 s0, s0
	s_cbranch_execnz .LBB98_123
; %bb.120:
	s_or_b32 exec_lo, exec_lo, s0
	s_delay_alu instid0(SALU_CYCLE_1)
	s_and_b32 exec_lo, exec_lo, s1
.LBB98_121:
	; divergent unreachable
.LBB98_122:
	s_nop 0
	s_sendmsg sendmsg(MSG_DEALLOC_VGPRS)
	s_endpgm
.LBB98_123:
	s_cbranch_execnz .LBB98_127
; %bb.124:
	s_or_b32 s1, s1, exec_lo
	s_or_b32 exec_lo, exec_lo, s0
	s_delay_alu instid0(SALU_CYCLE_1)
	s_and_b32 exec_lo, exec_lo, s1
	s_cbranch_execnz .LBB98_121
	s_branch .LBB98_122
.LBB98_125:
	s_cbranch_execnz .LBB98_131
; %bb.126:
	s_or_b32 s2, s2, exec_lo
	s_branch .LBB98_118
.LBB98_127:
	s_trap 2
	s_sendmsg_rtn_b32 s0, sendmsg(MSG_RTN_GET_DOORBELL)
	s_mov_b32 ttmp2, m0
	s_waitcnt lgkmcnt(0)
	s_and_b32 s0, s0, 0x3ff
	s_delay_alu instid0(SALU_CYCLE_1) | instskip(NEXT) | instid1(SALU_CYCLE_1)
	s_bitset1_b32 s0, 10
	s_mov_b32 m0, s0
	s_sendmsg sendmsg(MSG_INTERRUPT)
	s_mov_b32 m0, ttmp2
.LBB98_128:                             ; =>This Inner Loop Header: Depth=1
	s_sethalt 5
	s_branch .LBB98_128
.LBB98_129:
	s_cbranch_execnz .LBB98_135
; %bb.130:
	s_or_b32 s2, s2, exec_lo
	s_branch .LBB98_116
.LBB98_131:
	s_trap 2
	s_sendmsg_rtn_b32 s0, sendmsg(MSG_RTN_GET_DOORBELL)
	s_mov_b32 ttmp2, m0
	s_waitcnt lgkmcnt(0)
	s_and_b32 s0, s0, 0x3ff
	s_delay_alu instid0(SALU_CYCLE_1) | instskip(NEXT) | instid1(SALU_CYCLE_1)
	s_bitset1_b32 s0, 10
	s_mov_b32 m0, s0
	s_sendmsg sendmsg(MSG_INTERRUPT)
	s_mov_b32 m0, ttmp2
.LBB98_132:                             ; =>This Inner Loop Header: Depth=1
	s_sethalt 5
	s_branch .LBB98_132
.LBB98_133:
	s_cbranch_execnz .LBB98_137
; %bb.134:
	s_mov_b32 s2, exec_lo
	s_branch .LBB98_114
.LBB98_135:
	s_trap 2
	s_sendmsg_rtn_b32 s0, sendmsg(MSG_RTN_GET_DOORBELL)
	s_mov_b32 ttmp2, m0
	s_waitcnt lgkmcnt(0)
	s_and_b32 s0, s0, 0x3ff
	s_delay_alu instid0(SALU_CYCLE_1) | instskip(NEXT) | instid1(SALU_CYCLE_1)
	s_bitset1_b32 s0, 10
	s_mov_b32 m0, s0
	s_sendmsg sendmsg(MSG_INTERRUPT)
	s_mov_b32 m0, ttmp2
.LBB98_136:                             ; =>This Inner Loop Header: Depth=1
	s_sethalt 5
	s_branch .LBB98_136
.LBB98_137:
	s_trap 2
	s_sendmsg_rtn_b32 s0, sendmsg(MSG_RTN_GET_DOORBELL)
	s_mov_b32 ttmp2, m0
	s_waitcnt lgkmcnt(0)
	s_and_b32 s0, s0, 0x3ff
	s_delay_alu instid0(SALU_CYCLE_1) | instskip(NEXT) | instid1(SALU_CYCLE_1)
	s_bitset1_b32 s0, 10
	s_mov_b32 m0, s0
	s_sendmsg sendmsg(MSG_INTERRUPT)
	s_mov_b32 m0, ttmp2
.LBB98_138:                             ; =>This Inner Loop Header: Depth=1
	s_sethalt 5
	s_branch .LBB98_138
	.section	.rodata,"a",@progbits
	.p2align	6, 0x0
	.amdhsa_kernel _ZN2at4cuda12_GLOBAL__N_121kernelPointwiseApply2IZNS_6native9templates4cuda28bernoulli_tensor_cuda_kernelIN3c104HalfEfEEvRKNS_10TensorBaseESB_NS_15PhiloxCudaStateEEUliRS8_SD_SD_SD_RKfSF_SF_SF_E_S8_SE_mLin1ELin1ELi4ELi512ELi2EEEvNS0_6detail10TensorInfoIT0_T2_EENSI_IT1_SK_EESK_T_
		.amdhsa_group_segment_fixed_size 0
		.amdhsa_private_segment_fixed_size 0
		.amdhsa_kernarg_size 1128
		.amdhsa_user_sgpr_count 15
		.amdhsa_user_sgpr_dispatch_ptr 0
		.amdhsa_user_sgpr_queue_ptr 0
		.amdhsa_user_sgpr_kernarg_segment_ptr 1
		.amdhsa_user_sgpr_dispatch_id 0
		.amdhsa_user_sgpr_private_segment_size 0
		.amdhsa_wavefront_size32 1
		.amdhsa_uses_dynamic_stack 0
		.amdhsa_enable_private_segment 0
		.amdhsa_system_sgpr_workgroup_id_x 1
		.amdhsa_system_sgpr_workgroup_id_y 0
		.amdhsa_system_sgpr_workgroup_id_z 0
		.amdhsa_system_sgpr_workgroup_info 0
		.amdhsa_system_vgpr_workitem_id 0
		.amdhsa_next_free_vgpr 44
		.amdhsa_next_free_sgpr 46
		.amdhsa_reserve_vcc 1
		.amdhsa_float_round_mode_32 0
		.amdhsa_float_round_mode_16_64 0
		.amdhsa_float_denorm_mode_32 3
		.amdhsa_float_denorm_mode_16_64 3
		.amdhsa_dx10_clamp 1
		.amdhsa_ieee_mode 1
		.amdhsa_fp16_overflow 0
		.amdhsa_workgroup_processor_mode 1
		.amdhsa_memory_ordered 1
		.amdhsa_forward_progress 0
		.amdhsa_shared_vgpr_count 0
		.amdhsa_exception_fp_ieee_invalid_op 0
		.amdhsa_exception_fp_denorm_src 0
		.amdhsa_exception_fp_ieee_div_zero 0
		.amdhsa_exception_fp_ieee_overflow 0
		.amdhsa_exception_fp_ieee_underflow 0
		.amdhsa_exception_fp_ieee_inexact 0
		.amdhsa_exception_int_div_zero 0
	.end_amdhsa_kernel
	.section	.text._ZN2at4cuda12_GLOBAL__N_121kernelPointwiseApply2IZNS_6native9templates4cuda28bernoulli_tensor_cuda_kernelIN3c104HalfEfEEvRKNS_10TensorBaseESB_NS_15PhiloxCudaStateEEUliRS8_SD_SD_SD_RKfSF_SF_SF_E_S8_SE_mLin1ELin1ELi4ELi512ELi2EEEvNS0_6detail10TensorInfoIT0_T2_EENSI_IT1_SK_EESK_T_,"axG",@progbits,_ZN2at4cuda12_GLOBAL__N_121kernelPointwiseApply2IZNS_6native9templates4cuda28bernoulli_tensor_cuda_kernelIN3c104HalfEfEEvRKNS_10TensorBaseESB_NS_15PhiloxCudaStateEEUliRS8_SD_SD_SD_RKfSF_SF_SF_E_S8_SE_mLin1ELin1ELi4ELi512ELi2EEEvNS0_6detail10TensorInfoIT0_T2_EENSI_IT1_SK_EESK_T_,comdat
.Lfunc_end98:
	.size	_ZN2at4cuda12_GLOBAL__N_121kernelPointwiseApply2IZNS_6native9templates4cuda28bernoulli_tensor_cuda_kernelIN3c104HalfEfEEvRKNS_10TensorBaseESB_NS_15PhiloxCudaStateEEUliRS8_SD_SD_SD_RKfSF_SF_SF_E_S8_SE_mLin1ELin1ELi4ELi512ELi2EEEvNS0_6detail10TensorInfoIT0_T2_EENSI_IT1_SK_EESK_T_, .Lfunc_end98-_ZN2at4cuda12_GLOBAL__N_121kernelPointwiseApply2IZNS_6native9templates4cuda28bernoulli_tensor_cuda_kernelIN3c104HalfEfEEvRKNS_10TensorBaseESB_NS_15PhiloxCudaStateEEUliRS8_SD_SD_SD_RKfSF_SF_SF_E_S8_SE_mLin1ELin1ELi4ELi512ELi2EEEvNS0_6detail10TensorInfoIT0_T2_EENSI_IT1_SK_EESK_T_
                                        ; -- End function
	.section	.AMDGPU.csdata,"",@progbits
; Kernel info:
; codeLenInByte = 12436
; NumSgprs: 48
; NumVgprs: 44
; ScratchSize: 0
; MemoryBound: 0
; FloatMode: 240
; IeeeMode: 1
; LDSByteSize: 0 bytes/workgroup (compile time only)
; SGPRBlocks: 5
; VGPRBlocks: 5
; NumSGPRsForWavesPerEU: 48
; NumVGPRsForWavesPerEU: 44
; Occupancy: 16
; WaveLimiterHint : 1
; COMPUTE_PGM_RSRC2:SCRATCH_EN: 0
; COMPUTE_PGM_RSRC2:USER_SGPR: 15
; COMPUTE_PGM_RSRC2:TRAP_HANDLER: 0
; COMPUTE_PGM_RSRC2:TGID_X_EN: 1
; COMPUTE_PGM_RSRC2:TGID_Y_EN: 0
; COMPUTE_PGM_RSRC2:TGID_Z_EN: 0
; COMPUTE_PGM_RSRC2:TIDIG_COMP_CNT: 0
	.section	.text._ZN2at4cuda12_GLOBAL__N_121kernelPointwiseApply2IZNS_6native9templates4cuda28bernoulli_tensor_cuda_kernelIN3c108BFloat16EfEEvRKNS_10TensorBaseESB_NS_15PhiloxCudaStateEEUliRS8_SD_SD_SD_RKfSF_SF_SF_E_S8_SE_jLi1ELi1ELi4ELi512ELi2EEEvNS0_6detail10TensorInfoIT0_T2_EENSI_IT1_SK_EESK_T_,"axG",@progbits,_ZN2at4cuda12_GLOBAL__N_121kernelPointwiseApply2IZNS_6native9templates4cuda28bernoulli_tensor_cuda_kernelIN3c108BFloat16EfEEvRKNS_10TensorBaseESB_NS_15PhiloxCudaStateEEUliRS8_SD_SD_SD_RKfSF_SF_SF_E_S8_SE_jLi1ELi1ELi4ELi512ELi2EEEvNS0_6detail10TensorInfoIT0_T2_EENSI_IT1_SK_EESK_T_,comdat
	.globl	_ZN2at4cuda12_GLOBAL__N_121kernelPointwiseApply2IZNS_6native9templates4cuda28bernoulli_tensor_cuda_kernelIN3c108BFloat16EfEEvRKNS_10TensorBaseESB_NS_15PhiloxCudaStateEEUliRS8_SD_SD_SD_RKfSF_SF_SF_E_S8_SE_jLi1ELi1ELi4ELi512ELi2EEEvNS0_6detail10TensorInfoIT0_T2_EENSI_IT1_SK_EESK_T_ ; -- Begin function _ZN2at4cuda12_GLOBAL__N_121kernelPointwiseApply2IZNS_6native9templates4cuda28bernoulli_tensor_cuda_kernelIN3c108BFloat16EfEEvRKNS_10TensorBaseESB_NS_15PhiloxCudaStateEEUliRS8_SD_SD_SD_RKfSF_SF_SF_E_S8_SE_jLi1ELi1ELi4ELi512ELi2EEEvNS0_6detail10TensorInfoIT0_T2_EENSI_IT1_SK_EESK_T_
	.p2align	8
	.type	_ZN2at4cuda12_GLOBAL__N_121kernelPointwiseApply2IZNS_6native9templates4cuda28bernoulli_tensor_cuda_kernelIN3c108BFloat16EfEEvRKNS_10TensorBaseESB_NS_15PhiloxCudaStateEEUliRS8_SD_SD_SD_RKfSF_SF_SF_E_S8_SE_jLi1ELi1ELi4ELi512ELi2EEEvNS0_6detail10TensorInfoIT0_T2_EENSI_IT1_SK_EESK_T_,@function
_ZN2at4cuda12_GLOBAL__N_121kernelPointwiseApply2IZNS_6native9templates4cuda28bernoulli_tensor_cuda_kernelIN3c108BFloat16EfEEvRKNS_10TensorBaseESB_NS_15PhiloxCudaStateEEUliRS8_SD_SD_SD_RKfSF_SF_SF_E_S8_SE_jLi1ELi1ELi4ELi512ELi2EEEvNS0_6detail10TensorInfoIT0_T2_EENSI_IT1_SK_EESK_T_: ; @_ZN2at4cuda12_GLOBAL__N_121kernelPointwiseApply2IZNS_6native9templates4cuda28bernoulli_tensor_cuda_kernelIN3c108BFloat16EfEEvRKNS_10TensorBaseESB_NS_15PhiloxCudaStateEEUliRS8_SD_SD_SD_RKfSF_SF_SF_E_S8_SE_jLi1ELi1ELi4ELi512ELi2EEEvNS0_6detail10TensorInfoIT0_T2_EENSI_IT1_SK_EESK_T_
; %bb.0:
	s_clause 0x1
	s_load_b32 s4, s[0:1], 0x1e4
	s_load_b32 s5, s[0:1], 0x1b0
	s_add_u32 s2, s0, 0x1d8
	s_addc_u32 s3, s1, 0
	s_mov_b32 s6, exec_lo
	s_waitcnt lgkmcnt(0)
	s_and_b32 s4, s4, 0xffff
	s_delay_alu instid0(SALU_CYCLE_1) | instskip(NEXT) | instid1(VALU_DEP_1)
	v_mad_u64_u32 v[1:2], null, s15, s4, v[0:1]
	v_lshlrev_b32_e32 v0, 2, v1
	s_delay_alu instid0(VALU_DEP_1)
	v_cmpx_gt_u32_e64 s5, v0
	s_cbranch_execz .LBB99_51
; %bb.1:
	s_load_b32 s3, s[2:3], 0x0
	s_clause 0x4
	s_load_b32 s17, s[0:1], 0x1d0
	s_load_b32 s2, s[0:1], 0x6c
	s_load_b32 s22, s[0:1], 0x144
	s_load_b64 s[6:7], s[0:1], 0x0
	s_load_b64 s[12:13], s[0:1], 0xd8
	v_mad_u64_u32 v[2:3], null, 0xcd9e8d57, v1, 0
	s_clause 0x1
	s_load_b64 s[14:15], s[0:1], 0x1c8
	s_load_b128 s[8:11], s[0:1], 0x1b8
	v_dual_mov_b32 v4, 0 :: v_dual_add_nc_u32 v9, 3, v0
	v_add_nc_u32_e32 v8, 2, v0
	v_sub_nc_u32_e32 v24, s5, v0
	s_mov_b32 s16, 0
	v_mov_b32_e32 v25, v3
	s_mov_b32 s24, 0
                                        ; implicit-def: $sgpr26
                                        ; implicit-def: $sgpr25
                                        ; implicit-def: $sgpr27
                                        ; implicit-def: $sgpr29
                                        ; implicit-def: $sgpr28
                                        ; implicit-def: $sgpr30
	s_waitcnt lgkmcnt(0)
	s_mul_i32 s0, s3, s4
	s_bitcmp1_b32 s17, 0
	v_mul_lo_u32 v3, s2, v1
	v_mul_lo_u32 v10, s22, v1
	v_mad_u64_u32 v[5:6], null, s2, v0, s[2:3]
	v_mul_lo_u32 v26, s2, v8
	v_mul_lo_u32 v27, s2, v9
	v_mad_u64_u32 v[6:7], null, s22, v0, s[22:23]
	v_mul_lo_u32 v29, s22, v8
	v_mul_lo_u32 v30, s22, v9
	v_lshlrev_b32_e32 v28, 2, v3
	v_lshlrev_b32_e32 v31, 2, v10
	s_mul_i32 s1, s0, s2
	s_cselect_b32 s18, -1, 0
	s_lshl_b32 s19, s0, 2
	s_mul_i32 s0, s0, s22
	s_lshl_b32 s20, s1, 2
	s_lshl_b32 s21, s0, 2
	s_mov_b32 s22, 0
                                        ; implicit-def: $sgpr23
                                        ; implicit-def: $sgpr17
	s_branch .LBB99_3
.LBB99_2:                               ;   in Loop: Header=BB99_3 Depth=1
	s_or_b32 exec_lo, exec_lo, s1
	s_delay_alu instid0(SALU_CYCLE_1) | instskip(NEXT) | instid1(SALU_CYCLE_1)
	s_and_b32 s0, exec_lo, s0
	s_or_b32 s16, s0, s16
	s_and_not1_b32 s0, s17, exec_lo
	s_and_b32 s1, s30, exec_lo
	s_and_not1_b32 s2, s25, exec_lo
	s_and_b32 s3, s28, exec_lo
	s_or_b32 s17, s0, s1
	s_or_b32 s25, s2, s3
	s_and_not1_b32 s0, s26, exec_lo
	s_and_b32 s1, s29, exec_lo
	s_and_not1_b32 s2, s23, exec_lo
	s_and_b32 s3, s27, exec_lo
	s_or_b32 s26, s0, s1
	s_or_b32 s23, s2, s3
	s_and_not1_b32 exec_lo, exec_lo, s16
	s_cbranch_execz .LBB99_39
.LBB99_3:                               ; =>This Inner Loop Header: Depth=1
	v_add_nc_u32_e32 v3, s22, v31
	v_cmp_lt_i32_e64 s0, 0, v24
	v_add_nc_u32_e32 v9, s22, v6
	v_cmp_lt_i32_e64 s1, 1, v24
	v_add_nc_u32_e32 v11, s22, v29
	v_cmp_lt_i32_e64 s2, 2, v24
	v_cndmask_b32_e64 v3, 0, v3, s0
	v_add_nc_u32_e32 v13, s22, v30
	v_cmp_lt_i32_e64 s3, 3, v24
	s_delay_alu instid0(VALU_DEP_3) | instskip(SKIP_1) | instid1(VALU_DEP_1)
	v_lshlrev_b64 v[7:8], 2, v[3:4]
	v_cndmask_b32_e64 v3, 0, v9, s1
	v_lshlrev_b64 v[9:10], 2, v[3:4]
	v_cndmask_b32_e64 v3, 0, v11, s2
	s_delay_alu instid0(VALU_DEP_4) | instskip(SKIP_1) | instid1(VALU_DEP_3)
	v_add_co_u32 v7, vcc_lo, s12, v7
	v_add_co_ci_u32_e32 v8, vcc_lo, s13, v8, vcc_lo
	v_lshlrev_b64 v[11:12], 2, v[3:4]
	v_cndmask_b32_e64 v3, 0, v13, s3
	v_add_co_u32 v9, vcc_lo, s12, v9
	v_add_co_ci_u32_e32 v10, vcc_lo, s13, v10, vcc_lo
	s_delay_alu instid0(VALU_DEP_3) | instskip(SKIP_2) | instid1(VALU_DEP_3)
	v_lshlrev_b64 v[13:14], 2, v[3:4]
	v_add_co_u32 v11, vcc_lo, s12, v11
	v_add_co_ci_u32_e32 v12, vcc_lo, s13, v12, vcc_lo
	v_add_co_u32 v13, vcc_lo, s12, v13
	s_delay_alu instid0(VALU_DEP_4)
	v_add_co_ci_u32_e32 v14, vcc_lo, s13, v14, vcc_lo
	s_clause 0x3
	global_load_b32 v32, v[7:8], off
	global_load_b32 v33, v[9:10], off
	;; [unrolled: 1-line block ×4, first 2 shown]
	v_mov_b32_e32 v14, s9
	v_dual_mov_b32 v12, s11 :: v_dual_mov_b32 v11, s10
	v_mov_b32_e32 v13, s8
	s_and_not1_b32 vcc_lo, exec_lo, s18
	s_cbranch_vccnz .LBB99_5
; %bb.4:                                ;   in Loop: Header=BB99_3 Depth=1
	v_dual_mov_b32 v7, s10 :: v_dual_mov_b32 v8, s11
	v_dual_mov_b32 v10, s9 :: v_dual_mov_b32 v9, s8
	flat_load_b64 v[7:8], v[7:8]
	flat_load_b64 v[13:14], v[9:10]
	s_waitcnt vmcnt(1) lgkmcnt(1)
	v_add_co_u32 v11, vcc_lo, v7, s14
	v_add_co_ci_u32_e32 v12, vcc_lo, s15, v8, vcc_lo
.LBB99_5:                               ;   in Loop: Header=BB99_3 Depth=1
	s_delay_alu instid0(VALU_DEP_1)
	v_alignbit_b32 v3, v12, v11, 2
	v_lshrrev_b32_e32 v9, 2, v12
	s_waitcnt vmcnt(0) lgkmcnt(0)
	v_add_nc_u32_e32 v37, 0xbb67ae85, v14
	v_add_nc_u32_e32 v38, 0x76cf5d0a, v14
	;; [unrolled: 1-line block ×3, first 2 shown]
	v_add_co_u32 v10, vcc_lo, v3, 1
	s_delay_alu instid0(VALU_DEP_1) | instskip(SKIP_4) | instid1(VALU_DEP_4)
	v_cndmask_b32_e64 v7, 0, 1, vcc_lo
	v_add_co_ci_u32_e32 v12, vcc_lo, 0, v9, vcc_lo
	v_xor3_b32 v17, v25, v13, v9
	v_add_nc_u32_e32 v40, 0xed9eba14, v14
	v_add_nc_u32_e32 v42, 0xa9066899, v14
	v_cmp_eq_u32_e32 vcc_lo, 0, v12
	v_add_nc_u32_e32 v43, 0x646e171e, v14
	s_mov_b32 s4, exec_lo
	v_dual_cndmask_b32 v15, 0, v7 :: v_dual_add_nc_u32 v36, 0x9e3779b9, v13
	v_mad_u64_u32 v[7:8], null, 0xd2511f53, v10, 0
	s_delay_alu instid0(VALU_DEP_2) | instskip(NEXT) | instid1(VALU_DEP_2)
	v_add_nc_u32_e32 v10, v15, v1
	v_xor_b32_e32 v16, v8, v14
	s_delay_alu instid0(VALU_DEP_2) | instskip(SKIP_2) | instid1(VALU_DEP_1)
	v_cmp_eq_u32_e32 vcc_lo, 0, v10
	v_mad_u64_u32 v[8:9], null, 0xd2511f53, v3, 0
	v_cndmask_b32_e32 v15, 0, v15, vcc_lo
	v_xor_b32_e32 v3, v15, v16
	v_mad_u64_u32 v[15:16], null, 0xd2511f53, v17, 0
	v_mad_u64_u32 v[17:18], null, 0xcd9e8d57, v10, 0
	s_delay_alu instid0(VALU_DEP_3) | instskip(SKIP_3) | instid1(VALU_DEP_3)
	v_mad_u64_u32 v[19:20], null, 0xcd9e8d57, v3, 0
	v_xor_b32_e32 v3, v9, v14
	v_add_nc_u32_e32 v10, 0x3c6ef372, v13
	v_xor3_b32 v21, v37, v16, v8
	v_mad_u64_u32 v[8:9], null, 0xcd9e8d57, v3, 0
	v_xor3_b32 v3, v18, v13, v12
	v_xor3_b32 v12, v36, v20, v17
	s_delay_alu instid0(VALU_DEP_4) | instskip(NEXT) | instid1(VALU_DEP_3)
	v_mad_u64_u32 v[16:17], null, 0xcd9e8d57, v21, 0
	v_mad_u64_u32 v[20:21], null, 0xd2511f53, v3, 0
	s_delay_alu instid0(VALU_DEP_3) | instskip(SKIP_1) | instid1(VALU_DEP_4)
	v_mad_u64_u32 v[22:23], null, 0xd2511f53, v12, 0
	v_xor3_b32 v3, v2, v9, v36
	v_xor3_b32 v36, v10, v17, v8
	v_add_nc_u32_e32 v12, 0xdaa66d2b, v13
	s_delay_alu instid0(VALU_DEP_3) | instskip(SKIP_4) | instid1(VALU_DEP_4)
	v_mad_u64_u32 v[8:9], null, 0xd2511f53, v3, 0
	v_xor3_b32 v3, v37, v21, v7
	v_xor3_b32 v7, v38, v23, v20
	v_mad_u64_u32 v[17:18], null, 0xd2511f53, v36, 0
	v_add_nc_u32_e32 v23, 0x78dde6e4, v13
	v_mad_u64_u32 v[20:21], null, 0xcd9e8d57, v3, 0
	s_delay_alu instid0(VALU_DEP_4) | instskip(SKIP_2) | instid1(VALU_DEP_2)
	v_mad_u64_u32 v[36:37], null, 0xcd9e8d57, v7, 0
	v_xor3_b32 v3, v38, v9, v15
	v_xor3_b32 v15, v39, v18, v8
	v_mad_u64_u32 v[7:8], null, 0xcd9e8d57, v3, 0
	v_xor3_b32 v3, v10, v21, v19
	v_xor3_b32 v37, v12, v37, v20
	s_delay_alu instid0(VALU_DEP_4) | instskip(NEXT) | instid1(VALU_DEP_3)
	v_mad_u64_u32 v[9:10], null, 0xcd9e8d57, v15, 0
	v_mad_u64_u32 v[18:19], null, 0xd2511f53, v3, 0
	s_delay_alu instid0(VALU_DEP_3) | instskip(SKIP_1) | instid1(VALU_DEP_4)
	v_mad_u64_u32 v[20:21], null, 0xd2511f53, v37, 0
	v_xor3_b32 v3, v12, v8, v16
	v_xor3_b32 v10, v23, v10, v7
	v_add_nc_u32_e32 v12, 0x1715609d, v13
	s_delay_alu instid0(VALU_DEP_3) | instskip(SKIP_3) | instid1(VALU_DEP_3)
	v_mad_u64_u32 v[7:8], null, 0xd2511f53, v3, 0
	v_xor3_b32 v3, v39, v19, v22
	v_xor3_b32 v18, v40, v21, v18
	v_mad_u64_u32 v[21:22], null, 0xd2511f53, v10, 0
	v_mad_u64_u32 v[15:16], null, 0xcd9e8d57, v3, 0
	s_delay_alu instid0(VALU_DEP_3) | instskip(SKIP_1) | instid1(VALU_DEP_4)
	v_mad_u64_u32 v[37:38], null, 0xcd9e8d57, v18, 0
	v_xor3_b32 v3, v40, v8, v17
	v_xor3_b32 v10, v42, v22, v7
	v_add_nc_u32_e32 v17, 0xb54cda56, v13
	s_delay_alu instid0(VALU_DEP_3) | instskip(SKIP_4) | instid1(VALU_DEP_4)
	v_mad_u64_u32 v[7:8], null, 0xcd9e8d57, v3, 0
	v_xor3_b32 v3, v23, v16, v36
	v_xor3_b32 v18, v12, v38, v15
	v_mad_u64_u32 v[38:39], null, 0xcd9e8d57, v10, 0
	v_add_nc_u32_e32 v23, 0x1fd5c5a3, v14
	v_mad_u64_u32 v[15:16], null, 0xd2511f53, v3, 0
	s_delay_alu instid0(VALU_DEP_4) | instskip(SKIP_4) | instid1(VALU_DEP_4)
	v_mad_u64_u32 v[40:41], null, 0xd2511f53, v18, 0
	v_xor3_b32 v3, v12, v8, v9
	v_xor3_b32 v9, v17, v39, v7
	v_add_nc_u32_e32 v12, 0x5384540f, v13
	v_add_co_u32 v36, null, 0xf1bbcdc8, v13
	v_mad_u64_u32 v[7:8], null, 0xd2511f53, v3, 0
	v_xor3_b32 v3, v42, v16, v20
	v_xor3_b32 v20, v43, v41, v15
	v_mad_u64_u32 v[15:16], null, 0xd2511f53, v9, 0
	s_delay_alu instid0(VALU_DEP_3) | instskip(NEXT) | instid1(VALU_DEP_3)
	v_mad_u64_u32 v[9:10], null, 0xcd9e8d57, v3, 0
	v_mad_u64_u32 v[18:19], null, 0xcd9e8d57, v20, 0
	v_xor3_b32 v3, v43, v8, v21
	s_delay_alu instid0(VALU_DEP_4) | instskip(NEXT) | instid1(VALU_DEP_2)
	v_xor3_b32 v20, v23, v16, v7
	v_mad_u64_u32 v[7:8], null, 0xcd9e8d57, v3, 0
	v_xor3_b32 v3, v17, v10, v37
	v_xor3_b32 v19, v12, v19, v9
	s_delay_alu instid0(VALU_DEP_4) | instskip(SKIP_1) | instid1(VALU_DEP_4)
	v_mad_u64_u32 v[16:17], null, 0xcd9e8d57, v20, 0
	v_add_nc_u32_e32 v37, 0xdb3d7428, v14
	v_mad_u64_u32 v[9:10], null, 0xd2511f53, v3, 0
	s_delay_alu instid0(VALU_DEP_4) | instskip(SKIP_2) | instid1(VALU_DEP_2)
	v_mad_u64_u32 v[21:22], null, 0xd2511f53, v19, 0
	v_xor3_b32 v3, v12, v8, v38
	v_xor3_b32 v12, v36, v17, v7
	v_mad_u64_u32 v[19:20], null, 0xd2511f53, v3, 0
	v_xor3_b32 v3, v23, v10, v40
	v_xor3_b32 v17, v37, v22, v9
	s_delay_alu instid0(VALU_DEP_4) | instskip(NEXT) | instid1(VALU_DEP_3)
	v_mad_u64_u32 v[7:8], null, 0xd2511f53, v12, 0
                                        ; implicit-def: $vgpr12
	v_mad_u64_u32 v[22:23], null, 0xcd9e8d57, v3, 0
	s_delay_alu instid0(VALU_DEP_3) | instskip(SKIP_3) | instid1(VALU_DEP_3)
	v_mad_u64_u32 v[9:10], null, 0xcd9e8d57, v17, 0
	v_add_nc_u32_e32 v17, 0x96a522ad, v14
	v_add_nc_u32_e32 v14, 0x8ff34781, v13
	v_and_b32_e32 v13, 3, v11
	v_xor3_b32 v3, v8, v19, v17
	s_delay_alu instid0(VALU_DEP_3) | instskip(NEXT) | instid1(VALU_DEP_3)
	v_xor3_b32 v8, v10, v22, v14
	v_cmpx_lt_i32_e32 1, v13
	s_xor_b32 s4, exec_lo, s4
	s_cbranch_execz .LBB99_11
; %bb.6:                                ;   in Loop: Header=BB99_3 Depth=1
	s_mov_b32 s31, exec_lo
                                        ; implicit-def: $vgpr12
	v_cmpx_lt_i32_e32 2, v13
	s_xor_b32 s31, exec_lo, s31
; %bb.7:                                ;   in Loop: Header=BB99_3 Depth=1
	v_xor3_b32 v3, v36, v23, v18
	s_delay_alu instid0(VALU_DEP_1) | instskip(NEXT) | instid1(VALU_DEP_1)
	v_mul_hi_u32 v3, 0xd2511f53, v3
	v_xor3_b32 v12, v3, v21, v17
                                        ; implicit-def: $vgpr3
; %bb.8:                                ;   in Loop: Header=BB99_3 Depth=1
	s_and_not1_saveexec_b32 s31, s31
; %bb.9:                                ;   in Loop: Header=BB99_3 Depth=1
	v_dual_mov_b32 v12, v9 :: v_dual_mov_b32 v9, v8
	v_mov_b32_e32 v8, v7
	v_mov_b32_e32 v7, v3
; %bb.10:                               ;   in Loop: Header=BB99_3 Depth=1
	s_or_b32 exec_lo, exec_lo, s31
                                        ; implicit-def: $vgpr15_vgpr16
                                        ; implicit-def: $vgpr13
                                        ; implicit-def: $vgpr3
                                        ; implicit-def: $vgpr37
                                        ; implicit-def: $vgpr19_vgpr20
                                        ; implicit-def: $vgpr14
                                        ; implicit-def: $vgpr16_vgpr17
.LBB99_11:                              ;   in Loop: Header=BB99_3 Depth=1
	s_and_not1_saveexec_b32 s4, s4
	s_cbranch_execz .LBB99_15
; %bb.12:                               ;   in Loop: Header=BB99_3 Depth=1
	v_xor3_b32 v9, v37, v20, v15
	v_cmp_eq_u32_e32 vcc_lo, 1, v13
	s_delay_alu instid0(VALU_DEP_2) | instskip(SKIP_2) | instid1(VALU_DEP_3)
	v_mad_u64_u32 v[10:11], null, 0xcd9e8d57, v9, 0
	v_mov_b32_e32 v12, v7
	v_mov_b32_e32 v9, v3
	v_xor3_b32 v13, v11, v16, v14
	s_delay_alu instid0(VALU_DEP_4)
	v_mov_b32_e32 v11, v10
	s_and_saveexec_b32 s31, vcc_lo
; %bb.13:                               ;   in Loop: Header=BB99_3 Depth=1
	v_dual_mov_b32 v12, v8 :: v_dual_mov_b32 v9, v7
	v_mov_b32_e32 v11, v3
	v_mov_b32_e32 v13, v10
; %bb.14:                               ;   in Loop: Header=BB99_3 Depth=1
	s_or_b32 exec_lo, exec_lo, s31
	s_delay_alu instid0(VALU_DEP_1)
	v_dual_mov_b32 v7, v13 :: v_dual_mov_b32 v8, v11
.LBB99_15:                              ;   in Loop: Header=BB99_3 Depth=1
	s_or_b32 exec_lo, exec_lo, s4
	v_min_i32_e32 v10, 4, v24
	s_mov_b32 s31, 0
	s_mov_b32 s36, 0
	s_mov_b32 s35, exec_lo
                                        ; implicit-def: $sgpr4
                                        ; implicit-def: $sgpr33
                                        ; implicit-def: $sgpr34
	s_delay_alu instid0(VALU_DEP_1)
	v_cmpx_lt_i32_e32 2, v10
	s_xor_b32 s35, exec_lo, s35
	s_cbranch_execz .LBB99_25
; %bb.16:                               ;   in Loop: Header=BB99_3 Depth=1
	s_mov_b32 s36, -1
	s_mov_b32 s34, exec_lo
                                        ; implicit-def: $sgpr33
                                        ; implicit-def: $sgpr4
	v_cmpx_lt_i32_e32 3, v10
	s_cbranch_execz .LBB99_20
; %bb.17:                               ;   in Loop: Header=BB99_3 Depth=1
	v_cmp_le_f32_e32 vcc_lo, 0, v35
	v_cmp_ge_f32_e64 s4, 1.0, v35
	s_mov_b32 s33, 0
	s_mov_b32 s36, 0
	s_delay_alu instid0(VALU_DEP_1) | instskip(NEXT) | instid1(SALU_CYCLE_1)
	s_and_b32 s37, vcc_lo, s4
	s_and_saveexec_b32 s4, s37
	s_cbranch_execz .LBB99_19
; %bb.18:                               ;   in Loop: Header=BB99_3 Depth=1
	v_add_nc_u32_e32 v3, s24, v27
	v_cvt_f32_u32_e32 v13, v12
	s_mov_b32 s36, exec_lo
	s_delay_alu instid0(VALU_DEP_2) | instskip(NEXT) | instid1(VALU_DEP_1)
	v_cndmask_b32_e64 v3, 0, v3, s3
	v_lshlrev_b64 v[11:12], 1, v[3:4]
	s_delay_alu instid0(VALU_DEP_3) | instskip(NEXT) | instid1(VALU_DEP_2)
	v_fmaak_f32 v3, 0x2f800000, v13, 0x2f800000
	v_add_co_u32 v11, vcc_lo, s6, v11
	s_delay_alu instid0(VALU_DEP_3) | instskip(NEXT) | instid1(VALU_DEP_3)
	v_add_co_ci_u32_e32 v12, vcc_lo, s7, v12, vcc_lo
	v_cmp_le_f32_e32 vcc_lo, v3, v35
	v_cndmask_b32_e64 v3, 0, 1.0, vcc_lo
	global_store_d16_hi_b16 v[11:12], v3, off
.LBB99_19:                              ;   in Loop: Header=BB99_3 Depth=1
	s_or_b32 exec_lo, exec_lo, s4
	s_mov_b32 s4, -1
	s_or_not1_b32 s36, s36, exec_lo
.LBB99_20:                              ;   in Loop: Header=BB99_3 Depth=1
	s_or_b32 exec_lo, exec_lo, s34
	s_mov_b32 s3, 0
	s_mov_b32 s37, s33
	s_and_saveexec_b32 s34, s36
	s_cbranch_execz .LBB99_24
; %bb.21:                               ;   in Loop: Header=BB99_3 Depth=1
	v_cmp_le_f32_e32 vcc_lo, 0, v34
	v_cmp_ge_f32_e64 s3, 1.0, v34
	s_delay_alu instid0(VALU_DEP_1) | instskip(SKIP_2) | instid1(SALU_CYCLE_1)
	s_and_b32 s36, vcc_lo, s3
	s_mov_b32 s3, 0
	s_and_saveexec_b32 s37, s36
	s_xor_b32 s36, exec_lo, s37
	s_cbranch_execz .LBB99_23
; %bb.22:                               ;   in Loop: Header=BB99_3 Depth=1
	v_add_nc_u32_e32 v3, s24, v26
	v_cvt_f32_u32_e32 v9, v9
	s_mov_b32 s3, exec_lo
	s_delay_alu instid0(VALU_DEP_2) | instskip(NEXT) | instid1(VALU_DEP_1)
	v_cndmask_b32_e64 v3, 0, v3, s2
	v_lshlrev_b64 v[11:12], 1, v[3:4]
	s_delay_alu instid0(VALU_DEP_3) | instskip(NEXT) | instid1(VALU_DEP_2)
	v_fmaak_f32 v3, 0x2f800000, v9, 0x2f800000
	v_add_co_u32 v11, vcc_lo, s6, v11
	s_delay_alu instid0(VALU_DEP_3) | instskip(NEXT) | instid1(VALU_DEP_3)
	v_add_co_ci_u32_e32 v12, vcc_lo, s7, v12, vcc_lo
	v_cmp_le_f32_e32 vcc_lo, v3, v34
	v_cndmask_b32_e64 v3, 0, 1.0, vcc_lo
	global_store_d16_hi_b16 v[11:12], v3, off
.LBB99_23:                              ;   in Loop: Header=BB99_3 Depth=1
	s_or_b32 exec_lo, exec_lo, s36
	s_delay_alu instid0(SALU_CYCLE_1)
	s_and_not1_b32 s37, s33, exec_lo
	s_or_b32 s33, s33, exec_lo
	s_and_not1_b32 s4, s4, exec_lo
	s_and_b32 s3, s3, exec_lo
.LBB99_24:                              ;   in Loop: Header=BB99_3 Depth=1
	s_or_b32 exec_lo, exec_lo, s34
	s_delay_alu instid0(SALU_CYCLE_1)
	s_and_b32 s34, s37, exec_lo
	s_and_b32 s33, s33, exec_lo
	s_and_b32 s4, s4, exec_lo
	s_and_b32 s36, s3, exec_lo
.LBB99_25:                              ;   in Loop: Header=BB99_3 Depth=1
	s_and_not1_saveexec_b32 s2, s35
; %bb.26:                               ;   in Loop: Header=BB99_3 Depth=1
	v_cmp_lt_i32_e32 vcc_lo, 1, v10
	s_and_not1_b32 s3, s36, exec_lo
	s_mov_b32 s31, exec_lo
	s_and_not1_b32 s34, s34, exec_lo
	s_and_not1_b32 s33, s33, exec_lo
	s_and_b32 s35, vcc_lo, exec_lo
	s_and_not1_b32 s4, s4, exec_lo
	s_or_b32 s36, s3, s35
; %bb.27:                               ;   in Loop: Header=BB99_3 Depth=1
	s_or_b32 exec_lo, exec_lo, s2
	s_mov_b32 s3, 0
	s_mov_b32 s35, 0
	;; [unrolled: 1-line block ×3, first 2 shown]
	s_and_saveexec_b32 s37, s36
	s_cbranch_execnz .LBB99_30
; %bb.28:                               ;   in Loop: Header=BB99_3 Depth=1
	s_or_b32 exec_lo, exec_lo, s37
	s_and_saveexec_b32 s1, s31
	s_cbranch_execnz .LBB99_33
.LBB99_29:                              ;   in Loop: Header=BB99_3 Depth=1
	s_or_b32 exec_lo, exec_lo, s1
	s_and_saveexec_b32 s31, s35
	s_cbranch_execnz .LBB99_34
	s_branch .LBB99_37
.LBB99_30:                              ;   in Loop: Header=BB99_3 Depth=1
	v_cmp_le_f32_e32 vcc_lo, 0, v33
	v_cmp_ge_f32_e64 s2, 1.0, v33
	s_delay_alu instid0(VALU_DEP_1) | instskip(NEXT) | instid1(SALU_CYCLE_1)
	s_and_b32 s2, vcc_lo, s2
	s_and_saveexec_b32 s36, s2
	s_delay_alu instid0(SALU_CYCLE_1)
	s_xor_b32 s2, exec_lo, s36
	s_cbranch_execz .LBB99_32
; %bb.31:                               ;   in Loop: Header=BB99_3 Depth=1
	v_add_nc_u32_e32 v3, s24, v5
	v_cvt_f32_u32_e32 v11, v8
	s_mov_b32 s35, exec_lo
	s_delay_alu instid0(VALU_DEP_2) | instskip(NEXT) | instid1(VALU_DEP_1)
	v_cndmask_b32_e64 v3, 0, v3, s1
	v_lshlrev_b64 v[8:9], 1, v[3:4]
	s_delay_alu instid0(VALU_DEP_3) | instskip(NEXT) | instid1(VALU_DEP_2)
	v_fmaak_f32 v3, 0x2f800000, v11, 0x2f800000
	v_add_co_u32 v8, vcc_lo, s6, v8
	s_delay_alu instid0(VALU_DEP_3) | instskip(NEXT) | instid1(VALU_DEP_3)
	v_add_co_ci_u32_e32 v9, vcc_lo, s7, v9, vcc_lo
	v_cmp_le_f32_e32 vcc_lo, v3, v33
	v_cndmask_b32_e64 v3, 0, 1.0, vcc_lo
	global_store_d16_hi_b16 v[8:9], v3, off
.LBB99_32:                              ;   in Loop: Header=BB99_3 Depth=1
	s_or_b32 exec_lo, exec_lo, s2
	s_delay_alu instid0(SALU_CYCLE_1)
	s_and_not1_b32 s2, s34, exec_lo
	s_or_b32 s34, s34, exec_lo
	s_and_not1_b32 s33, s33, exec_lo
	s_and_not1_b32 s4, s4, exec_lo
	s_and_b32 s35, s35, exec_lo
	s_and_not1_b32 s31, s31, exec_lo
	s_or_b32 exec_lo, exec_lo, s37
	s_and_saveexec_b32 s1, s31
	s_cbranch_execz .LBB99_29
.LBB99_33:                              ;   in Loop: Header=BB99_3 Depth=1
	v_cmp_eq_u32_e32 vcc_lo, 1, v10
	s_and_not1_b32 s31, s35, exec_lo
	s_mov_b32 s3, exec_lo
	s_and_not1_b32 s2, s2, exec_lo
	s_and_not1_b32 s34, s34, exec_lo
	s_and_b32 s35, vcc_lo, exec_lo
	s_and_not1_b32 s33, s33, exec_lo
	s_and_not1_b32 s4, s4, exec_lo
	s_or_b32 s35, s31, s35
	s_or_b32 exec_lo, exec_lo, s1
	s_and_saveexec_b32 s31, s35
	s_cbranch_execz .LBB99_37
.LBB99_34:                              ;   in Loop: Header=BB99_3 Depth=1
	v_cmp_le_f32_e32 vcc_lo, 0, v32
	v_cmp_ge_f32_e64 s1, 1.0, v32
	s_delay_alu instid0(VALU_DEP_1)
	s_and_b32 s36, vcc_lo, s1
	s_mov_b32 s1, 0
	s_and_saveexec_b32 s35, s36
	s_cbranch_execz .LBB99_36
; %bb.35:                               ;   in Loop: Header=BB99_3 Depth=1
	v_add_nc_u32_e32 v3, s24, v28
	v_cvt_f32_u32_e32 v9, v7
	s_mov_b32 s1, exec_lo
	s_delay_alu instid0(VALU_DEP_2) | instskip(NEXT) | instid1(VALU_DEP_1)
	v_cndmask_b32_e64 v3, 0, v3, s0
	v_lshlrev_b64 v[7:8], 1, v[3:4]
	s_delay_alu instid0(VALU_DEP_3) | instskip(NEXT) | instid1(VALU_DEP_2)
	v_fmaak_f32 v3, 0x2f800000, v9, 0x2f800000
	v_add_co_u32 v7, vcc_lo, s6, v7
	s_delay_alu instid0(VALU_DEP_3) | instskip(NEXT) | instid1(VALU_DEP_3)
	v_add_co_ci_u32_e32 v8, vcc_lo, s7, v8, vcc_lo
	v_cmp_le_f32_e32 vcc_lo, v3, v32
	v_cndmask_b32_e64 v3, 0, 1.0, vcc_lo
	global_store_d16_hi_b16 v[7:8], v3, off
.LBB99_36:                              ;   in Loop: Header=BB99_3 Depth=1
	s_or_b32 exec_lo, exec_lo, s35
	s_delay_alu instid0(SALU_CYCLE_1)
	s_and_not1_b32 s0, s3, exec_lo
	s_and_b32 s1, s1, exec_lo
	s_or_b32 s2, s2, exec_lo
	s_and_not1_b32 s34, s34, exec_lo
	s_and_not1_b32 s33, s33, exec_lo
	;; [unrolled: 1-line block ×3, first 2 shown]
	s_or_b32 s3, s0, s1
.LBB99_37:                              ;   in Loop: Header=BB99_3 Depth=1
	s_or_b32 exec_lo, exec_lo, s31
	s_delay_alu instid0(SALU_CYCLE_1)
	s_and_not1_b32 s1, s30, exec_lo
	s_and_b32 s2, s2, exec_lo
	s_and_not1_b32 s28, s28, exec_lo
	s_and_b32 s31, s34, exec_lo
	s_or_b32 s30, s1, s2
	s_and_not1_b32 s1, s29, exec_lo
	s_and_b32 s2, s33, exec_lo
	s_and_not1_b32 s27, s27, exec_lo
	s_and_b32 s4, s4, exec_lo
	s_mov_b32 s0, -1
	s_or_b32 s28, s28, s31
	s_or_b32 s29, s1, s2
	s_or_b32 s27, s27, s4
	s_and_saveexec_b32 s1, s3
	s_cbranch_execz .LBB99_2
; %bb.38:                               ;   in Loop: Header=BB99_3 Depth=1
	v_add_nc_u32_e32 v0, s19, v0
	v_subrev_nc_u32_e32 v24, s19, v24
	s_add_i32 s24, s24, s20
	s_add_i32 s22, s22, s21
	s_and_not1_b32 s30, s30, exec_lo
	v_cmp_le_u32_e32 vcc_lo, s5, v0
	s_and_not1_b32 s28, s28, exec_lo
	s_and_not1_b32 s29, s29, exec_lo
	;; [unrolled: 1-line block ×3, first 2 shown]
	s_or_not1_b32 s0, vcc_lo, exec_lo
	s_branch .LBB99_2
.LBB99_39:
	s_or_b32 exec_lo, exec_lo, s16
	s_xor_b32 s3, s25, -1
	s_xor_b32 s4, s26, -1
	;; [unrolled: 1-line block ×3, first 2 shown]
	s_mov_b32 s1, 0
	s_and_saveexec_b32 s2, s0
	s_delay_alu instid0(SALU_CYCLE_1)
	s_xor_b32 s0, exec_lo, s2
	s_cbranch_execz .LBB99_48
; %bb.40:
	s_mov_b32 s2, 0
	s_and_saveexec_b32 s1, s4
	s_delay_alu instid0(SALU_CYCLE_1)
	s_xor_b32 s1, exec_lo, s1
	s_cbranch_execz .LBB99_46
; %bb.41:
	s_and_saveexec_b32 s4, s3
	s_delay_alu instid0(SALU_CYCLE_1)
	s_xor_b32 s3, exec_lo, s4
	s_cbranch_execz .LBB99_44
; %bb.42:
	s_and_saveexec_b32 s4, s17
	s_delay_alu instid0(SALU_CYCLE_1)
	s_xor_b32 s4, exec_lo, s4
	s_cbranch_execnz .LBB99_62
.LBB99_43:
	s_or_b32 exec_lo, exec_lo, s4
	s_delay_alu instid0(SALU_CYCLE_1)
	s_and_b32 s2, s2, exec_lo
.LBB99_44:
	s_and_not1_saveexec_b32 s3, s3
	s_cbranch_execnz .LBB99_58
.LBB99_45:
	s_or_b32 exec_lo, exec_lo, s3
	s_delay_alu instid0(SALU_CYCLE_1)
	s_and_b32 s2, s2, exec_lo
.LBB99_46:
	s_and_not1_saveexec_b32 s1, s1
	s_cbranch_execnz .LBB99_54
.LBB99_47:
	s_or_b32 exec_lo, exec_lo, s1
	s_delay_alu instid0(SALU_CYCLE_1)
	s_and_b32 s1, s2, exec_lo
.LBB99_48:
	s_and_not1_saveexec_b32 s0, s0
	s_cbranch_execnz .LBB99_52
; %bb.49:
	s_or_b32 exec_lo, exec_lo, s0
	s_delay_alu instid0(SALU_CYCLE_1)
	s_and_b32 exec_lo, exec_lo, s1
.LBB99_50:
	; divergent unreachable
.LBB99_51:
	s_nop 0
	s_sendmsg sendmsg(MSG_DEALLOC_VGPRS)
	s_endpgm
.LBB99_52:
	s_cbranch_execnz .LBB99_56
; %bb.53:
	s_or_b32 s1, s1, exec_lo
	s_or_b32 exec_lo, exec_lo, s0
	s_delay_alu instid0(SALU_CYCLE_1)
	s_and_b32 exec_lo, exec_lo, s1
	s_cbranch_execnz .LBB99_50
	s_branch .LBB99_51
.LBB99_54:
	s_cbranch_execnz .LBB99_60
; %bb.55:
	s_or_b32 s2, s2, exec_lo
	s_branch .LBB99_47
.LBB99_56:
	s_trap 2
	s_sendmsg_rtn_b32 s0, sendmsg(MSG_RTN_GET_DOORBELL)
	s_mov_b32 ttmp2, m0
	s_waitcnt lgkmcnt(0)
	s_and_b32 s0, s0, 0x3ff
	s_delay_alu instid0(SALU_CYCLE_1) | instskip(NEXT) | instid1(SALU_CYCLE_1)
	s_bitset1_b32 s0, 10
	s_mov_b32 m0, s0
	s_sendmsg sendmsg(MSG_INTERRUPT)
	s_mov_b32 m0, ttmp2
.LBB99_57:                              ; =>This Inner Loop Header: Depth=1
	s_sethalt 5
	s_branch .LBB99_57
.LBB99_58:
	s_cbranch_execnz .LBB99_64
; %bb.59:
	s_or_b32 s2, s2, exec_lo
	s_branch .LBB99_45
.LBB99_60:
	s_trap 2
	s_sendmsg_rtn_b32 s0, sendmsg(MSG_RTN_GET_DOORBELL)
	s_mov_b32 ttmp2, m0
	s_waitcnt lgkmcnt(0)
	s_and_b32 s0, s0, 0x3ff
	s_delay_alu instid0(SALU_CYCLE_1) | instskip(NEXT) | instid1(SALU_CYCLE_1)
	s_bitset1_b32 s0, 10
	s_mov_b32 m0, s0
	s_sendmsg sendmsg(MSG_INTERRUPT)
	s_mov_b32 m0, ttmp2
.LBB99_61:                              ; =>This Inner Loop Header: Depth=1
	s_sethalt 5
	s_branch .LBB99_61
.LBB99_62:
	s_cbranch_execnz .LBB99_66
; %bb.63:
	s_mov_b32 s2, exec_lo
	s_branch .LBB99_43
.LBB99_64:
	s_trap 2
	s_sendmsg_rtn_b32 s0, sendmsg(MSG_RTN_GET_DOORBELL)
	s_mov_b32 ttmp2, m0
	s_waitcnt lgkmcnt(0)
	s_and_b32 s0, s0, 0x3ff
	s_delay_alu instid0(SALU_CYCLE_1) | instskip(NEXT) | instid1(SALU_CYCLE_1)
	s_bitset1_b32 s0, 10
	s_mov_b32 m0, s0
	s_sendmsg sendmsg(MSG_INTERRUPT)
	s_mov_b32 m0, ttmp2
.LBB99_65:                              ; =>This Inner Loop Header: Depth=1
	s_sethalt 5
	s_branch .LBB99_65
.LBB99_66:
	s_trap 2
	s_sendmsg_rtn_b32 s0, sendmsg(MSG_RTN_GET_DOORBELL)
	s_mov_b32 ttmp2, m0
	s_waitcnt lgkmcnt(0)
	s_and_b32 s0, s0, 0x3ff
	s_delay_alu instid0(SALU_CYCLE_1) | instskip(NEXT) | instid1(SALU_CYCLE_1)
	s_bitset1_b32 s0, 10
	s_mov_b32 m0, s0
	s_sendmsg sendmsg(MSG_INTERRUPT)
	s_mov_b32 m0, ttmp2
.LBB99_67:                              ; =>This Inner Loop Header: Depth=1
	s_sethalt 5
	s_branch .LBB99_67
	.section	.rodata,"a",@progbits
	.p2align	6, 0x0
	.amdhsa_kernel _ZN2at4cuda12_GLOBAL__N_121kernelPointwiseApply2IZNS_6native9templates4cuda28bernoulli_tensor_cuda_kernelIN3c108BFloat16EfEEvRKNS_10TensorBaseESB_NS_15PhiloxCudaStateEEUliRS8_SD_SD_SD_RKfSF_SF_SF_E_S8_SE_jLi1ELi1ELi4ELi512ELi2EEEvNS0_6detail10TensorInfoIT0_T2_EENSI_IT1_SK_EESK_T_
		.amdhsa_group_segment_fixed_size 0
		.amdhsa_private_segment_fixed_size 0
		.amdhsa_kernarg_size 728
		.amdhsa_user_sgpr_count 15
		.amdhsa_user_sgpr_dispatch_ptr 0
		.amdhsa_user_sgpr_queue_ptr 0
		.amdhsa_user_sgpr_kernarg_segment_ptr 1
		.amdhsa_user_sgpr_dispatch_id 0
		.amdhsa_user_sgpr_private_segment_size 0
		.amdhsa_wavefront_size32 1
		.amdhsa_uses_dynamic_stack 0
		.amdhsa_enable_private_segment 0
		.amdhsa_system_sgpr_workgroup_id_x 1
		.amdhsa_system_sgpr_workgroup_id_y 0
		.amdhsa_system_sgpr_workgroup_id_z 0
		.amdhsa_system_sgpr_workgroup_info 0
		.amdhsa_system_vgpr_workitem_id 0
		.amdhsa_next_free_vgpr 44
		.amdhsa_next_free_sgpr 38
		.amdhsa_reserve_vcc 1
		.amdhsa_float_round_mode_32 0
		.amdhsa_float_round_mode_16_64 0
		.amdhsa_float_denorm_mode_32 3
		.amdhsa_float_denorm_mode_16_64 3
		.amdhsa_dx10_clamp 1
		.amdhsa_ieee_mode 1
		.amdhsa_fp16_overflow 0
		.amdhsa_workgroup_processor_mode 1
		.amdhsa_memory_ordered 1
		.amdhsa_forward_progress 0
		.amdhsa_shared_vgpr_count 0
		.amdhsa_exception_fp_ieee_invalid_op 0
		.amdhsa_exception_fp_denorm_src 0
		.amdhsa_exception_fp_ieee_div_zero 0
		.amdhsa_exception_fp_ieee_overflow 0
		.amdhsa_exception_fp_ieee_underflow 0
		.amdhsa_exception_fp_ieee_inexact 0
		.amdhsa_exception_int_div_zero 0
	.end_amdhsa_kernel
	.section	.text._ZN2at4cuda12_GLOBAL__N_121kernelPointwiseApply2IZNS_6native9templates4cuda28bernoulli_tensor_cuda_kernelIN3c108BFloat16EfEEvRKNS_10TensorBaseESB_NS_15PhiloxCudaStateEEUliRS8_SD_SD_SD_RKfSF_SF_SF_E_S8_SE_jLi1ELi1ELi4ELi512ELi2EEEvNS0_6detail10TensorInfoIT0_T2_EENSI_IT1_SK_EESK_T_,"axG",@progbits,_ZN2at4cuda12_GLOBAL__N_121kernelPointwiseApply2IZNS_6native9templates4cuda28bernoulli_tensor_cuda_kernelIN3c108BFloat16EfEEvRKNS_10TensorBaseESB_NS_15PhiloxCudaStateEEUliRS8_SD_SD_SD_RKfSF_SF_SF_E_S8_SE_jLi1ELi1ELi4ELi512ELi2EEEvNS0_6detail10TensorInfoIT0_T2_EENSI_IT1_SK_EESK_T_,comdat
.Lfunc_end99:
	.size	_ZN2at4cuda12_GLOBAL__N_121kernelPointwiseApply2IZNS_6native9templates4cuda28bernoulli_tensor_cuda_kernelIN3c108BFloat16EfEEvRKNS_10TensorBaseESB_NS_15PhiloxCudaStateEEUliRS8_SD_SD_SD_RKfSF_SF_SF_E_S8_SE_jLi1ELi1ELi4ELi512ELi2EEEvNS0_6detail10TensorInfoIT0_T2_EENSI_IT1_SK_EESK_T_, .Lfunc_end99-_ZN2at4cuda12_GLOBAL__N_121kernelPointwiseApply2IZNS_6native9templates4cuda28bernoulli_tensor_cuda_kernelIN3c108BFloat16EfEEvRKNS_10TensorBaseESB_NS_15PhiloxCudaStateEEUliRS8_SD_SD_SD_RKfSF_SF_SF_E_S8_SE_jLi1ELi1ELi4ELi512ELi2EEEvNS0_6detail10TensorInfoIT0_T2_EENSI_IT1_SK_EESK_T_
                                        ; -- End function
	.section	.AMDGPU.csdata,"",@progbits
; Kernel info:
; codeLenInByte = 3232
; NumSgprs: 40
; NumVgprs: 44
; ScratchSize: 0
; MemoryBound: 0
; FloatMode: 240
; IeeeMode: 1
; LDSByteSize: 0 bytes/workgroup (compile time only)
; SGPRBlocks: 4
; VGPRBlocks: 5
; NumSGPRsForWavesPerEU: 40
; NumVGPRsForWavesPerEU: 44
; Occupancy: 16
; WaveLimiterHint : 1
; COMPUTE_PGM_RSRC2:SCRATCH_EN: 0
; COMPUTE_PGM_RSRC2:USER_SGPR: 15
; COMPUTE_PGM_RSRC2:TRAP_HANDLER: 0
; COMPUTE_PGM_RSRC2:TGID_X_EN: 1
; COMPUTE_PGM_RSRC2:TGID_Y_EN: 0
; COMPUTE_PGM_RSRC2:TGID_Z_EN: 0
; COMPUTE_PGM_RSRC2:TIDIG_COMP_CNT: 0
	.section	.text._ZN2at4cuda12_GLOBAL__N_121kernelPointwiseApply2IZNS_6native9templates4cuda28bernoulli_tensor_cuda_kernelIN3c108BFloat16EfEEvRKNS_10TensorBaseESB_NS_15PhiloxCudaStateEEUliRS8_SD_SD_SD_RKfSF_SF_SF_E_S8_SE_jLi1ELi2ELi4ELi512ELi2EEEvNS0_6detail10TensorInfoIT0_T2_EENSI_IT1_SK_EESK_T_,"axG",@progbits,_ZN2at4cuda12_GLOBAL__N_121kernelPointwiseApply2IZNS_6native9templates4cuda28bernoulli_tensor_cuda_kernelIN3c108BFloat16EfEEvRKNS_10TensorBaseESB_NS_15PhiloxCudaStateEEUliRS8_SD_SD_SD_RKfSF_SF_SF_E_S8_SE_jLi1ELi2ELi4ELi512ELi2EEEvNS0_6detail10TensorInfoIT0_T2_EENSI_IT1_SK_EESK_T_,comdat
	.globl	_ZN2at4cuda12_GLOBAL__N_121kernelPointwiseApply2IZNS_6native9templates4cuda28bernoulli_tensor_cuda_kernelIN3c108BFloat16EfEEvRKNS_10TensorBaseESB_NS_15PhiloxCudaStateEEUliRS8_SD_SD_SD_RKfSF_SF_SF_E_S8_SE_jLi1ELi2ELi4ELi512ELi2EEEvNS0_6detail10TensorInfoIT0_T2_EENSI_IT1_SK_EESK_T_ ; -- Begin function _ZN2at4cuda12_GLOBAL__N_121kernelPointwiseApply2IZNS_6native9templates4cuda28bernoulli_tensor_cuda_kernelIN3c108BFloat16EfEEvRKNS_10TensorBaseESB_NS_15PhiloxCudaStateEEUliRS8_SD_SD_SD_RKfSF_SF_SF_E_S8_SE_jLi1ELi2ELi4ELi512ELi2EEEvNS0_6detail10TensorInfoIT0_T2_EENSI_IT1_SK_EESK_T_
	.p2align	8
	.type	_ZN2at4cuda12_GLOBAL__N_121kernelPointwiseApply2IZNS_6native9templates4cuda28bernoulli_tensor_cuda_kernelIN3c108BFloat16EfEEvRKNS_10TensorBaseESB_NS_15PhiloxCudaStateEEUliRS8_SD_SD_SD_RKfSF_SF_SF_E_S8_SE_jLi1ELi2ELi4ELi512ELi2EEEvNS0_6detail10TensorInfoIT0_T2_EENSI_IT1_SK_EESK_T_,@function
_ZN2at4cuda12_GLOBAL__N_121kernelPointwiseApply2IZNS_6native9templates4cuda28bernoulli_tensor_cuda_kernelIN3c108BFloat16EfEEvRKNS_10TensorBaseESB_NS_15PhiloxCudaStateEEUliRS8_SD_SD_SD_RKfSF_SF_SF_E_S8_SE_jLi1ELi2ELi4ELi512ELi2EEEvNS0_6detail10TensorInfoIT0_T2_EENSI_IT1_SK_EESK_T_: ; @_ZN2at4cuda12_GLOBAL__N_121kernelPointwiseApply2IZNS_6native9templates4cuda28bernoulli_tensor_cuda_kernelIN3c108BFloat16EfEEvRKNS_10TensorBaseESB_NS_15PhiloxCudaStateEEUliRS8_SD_SD_SD_RKfSF_SF_SF_E_S8_SE_jLi1ELi2ELi4ELi512ELi2EEEvNS0_6detail10TensorInfoIT0_T2_EENSI_IT1_SK_EESK_T_
; %bb.0:
	s_clause 0x1
	s_load_b32 s4, s[0:1], 0x1e4
	s_load_b32 s16, s[0:1], 0x1b0
	s_add_u32 s2, s0, 0x1d8
	s_addc_u32 s3, s1, 0
	s_waitcnt lgkmcnt(0)
	s_and_b32 s20, s4, 0xffff
	s_mov_b32 s4, exec_lo
	v_mad_u64_u32 v[1:2], null, s15, s20, v[0:1]
	s_delay_alu instid0(VALU_DEP_1) | instskip(NEXT) | instid1(VALU_DEP_1)
	v_lshlrev_b32_e32 v0, 2, v1
	v_cmpx_gt_u32_e64 s16, v0
	s_cbranch_execz .LBB100_59
; %bb.1:
	s_clause 0x3
	s_load_b32 s17, s[0:1], 0xe4
	s_load_b32 s4, s[0:1], 0x1d0
	;; [unrolled: 1-line block ×3, first 2 shown]
	s_load_b64 s[8:9], s[0:1], 0x0
	s_load_b32 s2, s[2:3], 0x0
	s_clause 0x1
	s_load_b64 s[10:11], s[0:1], 0xd8
	s_load_b64 s[12:13], s[0:1], 0x1c8
	v_add_nc_u32_e32 v8, 3, v0
	v_sub_nc_u32_e32 v25, s16, v0
	s_mov_b32 s22, 0
	s_mov_b32 s25, 0
                                        ; implicit-def: $sgpr24
                                        ; implicit-def: $sgpr27
                                        ; implicit-def: $sgpr26
                                        ; implicit-def: $sgpr28
                                        ; implicit-def: $sgpr30
                                        ; implicit-def: $sgpr29
                                        ; implicit-def: $sgpr31
	v_add_nc_u32_e32 v7, 2, v0
	s_waitcnt lgkmcnt(0)
	v_cvt_f32_u32_e32 v2, s17
	s_bitcmp1_b32 s4, 0
	s_clause 0x1
	s_load_b64 s[14:15], s[0:1], 0x144
	s_load_b128 s[4:7], s[0:1], 0x1b8
	s_cselect_b32 s18, -1, 0
	s_sub_i32 s19, 0, s17
	v_rcp_iflag_f32_e32 v2, v2
	v_mul_lo_u32 v24, v0, s23
	v_mul_lo_u32 v28, s23, v8
	s_mul_i32 s2, s2, s20
	v_mov_b32_e32 v4, 0
	s_lshl_b32 s21, s2, 2
                                        ; implicit-def: $sgpr20
	v_mul_lo_u32 v27, s23, v7
	s_waitcnt_depctr 0xfff
	v_dual_mul_f32 v2, 0x4f7ffffe, v2 :: v_dual_add_nc_u32 v29, s23, v24
	s_mul_i32 s23, s21, s23
	s_delay_alu instid0(VALU_DEP_1) | instskip(SKIP_1) | instid1(VALU_DEP_2)
	v_cvt_u32_f32_e32 v5, v2
	v_mad_u64_u32 v[2:3], null, 0xcd9e8d57, v1, 0
	v_mul_lo_u32 v6, s19, v5
	s_delay_alu instid0(VALU_DEP_2) | instskip(NEXT) | instid1(VALU_DEP_2)
	v_mov_b32_e32 v26, v3
	v_mul_hi_u32 v6, v5, v6
	s_delay_alu instid0(VALU_DEP_1)
	v_add_nc_u32_e32 v30, v5, v6
	s_branch .LBB100_3
.LBB100_2:                              ;   in Loop: Header=BB100_3 Depth=1
	s_or_b32 exec_lo, exec_lo, s1
	s_delay_alu instid0(SALU_CYCLE_1) | instskip(NEXT) | instid1(SALU_CYCLE_1)
	s_and_b32 s0, exec_lo, s0
	s_or_b32 s22, s0, s22
	s_and_not1_b32 s0, s20, exec_lo
	s_and_b32 s1, s31, exec_lo
	s_and_not1_b32 s2, s26, exec_lo
	s_and_b32 s3, s29, exec_lo
	s_or_b32 s20, s0, s1
	s_or_b32 s26, s2, s3
	s_and_not1_b32 s0, s27, exec_lo
	s_and_b32 s1, s30, exec_lo
	s_and_not1_b32 s2, s24, exec_lo
	s_and_b32 s3, s28, exec_lo
	s_or_b32 s27, s0, s1
	s_or_b32 s24, s2, s3
	s_and_not1_b32 exec_lo, exec_lo, s22
	s_cbranch_execz .LBB100_47
.LBB100_3:                              ; =>This Inner Loop Header: Depth=1
	v_mov_b32_e32 v7, 0
	v_mov_b32_e32 v8, 0
	v_cmp_lt_i32_e64 s0, 0, v25
	s_delay_alu instid0(VALU_DEP_2) | instskip(NEXT) | instid1(VALU_DEP_2)
	v_dual_mov_b32 v10, v8 :: v_dual_mov_b32 v9, v7
	s_and_saveexec_b32 s1, s0
	s_cbranch_execz .LBB100_5
; %bb.4:                                ;   in Loop: Header=BB100_3 Depth=1
	v_mul_hi_u32 v3, v30, v0
	s_delay_alu instid0(VALU_DEP_1) | instskip(SKIP_1) | instid1(VALU_DEP_2)
	v_not_b32_e32 v11, v3
	v_mad_u64_u32 v[5:6], null, s19, v3, v[0:1]
	v_mad_u64_u32 v[9:10], null, s17, v11, v[0:1]
	s_delay_alu instid0(VALU_DEP_2) | instskip(NEXT) | instid1(VALU_DEP_2)
	v_cmp_le_u32_e32 vcc_lo, s17, v5
	v_dual_cndmask_b32 v5, v5, v9 :: v_dual_add_nc_u32 v6, 1, v3
	s_delay_alu instid0(VALU_DEP_1) | instskip(NEXT) | instid1(VALU_DEP_2)
	v_cndmask_b32_e32 v3, v3, v6, vcc_lo
	v_cmp_le_u32_e32 vcc_lo, s17, v5
	s_delay_alu instid0(VALU_DEP_2) | instskip(NEXT) | instid1(VALU_DEP_1)
	v_add_nc_u32_e32 v6, 1, v3
	v_cndmask_b32_e32 v11, v3, v6, vcc_lo
	s_delay_alu instid0(VALU_DEP_1) | instskip(SKIP_1) | instid1(VALU_DEP_1)
	v_mad_u64_u32 v[5:6], null, s19, v11, v[0:1]
	s_waitcnt lgkmcnt(0)
	v_mul_lo_u32 v3, v5, s15
	s_delay_alu instid0(VALU_DEP_1)
	v_mad_u64_u32 v[9:10], null, v11, s14, v[3:4]
	v_mov_b32_e32 v10, v4
.LBB100_5:                              ;   in Loop: Header=BB100_3 Depth=1
	s_or_b32 exec_lo, exec_lo, s1
	v_cmp_lt_i32_e64 s1, 1, v25
	s_delay_alu instid0(VALU_DEP_1)
	s_and_saveexec_b32 s2, s1
	s_cbranch_execz .LBB100_7
; %bb.6:                                ;   in Loop: Header=BB100_3 Depth=1
	v_add_nc_u32_e32 v3, 1, v0
	s_delay_alu instid0(VALU_DEP_1) | instskip(NEXT) | instid1(VALU_DEP_1)
	v_mul_hi_u32 v5, v3, v30
	v_mul_lo_u32 v6, v5, s17
	s_delay_alu instid0(VALU_DEP_1) | instskip(NEXT) | instid1(VALU_DEP_1)
	v_sub_nc_u32_e32 v6, v3, v6
	v_subrev_nc_u32_e32 v8, s17, v6
	v_cmp_le_u32_e32 vcc_lo, s17, v6
	s_delay_alu instid0(VALU_DEP_2) | instskip(NEXT) | instid1(VALU_DEP_1)
	v_dual_cndmask_b32 v6, v6, v8 :: v_dual_add_nc_u32 v7, 1, v5
	v_cndmask_b32_e32 v5, v5, v7, vcc_lo
	s_delay_alu instid0(VALU_DEP_2) | instskip(NEXT) | instid1(VALU_DEP_2)
	v_cmp_le_u32_e32 vcc_lo, s17, v6
	v_add_nc_u32_e32 v7, 1, v5
	s_delay_alu instid0(VALU_DEP_1) | instskip(NEXT) | instid1(VALU_DEP_1)
	v_cndmask_b32_e32 v5, v5, v7, vcc_lo
	v_mul_lo_u32 v6, v5, s17
	s_delay_alu instid0(VALU_DEP_1) | instskip(SKIP_1) | instid1(VALU_DEP_1)
	v_sub_nc_u32_e32 v3, v3, v6
	s_waitcnt lgkmcnt(0)
	v_mul_lo_u32 v3, v3, s15
	s_delay_alu instid0(VALU_DEP_1)
	v_mad_u64_u32 v[7:8], null, v5, s14, v[3:4]
	v_mov_b32_e32 v8, v4
.LBB100_7:                              ;   in Loop: Header=BB100_3 Depth=1
	s_or_b32 exec_lo, exec_lo, s2
	v_mov_b32_e32 v5, 0
	v_mov_b32_e32 v6, 0
	v_cmp_lt_i32_e64 s2, 2, v25
	s_delay_alu instid0(VALU_DEP_2) | instskip(NEXT) | instid1(VALU_DEP_2)
	v_dual_mov_b32 v12, v6 :: v_dual_mov_b32 v11, v5
	s_and_saveexec_b32 s3, s2
	s_cbranch_execz .LBB100_9
; %bb.8:                                ;   in Loop: Header=BB100_3 Depth=1
	v_add_nc_u32_e32 v3, 2, v0
	s_delay_alu instid0(VALU_DEP_1) | instskip(NEXT) | instid1(VALU_DEP_1)
	v_mul_hi_u32 v11, v3, v30
	v_mul_lo_u32 v12, v11, s17
	v_add_nc_u32_e32 v13, 1, v11
	s_delay_alu instid0(VALU_DEP_2) | instskip(NEXT) | instid1(VALU_DEP_1)
	v_sub_nc_u32_e32 v12, v3, v12
	v_subrev_nc_u32_e32 v14, s17, v12
	v_cmp_le_u32_e32 vcc_lo, s17, v12
	s_delay_alu instid0(VALU_DEP_2) | instskip(NEXT) | instid1(VALU_DEP_1)
	v_dual_cndmask_b32 v11, v11, v13 :: v_dual_cndmask_b32 v12, v12, v14
	v_add_nc_u32_e32 v13, 1, v11
	s_delay_alu instid0(VALU_DEP_2) | instskip(NEXT) | instid1(VALU_DEP_2)
	v_cmp_le_u32_e32 vcc_lo, s17, v12
	v_cndmask_b32_e32 v13, v11, v13, vcc_lo
	s_delay_alu instid0(VALU_DEP_1) | instskip(NEXT) | instid1(VALU_DEP_1)
	v_mul_lo_u32 v11, v13, s17
	v_sub_nc_u32_e32 v3, v3, v11
	s_waitcnt lgkmcnt(0)
	s_delay_alu instid0(VALU_DEP_1) | instskip(NEXT) | instid1(VALU_DEP_1)
	v_mul_lo_u32 v3, v3, s15
	v_mad_u64_u32 v[11:12], null, v13, s14, v[3:4]
	v_mov_b32_e32 v12, v4
.LBB100_9:                              ;   in Loop: Header=BB100_3 Depth=1
	s_or_b32 exec_lo, exec_lo, s3
	v_dual_mov_b32 v14, v6 :: v_dual_mov_b32 v13, v5
	s_mov_b32 s3, exec_lo
	v_cmpx_lt_i32_e32 3, v25
	s_cbranch_execz .LBB100_11
; %bb.10:                               ;   in Loop: Header=BB100_3 Depth=1
	v_add_nc_u32_e32 v3, 3, v0
	s_delay_alu instid0(VALU_DEP_1) | instskip(NEXT) | instid1(VALU_DEP_1)
	v_mul_hi_u32 v5, v3, v30
	v_mul_lo_u32 v6, v5, s17
	v_add_nc_u32_e32 v13, 1, v5
	s_delay_alu instid0(VALU_DEP_2) | instskip(NEXT) | instid1(VALU_DEP_1)
	v_sub_nc_u32_e32 v6, v3, v6
	v_subrev_nc_u32_e32 v14, s17, v6
	v_cmp_le_u32_e32 vcc_lo, s17, v6
	s_delay_alu instid0(VALU_DEP_2) | instskip(NEXT) | instid1(VALU_DEP_1)
	v_dual_cndmask_b32 v5, v5, v13 :: v_dual_cndmask_b32 v6, v6, v14
	v_add_nc_u32_e32 v13, 1, v5
	s_delay_alu instid0(VALU_DEP_2) | instskip(NEXT) | instid1(VALU_DEP_2)
	v_cmp_le_u32_e32 vcc_lo, s17, v6
	v_cndmask_b32_e32 v6, v5, v13, vcc_lo
	s_delay_alu instid0(VALU_DEP_1) | instskip(NEXT) | instid1(VALU_DEP_1)
	v_mul_lo_u32 v5, v6, s17
	v_sub_nc_u32_e32 v3, v3, v5
	s_waitcnt lgkmcnt(0)
	s_delay_alu instid0(VALU_DEP_1) | instskip(SKIP_1) | instid1(VALU_DEP_2)
	v_mul_lo_u32 v5, v3, s15
	v_add_nc_u32_e32 v3, s25, v28
	v_mad_u64_u32 v[13:14], null, v6, s14, v[5:6]
	v_mov_b32_e32 v6, v4
	s_delay_alu instid0(VALU_DEP_3)
	v_dual_mov_b32 v14, v4 :: v_dual_mov_b32 v5, v3
.LBB100_11:                             ;   in Loop: Header=BB100_3 Depth=1
	s_or_b32 exec_lo, exec_lo, s3
	v_lshlrev_b64 v[9:10], 2, v[9:10]
	v_lshlrev_b64 v[7:8], 2, v[7:8]
	;; [unrolled: 1-line block ×4, first 2 shown]
	s_delay_alu instid0(VALU_DEP_4)
	v_add_co_u32 v9, vcc_lo, s10, v9
	v_add_co_ci_u32_e32 v10, vcc_lo, s11, v10, vcc_lo
	v_add_co_u32 v7, vcc_lo, s10, v7
	v_add_co_ci_u32_e32 v8, vcc_lo, s11, v8, vcc_lo
	;; [unrolled: 2-line block ×4, first 2 shown]
	s_clause 0x3
	global_load_b32 v31, v[9:10], off
	global_load_b32 v32, v[7:8], off
	;; [unrolled: 1-line block ×4, first 2 shown]
	s_waitcnt lgkmcnt(0)
	v_dual_mov_b32 v12, s7 :: v_dual_mov_b32 v11, s6
	v_dual_mov_b32 v14, s5 :: v_dual_mov_b32 v13, s4
	s_and_not1_b32 vcc_lo, exec_lo, s18
	s_cbranch_vccnz .LBB100_13
; %bb.12:                               ;   in Loop: Header=BB100_3 Depth=1
	v_dual_mov_b32 v8, s7 :: v_dual_mov_b32 v7, s6
	v_dual_mov_b32 v10, s5 :: v_dual_mov_b32 v9, s4
	flat_load_b64 v[7:8], v[7:8]
	flat_load_b64 v[13:14], v[9:10]
	s_waitcnt vmcnt(1) lgkmcnt(1)
	v_add_co_u32 v11, vcc_lo, v7, s12
	v_add_co_ci_u32_e32 v12, vcc_lo, s13, v8, vcc_lo
.LBB100_13:                             ;   in Loop: Header=BB100_3 Depth=1
	s_delay_alu instid0(VALU_DEP_1)
	v_alignbit_b32 v10, v12, v11, 2
	v_lshrrev_b32_e32 v9, 2, v12
	s_waitcnt vmcnt(0) lgkmcnt(0)
	v_add_nc_u32_e32 v35, 0xbb67ae85, v14
	v_add_nc_u32_e32 v36, 0x76cf5d0a, v14
	;; [unrolled: 1-line block ×3, first 2 shown]
	v_add_co_u32 v12, vcc_lo, v10, 1
	s_delay_alu instid0(VALU_DEP_1) | instskip(SKIP_4) | instid1(VALU_DEP_4)
	v_cndmask_b32_e64 v7, 0, 1, vcc_lo
	v_add_co_ci_u32_e32 v21, vcc_lo, 0, v9, vcc_lo
	v_xor3_b32 v17, v26, v13, v9
	v_add_nc_u32_e32 v38, 0x32370b8f, v14
	v_add_nc_u32_e32 v39, 0xed9eba14, v14
	v_cmp_eq_u32_e32 vcc_lo, 0, v21
	v_add_nc_u32_e32 v40, 0x1715609d, v13
	v_add_nc_u32_e32 v41, 0xa9066899, v14
	s_mov_b32 s3, exec_lo
	v_dual_cndmask_b32 v15, 0, v7 :: v_dual_add_nc_u32 v34, 0x9e3779b9, v13
	v_mad_u64_u32 v[7:8], null, 0xd2511f53, v12, 0
	s_delay_alu instid0(VALU_DEP_2) | instskip(NEXT) | instid1(VALU_DEP_2)
	v_add_nc_u32_e32 v12, v15, v1
	v_xor_b32_e32 v16, v8, v14
	s_delay_alu instid0(VALU_DEP_2) | instskip(SKIP_2) | instid1(VALU_DEP_1)
	v_cmp_eq_u32_e32 vcc_lo, 0, v12
	v_mad_u64_u32 v[8:9], null, 0xd2511f53, v10, 0
	v_cndmask_b32_e32 v15, 0, v15, vcc_lo
	v_xor_b32_e32 v10, v15, v16
	v_mad_u64_u32 v[15:16], null, 0xd2511f53, v17, 0
	v_mad_u64_u32 v[17:18], null, 0xcd9e8d57, v12, 0
	s_delay_alu instid0(VALU_DEP_3) | instskip(SKIP_3) | instid1(VALU_DEP_3)
	v_mad_u64_u32 v[19:20], null, 0xcd9e8d57, v10, 0
	v_xor_b32_e32 v10, v9, v14
	v_add_nc_u32_e32 v12, 0x3c6ef372, v13
	v_xor3_b32 v22, v35, v16, v8
	v_mad_u64_u32 v[8:9], null, 0xcd9e8d57, v10, 0
	v_xor3_b32 v10, v18, v13, v21
	v_xor3_b32 v18, v34, v20, v17
	s_delay_alu instid0(VALU_DEP_4) | instskip(NEXT) | instid1(VALU_DEP_3)
	v_mad_u64_u32 v[16:17], null, 0xcd9e8d57, v22, 0
	v_mad_u64_u32 v[20:21], null, 0xd2511f53, v10, 0
	s_delay_alu instid0(VALU_DEP_3) | instskip(SKIP_1) | instid1(VALU_DEP_4)
	v_mad_u64_u32 v[22:23], null, 0xd2511f53, v18, 0
	v_xor3_b32 v10, v2, v9, v34
	v_xor3_b32 v34, v12, v17, v8
	s_delay_alu instid0(VALU_DEP_4) | instskip(NEXT) | instid1(VALU_DEP_3)
	v_xor3_b32 v7, v35, v21, v7
	v_mad_u64_u32 v[8:9], null, 0xd2511f53, v10, 0
	v_xor3_b32 v10, v36, v23, v20
	s_delay_alu instid0(VALU_DEP_4) | instskip(NEXT) | instid1(VALU_DEP_4)
	v_mad_u64_u32 v[17:18], null, 0xd2511f53, v34, 0
	v_mad_u64_u32 v[20:21], null, 0xcd9e8d57, v7, 0
	s_delay_alu instid0(VALU_DEP_3) | instskip(SKIP_4) | instid1(VALU_DEP_4)
	v_mad_u64_u32 v[34:35], null, 0xcd9e8d57, v10, 0
	v_xor3_b32 v9, v36, v9, v15
	v_add_nc_u32_e32 v23, 0x78dde6e4, v13
	v_xor3_b32 v15, v38, v18, v8
	v_xor3_b32 v12, v12, v21, v19
	v_mad_u64_u32 v[7:8], null, 0xcd9e8d57, v9, 0
	v_xor3_b32 v35, v37, v35, v20
	s_delay_alu instid0(VALU_DEP_4) | instskip(NEXT) | instid1(VALU_DEP_4)
	v_mad_u64_u32 v[9:10], null, 0xcd9e8d57, v15, 0
	v_mad_u64_u32 v[18:19], null, 0xd2511f53, v12, 0
	s_delay_alu instid0(VALU_DEP_3) | instskip(SKIP_1) | instid1(VALU_DEP_4)
	v_mad_u64_u32 v[20:21], null, 0xd2511f53, v35, 0
	v_xor3_b32 v12, v37, v8, v16
	v_xor3_b32 v10, v23, v10, v7
	s_delay_alu instid0(VALU_DEP_2) | instskip(SKIP_2) | instid1(VALU_DEP_4)
	v_mad_u64_u32 v[7:8], null, 0xd2511f53, v12, 0
	v_xor3_b32 v12, v38, v19, v22
	v_xor3_b32 v18, v39, v21, v18
	v_mad_u64_u32 v[21:22], null, 0xd2511f53, v10, 0
	s_delay_alu instid0(VALU_DEP_3) | instskip(NEXT) | instid1(VALU_DEP_3)
	v_mad_u64_u32 v[15:16], null, 0xcd9e8d57, v12, 0
	v_mad_u64_u32 v[35:36], null, 0xcd9e8d57, v18, 0
	v_xor3_b32 v10, v39, v8, v17
	s_delay_alu instid0(VALU_DEP_4) | instskip(SKIP_2) | instid1(VALU_DEP_4)
	v_xor3_b32 v18, v41, v22, v7
	v_add_nc_u32_e32 v12, 0xb54cda56, v13
	v_add_nc_u32_e32 v17, 0x646e171e, v14
	v_mad_u64_u32 v[7:8], null, 0xcd9e8d57, v10, 0
	v_xor3_b32 v10, v23, v16, v34
	v_xor3_b32 v19, v40, v36, v15
	v_mad_u64_u32 v[36:37], null, 0xcd9e8d57, v18, 0
	v_add_nc_u32_e32 v23, 0x5384540f, v13
	s_delay_alu instid0(VALU_DEP_4) | instskip(NEXT) | instid1(VALU_DEP_4)
	v_mad_u64_u32 v[15:16], null, 0xd2511f53, v10, 0
	v_mad_u64_u32 v[38:39], null, 0xd2511f53, v19, 0
	v_xor3_b32 v9, v40, v8, v9
	v_xor3_b32 v10, v12, v37, v7
	v_add_nc_u32_e32 v40, 0x1fd5c5a3, v14
	v_add_co_u32 v34, null, 0xf1bbcdc8, v13
	v_xor3_b32 v18, v41, v16, v20
	v_xor3_b32 v20, v17, v39, v15
	v_mad_u64_u32 v[7:8], null, 0xd2511f53, v9, 0
	v_mad_u64_u32 v[15:16], null, 0xd2511f53, v10, 0
	s_delay_alu instid0(VALU_DEP_4) | instskip(NEXT) | instid1(VALU_DEP_4)
	v_mad_u64_u32 v[9:10], null, 0xcd9e8d57, v18, 0
	v_mad_u64_u32 v[18:19], null, 0xcd9e8d57, v20, 0
	s_delay_alu instid0(VALU_DEP_4) | instskip(NEXT) | instid1(VALU_DEP_4)
	v_xor3_b32 v17, v17, v8, v21
	v_xor3_b32 v20, v40, v16, v7
	s_delay_alu instid0(VALU_DEP_4) | instskip(NEXT) | instid1(VALU_DEP_3)
	v_xor3_b32 v12, v12, v10, v35
	v_mad_u64_u32 v[7:8], null, 0xcd9e8d57, v17, 0
	v_xor3_b32 v19, v23, v19, v9
	s_delay_alu instid0(VALU_DEP_4) | instskip(NEXT) | instid1(VALU_DEP_4)
	v_mad_u64_u32 v[16:17], null, 0xcd9e8d57, v20, 0
	v_mad_u64_u32 v[9:10], null, 0xd2511f53, v12, 0
	s_delay_alu instid0(VALU_DEP_3)
	v_mad_u64_u32 v[21:22], null, 0xd2511f53, v19, 0
	v_add_nc_u32_e32 v35, 0xdb3d7428, v14
	v_xor3_b32 v8, v23, v8, v36
	v_xor3_b32 v12, v34, v17, v7
	v_add_nc_u32_e32 v36, 0x96a522ad, v14
	v_xor3_b32 v10, v40, v10, v38
	v_and_b32_e32 v14, 3, v11
	v_xor3_b32 v17, v35, v22, v9
	v_mad_u64_u32 v[19:20], null, 0xd2511f53, v8, 0
	v_mad_u64_u32 v[7:8], null, 0xd2511f53, v12, 0
	;; [unrolled: 1-line block ×3, first 2 shown]
	s_delay_alu instid0(VALU_DEP_4) | instskip(SKIP_1) | instid1(VALU_DEP_4)
	v_mad_u64_u32 v[9:10], null, 0xcd9e8d57, v17, 0
	v_add_nc_u32_e32 v17, 0x8ff34781, v13
                                        ; implicit-def: $vgpr12
	v_xor3_b32 v13, v8, v19, v36
	s_delay_alu instid0(VALU_DEP_2)
	v_xor3_b32 v8, v10, v22, v17
	v_cmpx_lt_i32_e32 1, v14
	s_xor_b32 s3, exec_lo, s3
	s_cbranch_execz .LBB100_19
; %bb.14:                               ;   in Loop: Header=BB100_3 Depth=1
	s_mov_b32 s33, exec_lo
                                        ; implicit-def: $vgpr12
	v_cmpx_lt_i32_e32 2, v14
	s_xor_b32 s33, exec_lo, s33
; %bb.15:                               ;   in Loop: Header=BB100_3 Depth=1
	v_xor3_b32 v10, v34, v23, v18
                                        ; implicit-def: $vgpr13
	s_delay_alu instid0(VALU_DEP_1) | instskip(NEXT) | instid1(VALU_DEP_1)
	v_mul_hi_u32 v10, 0xd2511f53, v10
	v_xor3_b32 v12, v10, v21, v36
; %bb.16:                               ;   in Loop: Header=BB100_3 Depth=1
	s_and_not1_saveexec_b32 s33, s33
; %bb.17:                               ;   in Loop: Header=BB100_3 Depth=1
	v_dual_mov_b32 v12, v9 :: v_dual_mov_b32 v9, v8
	v_dual_mov_b32 v8, v7 :: v_dual_mov_b32 v7, v13
; %bb.18:                               ;   in Loop: Header=BB100_3 Depth=1
	s_or_b32 exec_lo, exec_lo, s33
                                        ; implicit-def: $vgpr15_vgpr16
                                        ; implicit-def: $vgpr14
                                        ; implicit-def: $vgpr13
                                        ; implicit-def: $vgpr35
                                        ; implicit-def: $vgpr19_vgpr20
                                        ; implicit-def: $vgpr16_vgpr17
                                        ; implicit-def: $vgpr17
.LBB100_19:                             ;   in Loop: Header=BB100_3 Depth=1
	s_and_not1_saveexec_b32 s3, s3
	s_cbranch_execz .LBB100_23
; %bb.20:                               ;   in Loop: Header=BB100_3 Depth=1
	v_xor3_b32 v9, v35, v20, v15
	v_cmp_eq_u32_e32 vcc_lo, 1, v14
	v_mov_b32_e32 v12, v7
	s_delay_alu instid0(VALU_DEP_3) | instskip(SKIP_1) | instid1(VALU_DEP_2)
	v_mad_u64_u32 v[10:11], null, 0xcd9e8d57, v9, 0
	v_mov_b32_e32 v9, v13
	v_xor3_b32 v14, v11, v16, v17
	s_delay_alu instid0(VALU_DEP_3)
	v_mov_b32_e32 v11, v10
	s_and_saveexec_b32 s33, vcc_lo
; %bb.21:                               ;   in Loop: Header=BB100_3 Depth=1
	v_dual_mov_b32 v12, v8 :: v_dual_mov_b32 v9, v7
	v_dual_mov_b32 v11, v13 :: v_dual_mov_b32 v14, v10
; %bb.22:                               ;   in Loop: Header=BB100_3 Depth=1
	s_or_b32 exec_lo, exec_lo, s33
	s_delay_alu instid0(VALU_DEP_1)
	v_dual_mov_b32 v7, v14 :: v_dual_mov_b32 v8, v11
.LBB100_23:                             ;   in Loop: Header=BB100_3 Depth=1
	s_or_b32 exec_lo, exec_lo, s3
	v_min_i32_e32 v10, 4, v25
	s_mov_b32 s33, 0
	s_mov_b32 s38, 0
	s_mov_b32 s36, exec_lo
                                        ; implicit-def: $sgpr3
                                        ; implicit-def: $sgpr34
                                        ; implicit-def: $sgpr35
	s_delay_alu instid0(VALU_DEP_1)
	v_cmpx_lt_i32_e32 2, v10
	s_xor_b32 s36, exec_lo, s36
	s_cbranch_execz .LBB100_33
; %bb.24:                               ;   in Loop: Header=BB100_3 Depth=1
	s_mov_b32 s3, -1
	s_mov_b32 s35, exec_lo
                                        ; implicit-def: $sgpr34
                                        ; implicit-def: $sgpr37
	v_cmpx_lt_i32_e32 3, v10
	s_cbranch_execz .LBB100_28
; %bb.25:                               ;   in Loop: Header=BB100_3 Depth=1
	v_cmp_le_f32_e32 vcc_lo, 0, v3
	v_cmp_ge_f32_e64 s3, 1.0, v3
	s_mov_b32 s34, 0
	s_delay_alu instid0(VALU_DEP_1)
	s_and_b32 s38, vcc_lo, s3
	s_mov_b32 s3, 0
	s_and_saveexec_b32 s37, s38
	s_cbranch_execz .LBB100_27
; %bb.26:                               ;   in Loop: Header=BB100_3 Depth=1
	v_cvt_f32_u32_e32 v11, v12
	v_lshlrev_b64 v[5:6], 1, v[5:6]
	s_mov_b32 s3, exec_lo
	s_delay_alu instid0(VALU_DEP_2) | instskip(NEXT) | instid1(VALU_DEP_2)
	v_fmaak_f32 v11, 0x2f800000, v11, 0x2f800000
	v_add_co_u32 v5, vcc_lo, s8, v5
	s_delay_alu instid0(VALU_DEP_3) | instskip(NEXT) | instid1(VALU_DEP_3)
	v_add_co_ci_u32_e32 v6, vcc_lo, s9, v6, vcc_lo
	v_cmp_le_f32_e32 vcc_lo, v11, v3
	v_cndmask_b32_e64 v3, 0, 1.0, vcc_lo
	global_store_d16_hi_b16 v[5:6], v3, off
.LBB100_27:                             ;   in Loop: Header=BB100_3 Depth=1
	s_or_b32 exec_lo, exec_lo, s37
	s_mov_b32 s37, -1
	s_or_not1_b32 s3, s3, exec_lo
.LBB100_28:                             ;   in Loop: Header=BB100_3 Depth=1
	s_or_b32 exec_lo, exec_lo, s35
	s_mov_b32 s38, 0
	s_mov_b32 s39, s34
	s_and_saveexec_b32 s35, s3
	s_cbranch_execz .LBB100_32
; %bb.29:                               ;   in Loop: Header=BB100_3 Depth=1
	v_cmp_le_f32_e32 vcc_lo, 0, v33
	v_cmp_ge_f32_e64 s3, 1.0, v33
	s_delay_alu instid0(VALU_DEP_1) | instskip(SKIP_2) | instid1(SALU_CYCLE_1)
	s_and_b32 s38, vcc_lo, s3
	s_mov_b32 s3, 0
	s_and_saveexec_b32 s39, s38
	s_xor_b32 s38, exec_lo, s39
	s_cbranch_execz .LBB100_31
; %bb.30:                               ;   in Loop: Header=BB100_3 Depth=1
	v_add_nc_u32_e32 v3, s25, v27
	v_cvt_f32_u32_e32 v9, v9
	s_mov_b32 s3, exec_lo
	s_delay_alu instid0(VALU_DEP_2) | instskip(NEXT) | instid1(VALU_DEP_1)
	v_cndmask_b32_e64 v3, 0, v3, s2
	v_lshlrev_b64 v[5:6], 1, v[3:4]
	s_delay_alu instid0(VALU_DEP_3) | instskip(NEXT) | instid1(VALU_DEP_2)
	v_fmaak_f32 v3, 0x2f800000, v9, 0x2f800000
	v_add_co_u32 v5, vcc_lo, s8, v5
	s_delay_alu instid0(VALU_DEP_3) | instskip(NEXT) | instid1(VALU_DEP_3)
	v_add_co_ci_u32_e32 v6, vcc_lo, s9, v6, vcc_lo
	v_cmp_le_f32_e32 vcc_lo, v3, v33
	v_cndmask_b32_e64 v3, 0, 1.0, vcc_lo
	global_store_d16_hi_b16 v[5:6], v3, off
.LBB100_31:                             ;   in Loop: Header=BB100_3 Depth=1
	s_or_b32 exec_lo, exec_lo, s38
	s_delay_alu instid0(SALU_CYCLE_1)
	s_and_not1_b32 s39, s34, exec_lo
	s_or_b32 s34, s34, exec_lo
	s_and_not1_b32 s37, s37, exec_lo
	s_and_b32 s38, s3, exec_lo
.LBB100_32:                             ;   in Loop: Header=BB100_3 Depth=1
	s_or_b32 exec_lo, exec_lo, s35
	s_delay_alu instid0(SALU_CYCLE_1)
	s_and_b32 s35, s39, exec_lo
	s_and_b32 s34, s34, exec_lo
	;; [unrolled: 1-line block ×4, first 2 shown]
.LBB100_33:                             ;   in Loop: Header=BB100_3 Depth=1
	s_and_not1_saveexec_b32 s2, s36
; %bb.34:                               ;   in Loop: Header=BB100_3 Depth=1
	v_cmp_lt_i32_e32 vcc_lo, 1, v10
	s_and_not1_b32 s36, s38, exec_lo
	s_mov_b32 s33, exec_lo
	s_and_not1_b32 s35, s35, exec_lo
	s_and_not1_b32 s34, s34, exec_lo
	s_and_b32 s37, vcc_lo, exec_lo
	s_and_not1_b32 s3, s3, exec_lo
	s_or_b32 s38, s36, s37
; %bb.35:                               ;   in Loop: Header=BB100_3 Depth=1
	s_or_b32 exec_lo, exec_lo, s2
	s_mov_b32 s36, 0
	s_mov_b32 s37, 0
	;; [unrolled: 1-line block ×3, first 2 shown]
	s_and_saveexec_b32 s39, s38
	s_cbranch_execnz .LBB100_38
; %bb.36:                               ;   in Loop: Header=BB100_3 Depth=1
	s_or_b32 exec_lo, exec_lo, s39
	s_and_saveexec_b32 s1, s33
	s_cbranch_execnz .LBB100_41
.LBB100_37:                             ;   in Loop: Header=BB100_3 Depth=1
	s_or_b32 exec_lo, exec_lo, s1
	s_and_saveexec_b32 s33, s37
	s_cbranch_execnz .LBB100_42
	s_branch .LBB100_45
.LBB100_38:                             ;   in Loop: Header=BB100_3 Depth=1
	v_cmp_le_f32_e32 vcc_lo, 0, v32
	v_cmp_ge_f32_e64 s2, 1.0, v32
	s_delay_alu instid0(VALU_DEP_1) | instskip(NEXT) | instid1(SALU_CYCLE_1)
	s_and_b32 s2, vcc_lo, s2
	s_and_saveexec_b32 s38, s2
	s_delay_alu instid0(SALU_CYCLE_1)
	s_xor_b32 s2, exec_lo, s38
	s_cbranch_execz .LBB100_40
; %bb.39:                               ;   in Loop: Header=BB100_3 Depth=1
	v_add_nc_u32_e32 v3, s25, v29
	v_cvt_f32_u32_e32 v8, v8
	s_mov_b32 s37, exec_lo
	s_delay_alu instid0(VALU_DEP_2) | instskip(NEXT) | instid1(VALU_DEP_1)
	v_cndmask_b32_e64 v3, 0, v3, s1
	v_lshlrev_b64 v[5:6], 1, v[3:4]
	s_delay_alu instid0(VALU_DEP_3) | instskip(NEXT) | instid1(VALU_DEP_2)
	v_fmaak_f32 v3, 0x2f800000, v8, 0x2f800000
	v_add_co_u32 v5, vcc_lo, s8, v5
	s_delay_alu instid0(VALU_DEP_3) | instskip(NEXT) | instid1(VALU_DEP_3)
	v_add_co_ci_u32_e32 v6, vcc_lo, s9, v6, vcc_lo
	v_cmp_le_f32_e32 vcc_lo, v3, v32
	v_cndmask_b32_e64 v3, 0, 1.0, vcc_lo
	global_store_d16_hi_b16 v[5:6], v3, off
.LBB100_40:                             ;   in Loop: Header=BB100_3 Depth=1
	s_or_b32 exec_lo, exec_lo, s2
	s_delay_alu instid0(SALU_CYCLE_1)
	s_and_not1_b32 s2, s35, exec_lo
	s_or_b32 s35, s35, exec_lo
	s_and_not1_b32 s34, s34, exec_lo
	s_and_not1_b32 s3, s3, exec_lo
	s_and_b32 s37, s37, exec_lo
	s_and_not1_b32 s33, s33, exec_lo
	s_or_b32 exec_lo, exec_lo, s39
	s_and_saveexec_b32 s1, s33
	s_cbranch_execz .LBB100_37
.LBB100_41:                             ;   in Loop: Header=BB100_3 Depth=1
	v_cmp_eq_u32_e32 vcc_lo, 1, v10
	s_and_not1_b32 s33, s37, exec_lo
	s_mov_b32 s36, exec_lo
	s_and_not1_b32 s2, s2, exec_lo
	s_and_not1_b32 s35, s35, exec_lo
	s_and_b32 s37, vcc_lo, exec_lo
	s_and_not1_b32 s34, s34, exec_lo
	s_and_not1_b32 s3, s3, exec_lo
	s_or_b32 s37, s33, s37
	s_or_b32 exec_lo, exec_lo, s1
	s_and_saveexec_b32 s33, s37
	s_cbranch_execz .LBB100_45
.LBB100_42:                             ;   in Loop: Header=BB100_3 Depth=1
	v_cmp_le_f32_e32 vcc_lo, 0, v31
	v_cmp_ge_f32_e64 s1, 1.0, v31
	s_delay_alu instid0(VALU_DEP_1)
	s_and_b32 s38, vcc_lo, s1
	s_mov_b32 s1, 0
	s_and_saveexec_b32 s37, s38
	s_cbranch_execz .LBB100_44
; %bb.43:                               ;   in Loop: Header=BB100_3 Depth=1
	v_add_nc_u32_e32 v3, s25, v24
	v_cvt_f32_u32_e32 v7, v7
	s_mov_b32 s1, exec_lo
	s_delay_alu instid0(VALU_DEP_2) | instskip(NEXT) | instid1(VALU_DEP_1)
	v_cndmask_b32_e64 v3, 0, v3, s0
	v_lshlrev_b64 v[5:6], 1, v[3:4]
	s_delay_alu instid0(VALU_DEP_3) | instskip(NEXT) | instid1(VALU_DEP_2)
	v_fmaak_f32 v3, 0x2f800000, v7, 0x2f800000
	v_add_co_u32 v5, vcc_lo, s8, v5
	s_delay_alu instid0(VALU_DEP_3) | instskip(NEXT) | instid1(VALU_DEP_3)
	v_add_co_ci_u32_e32 v6, vcc_lo, s9, v6, vcc_lo
	v_cmp_le_f32_e32 vcc_lo, v3, v31
	v_cndmask_b32_e64 v3, 0, 1.0, vcc_lo
	global_store_d16_hi_b16 v[5:6], v3, off
.LBB100_44:                             ;   in Loop: Header=BB100_3 Depth=1
	s_or_b32 exec_lo, exec_lo, s37
	s_delay_alu instid0(SALU_CYCLE_1)
	s_and_not1_b32 s0, s36, exec_lo
	s_and_b32 s1, s1, exec_lo
	s_or_b32 s2, s2, exec_lo
	s_and_not1_b32 s35, s35, exec_lo
	s_and_not1_b32 s34, s34, exec_lo
	s_and_not1_b32 s3, s3, exec_lo
	s_or_b32 s36, s0, s1
.LBB100_45:                             ;   in Loop: Header=BB100_3 Depth=1
	s_or_b32 exec_lo, exec_lo, s33
	s_delay_alu instid0(SALU_CYCLE_1)
	s_and_not1_b32 s1, s31, exec_lo
	s_and_b32 s2, s2, exec_lo
	s_and_not1_b32 s29, s29, exec_lo
	s_and_b32 s33, s35, exec_lo
	s_or_b32 s31, s1, s2
	s_and_not1_b32 s1, s30, exec_lo
	s_and_b32 s2, s34, exec_lo
	s_and_not1_b32 s28, s28, exec_lo
	s_and_b32 s3, s3, exec_lo
	s_mov_b32 s0, -1
	s_or_b32 s29, s29, s33
	s_or_b32 s30, s1, s2
	;; [unrolled: 1-line block ×3, first 2 shown]
	s_and_saveexec_b32 s1, s36
	s_cbranch_execz .LBB100_2
; %bb.46:                               ;   in Loop: Header=BB100_3 Depth=1
	v_add_nc_u32_e32 v0, s21, v0
	v_subrev_nc_u32_e32 v25, s21, v25
	s_add_i32 s25, s25, s23
	s_and_not1_b32 s31, s31, exec_lo
	s_and_not1_b32 s29, s29, exec_lo
	v_cmp_le_u32_e32 vcc_lo, s16, v0
	s_and_not1_b32 s30, s30, exec_lo
	s_and_not1_b32 s28, s28, exec_lo
	s_or_not1_b32 s0, vcc_lo, exec_lo
	s_branch .LBB100_2
.LBB100_47:
	s_or_b32 exec_lo, exec_lo, s22
	s_xor_b32 s3, s26, -1
	s_xor_b32 s4, s27, -1
	;; [unrolled: 1-line block ×3, first 2 shown]
	s_mov_b32 s1, 0
	s_and_saveexec_b32 s2, s0
	s_delay_alu instid0(SALU_CYCLE_1)
	s_xor_b32 s0, exec_lo, s2
	s_cbranch_execz .LBB100_56
; %bb.48:
	s_mov_b32 s2, 0
	s_and_saveexec_b32 s1, s4
	s_delay_alu instid0(SALU_CYCLE_1)
	s_xor_b32 s1, exec_lo, s1
	s_cbranch_execz .LBB100_54
; %bb.49:
	s_and_saveexec_b32 s4, s3
	s_delay_alu instid0(SALU_CYCLE_1)
	s_xor_b32 s3, exec_lo, s4
	s_cbranch_execz .LBB100_52
; %bb.50:
	s_and_saveexec_b32 s4, s20
	s_delay_alu instid0(SALU_CYCLE_1)
	s_xor_b32 s4, exec_lo, s4
	s_cbranch_execnz .LBB100_70
.LBB100_51:
	s_or_b32 exec_lo, exec_lo, s4
	s_delay_alu instid0(SALU_CYCLE_1)
	s_and_b32 s2, s2, exec_lo
.LBB100_52:
	s_and_not1_saveexec_b32 s3, s3
	s_cbranch_execnz .LBB100_66
.LBB100_53:
	s_or_b32 exec_lo, exec_lo, s3
	s_delay_alu instid0(SALU_CYCLE_1)
	s_and_b32 s2, s2, exec_lo
.LBB100_54:
	s_and_not1_saveexec_b32 s1, s1
	s_cbranch_execnz .LBB100_62
.LBB100_55:
	s_or_b32 exec_lo, exec_lo, s1
	s_delay_alu instid0(SALU_CYCLE_1)
	s_and_b32 s1, s2, exec_lo
.LBB100_56:
	s_and_not1_saveexec_b32 s0, s0
	s_cbranch_execnz .LBB100_60
; %bb.57:
	s_or_b32 exec_lo, exec_lo, s0
	s_delay_alu instid0(SALU_CYCLE_1)
	s_and_b32 exec_lo, exec_lo, s1
.LBB100_58:
	; divergent unreachable
.LBB100_59:
	s_nop 0
	s_sendmsg sendmsg(MSG_DEALLOC_VGPRS)
	s_endpgm
.LBB100_60:
	s_cbranch_execnz .LBB100_64
; %bb.61:
	s_or_b32 s1, s1, exec_lo
	s_or_b32 exec_lo, exec_lo, s0
	s_delay_alu instid0(SALU_CYCLE_1)
	s_and_b32 exec_lo, exec_lo, s1
	s_cbranch_execnz .LBB100_58
	s_branch .LBB100_59
.LBB100_62:
	s_cbranch_execnz .LBB100_68
; %bb.63:
	s_or_b32 s2, s2, exec_lo
	s_branch .LBB100_55
.LBB100_64:
	s_trap 2
	s_sendmsg_rtn_b32 s0, sendmsg(MSG_RTN_GET_DOORBELL)
	s_mov_b32 ttmp2, m0
	s_waitcnt lgkmcnt(0)
	s_and_b32 s0, s0, 0x3ff
	s_delay_alu instid0(SALU_CYCLE_1) | instskip(NEXT) | instid1(SALU_CYCLE_1)
	s_bitset1_b32 s0, 10
	s_mov_b32 m0, s0
	s_sendmsg sendmsg(MSG_INTERRUPT)
	s_mov_b32 m0, ttmp2
.LBB100_65:                             ; =>This Inner Loop Header: Depth=1
	s_sethalt 5
	s_branch .LBB100_65
.LBB100_66:
	s_cbranch_execnz .LBB100_72
; %bb.67:
	s_or_b32 s2, s2, exec_lo
	s_branch .LBB100_53
.LBB100_68:
	s_trap 2
	s_sendmsg_rtn_b32 s0, sendmsg(MSG_RTN_GET_DOORBELL)
	s_mov_b32 ttmp2, m0
	s_waitcnt lgkmcnt(0)
	s_and_b32 s0, s0, 0x3ff
	s_delay_alu instid0(SALU_CYCLE_1) | instskip(NEXT) | instid1(SALU_CYCLE_1)
	s_bitset1_b32 s0, 10
	s_mov_b32 m0, s0
	s_sendmsg sendmsg(MSG_INTERRUPT)
	s_mov_b32 m0, ttmp2
.LBB100_69:                             ; =>This Inner Loop Header: Depth=1
	s_sethalt 5
	s_branch .LBB100_69
.LBB100_70:
	s_cbranch_execnz .LBB100_74
; %bb.71:
	s_mov_b32 s2, exec_lo
	s_branch .LBB100_51
.LBB100_72:
	s_trap 2
	s_sendmsg_rtn_b32 s0, sendmsg(MSG_RTN_GET_DOORBELL)
	s_mov_b32 ttmp2, m0
	s_waitcnt lgkmcnt(0)
	s_and_b32 s0, s0, 0x3ff
	s_delay_alu instid0(SALU_CYCLE_1) | instskip(NEXT) | instid1(SALU_CYCLE_1)
	s_bitset1_b32 s0, 10
	s_mov_b32 m0, s0
	s_sendmsg sendmsg(MSG_INTERRUPT)
	s_mov_b32 m0, ttmp2
.LBB100_73:                             ; =>This Inner Loop Header: Depth=1
	s_sethalt 5
	s_branch .LBB100_73
.LBB100_74:
	s_trap 2
	s_sendmsg_rtn_b32 s0, sendmsg(MSG_RTN_GET_DOORBELL)
	s_mov_b32 ttmp2, m0
	s_waitcnt lgkmcnt(0)
	s_and_b32 s0, s0, 0x3ff
	s_delay_alu instid0(SALU_CYCLE_1) | instskip(NEXT) | instid1(SALU_CYCLE_1)
	s_bitset1_b32 s0, 10
	s_mov_b32 m0, s0
	s_sendmsg sendmsg(MSG_INTERRUPT)
	s_mov_b32 m0, ttmp2
.LBB100_75:                             ; =>This Inner Loop Header: Depth=1
	s_sethalt 5
	s_branch .LBB100_75
	.section	.rodata,"a",@progbits
	.p2align	6, 0x0
	.amdhsa_kernel _ZN2at4cuda12_GLOBAL__N_121kernelPointwiseApply2IZNS_6native9templates4cuda28bernoulli_tensor_cuda_kernelIN3c108BFloat16EfEEvRKNS_10TensorBaseESB_NS_15PhiloxCudaStateEEUliRS8_SD_SD_SD_RKfSF_SF_SF_E_S8_SE_jLi1ELi2ELi4ELi512ELi2EEEvNS0_6detail10TensorInfoIT0_T2_EENSI_IT1_SK_EESK_T_
		.amdhsa_group_segment_fixed_size 0
		.amdhsa_private_segment_fixed_size 0
		.amdhsa_kernarg_size 728
		.amdhsa_user_sgpr_count 15
		.amdhsa_user_sgpr_dispatch_ptr 0
		.amdhsa_user_sgpr_queue_ptr 0
		.amdhsa_user_sgpr_kernarg_segment_ptr 1
		.amdhsa_user_sgpr_dispatch_id 0
		.amdhsa_user_sgpr_private_segment_size 0
		.amdhsa_wavefront_size32 1
		.amdhsa_uses_dynamic_stack 0
		.amdhsa_enable_private_segment 0
		.amdhsa_system_sgpr_workgroup_id_x 1
		.amdhsa_system_sgpr_workgroup_id_y 0
		.amdhsa_system_sgpr_workgroup_id_z 0
		.amdhsa_system_sgpr_workgroup_info 0
		.amdhsa_system_vgpr_workitem_id 0
		.amdhsa_next_free_vgpr 42
		.amdhsa_next_free_sgpr 40
		.amdhsa_reserve_vcc 1
		.amdhsa_float_round_mode_32 0
		.amdhsa_float_round_mode_16_64 0
		.amdhsa_float_denorm_mode_32 3
		.amdhsa_float_denorm_mode_16_64 3
		.amdhsa_dx10_clamp 1
		.amdhsa_ieee_mode 1
		.amdhsa_fp16_overflow 0
		.amdhsa_workgroup_processor_mode 1
		.amdhsa_memory_ordered 1
		.amdhsa_forward_progress 0
		.amdhsa_shared_vgpr_count 0
		.amdhsa_exception_fp_ieee_invalid_op 0
		.amdhsa_exception_fp_denorm_src 0
		.amdhsa_exception_fp_ieee_div_zero 0
		.amdhsa_exception_fp_ieee_overflow 0
		.amdhsa_exception_fp_ieee_underflow 0
		.amdhsa_exception_fp_ieee_inexact 0
		.amdhsa_exception_int_div_zero 0
	.end_amdhsa_kernel
	.section	.text._ZN2at4cuda12_GLOBAL__N_121kernelPointwiseApply2IZNS_6native9templates4cuda28bernoulli_tensor_cuda_kernelIN3c108BFloat16EfEEvRKNS_10TensorBaseESB_NS_15PhiloxCudaStateEEUliRS8_SD_SD_SD_RKfSF_SF_SF_E_S8_SE_jLi1ELi2ELi4ELi512ELi2EEEvNS0_6detail10TensorInfoIT0_T2_EENSI_IT1_SK_EESK_T_,"axG",@progbits,_ZN2at4cuda12_GLOBAL__N_121kernelPointwiseApply2IZNS_6native9templates4cuda28bernoulli_tensor_cuda_kernelIN3c108BFloat16EfEEvRKNS_10TensorBaseESB_NS_15PhiloxCudaStateEEUliRS8_SD_SD_SD_RKfSF_SF_SF_E_S8_SE_jLi1ELi2ELi4ELi512ELi2EEEvNS0_6detail10TensorInfoIT0_T2_EENSI_IT1_SK_EESK_T_,comdat
.Lfunc_end100:
	.size	_ZN2at4cuda12_GLOBAL__N_121kernelPointwiseApply2IZNS_6native9templates4cuda28bernoulli_tensor_cuda_kernelIN3c108BFloat16EfEEvRKNS_10TensorBaseESB_NS_15PhiloxCudaStateEEUliRS8_SD_SD_SD_RKfSF_SF_SF_E_S8_SE_jLi1ELi2ELi4ELi512ELi2EEEvNS0_6detail10TensorInfoIT0_T2_EENSI_IT1_SK_EESK_T_, .Lfunc_end100-_ZN2at4cuda12_GLOBAL__N_121kernelPointwiseApply2IZNS_6native9templates4cuda28bernoulli_tensor_cuda_kernelIN3c108BFloat16EfEEvRKNS_10TensorBaseESB_NS_15PhiloxCudaStateEEUliRS8_SD_SD_SD_RKfSF_SF_SF_E_S8_SE_jLi1ELi2ELi4ELi512ELi2EEEvNS0_6detail10TensorInfoIT0_T2_EENSI_IT1_SK_EESK_T_
                                        ; -- End function
	.section	.AMDGPU.csdata,"",@progbits
; Kernel info:
; codeLenInByte = 3744
; NumSgprs: 42
; NumVgprs: 42
; ScratchSize: 0
; MemoryBound: 0
; FloatMode: 240
; IeeeMode: 1
; LDSByteSize: 0 bytes/workgroup (compile time only)
; SGPRBlocks: 5
; VGPRBlocks: 5
; NumSGPRsForWavesPerEU: 42
; NumVGPRsForWavesPerEU: 42
; Occupancy: 16
; WaveLimiterHint : 1
; COMPUTE_PGM_RSRC2:SCRATCH_EN: 0
; COMPUTE_PGM_RSRC2:USER_SGPR: 15
; COMPUTE_PGM_RSRC2:TRAP_HANDLER: 0
; COMPUTE_PGM_RSRC2:TGID_X_EN: 1
; COMPUTE_PGM_RSRC2:TGID_Y_EN: 0
; COMPUTE_PGM_RSRC2:TGID_Z_EN: 0
; COMPUTE_PGM_RSRC2:TIDIG_COMP_CNT: 0
	.section	.text._ZN2at4cuda12_GLOBAL__N_121kernelPointwiseApply2IZNS_6native9templates4cuda28bernoulli_tensor_cuda_kernelIN3c108BFloat16EfEEvRKNS_10TensorBaseESB_NS_15PhiloxCudaStateEEUliRS8_SD_SD_SD_RKfSF_SF_SF_E_S8_SE_jLi1ELin1ELi4ELi512ELi2EEEvNS0_6detail10TensorInfoIT0_T2_EENSI_IT1_SK_EESK_T_,"axG",@progbits,_ZN2at4cuda12_GLOBAL__N_121kernelPointwiseApply2IZNS_6native9templates4cuda28bernoulli_tensor_cuda_kernelIN3c108BFloat16EfEEvRKNS_10TensorBaseESB_NS_15PhiloxCudaStateEEUliRS8_SD_SD_SD_RKfSF_SF_SF_E_S8_SE_jLi1ELin1ELi4ELi512ELi2EEEvNS0_6detail10TensorInfoIT0_T2_EENSI_IT1_SK_EESK_T_,comdat
	.globl	_ZN2at4cuda12_GLOBAL__N_121kernelPointwiseApply2IZNS_6native9templates4cuda28bernoulli_tensor_cuda_kernelIN3c108BFloat16EfEEvRKNS_10TensorBaseESB_NS_15PhiloxCudaStateEEUliRS8_SD_SD_SD_RKfSF_SF_SF_E_S8_SE_jLi1ELin1ELi4ELi512ELi2EEEvNS0_6detail10TensorInfoIT0_T2_EENSI_IT1_SK_EESK_T_ ; -- Begin function _ZN2at4cuda12_GLOBAL__N_121kernelPointwiseApply2IZNS_6native9templates4cuda28bernoulli_tensor_cuda_kernelIN3c108BFloat16EfEEvRKNS_10TensorBaseESB_NS_15PhiloxCudaStateEEUliRS8_SD_SD_SD_RKfSF_SF_SF_E_S8_SE_jLi1ELin1ELi4ELi512ELi2EEEvNS0_6detail10TensorInfoIT0_T2_EENSI_IT1_SK_EESK_T_
	.p2align	8
	.type	_ZN2at4cuda12_GLOBAL__N_121kernelPointwiseApply2IZNS_6native9templates4cuda28bernoulli_tensor_cuda_kernelIN3c108BFloat16EfEEvRKNS_10TensorBaseESB_NS_15PhiloxCudaStateEEUliRS8_SD_SD_SD_RKfSF_SF_SF_E_S8_SE_jLi1ELin1ELi4ELi512ELi2EEEvNS0_6detail10TensorInfoIT0_T2_EENSI_IT1_SK_EESK_T_,@function
_ZN2at4cuda12_GLOBAL__N_121kernelPointwiseApply2IZNS_6native9templates4cuda28bernoulli_tensor_cuda_kernelIN3c108BFloat16EfEEvRKNS_10TensorBaseESB_NS_15PhiloxCudaStateEEUliRS8_SD_SD_SD_RKfSF_SF_SF_E_S8_SE_jLi1ELin1ELi4ELi512ELi2EEEvNS0_6detail10TensorInfoIT0_T2_EENSI_IT1_SK_EESK_T_: ; @_ZN2at4cuda12_GLOBAL__N_121kernelPointwiseApply2IZNS_6native9templates4cuda28bernoulli_tensor_cuda_kernelIN3c108BFloat16EfEEvRKNS_10TensorBaseESB_NS_15PhiloxCudaStateEEUliRS8_SD_SD_SD_RKfSF_SF_SF_E_S8_SE_jLi1ELin1ELi4ELi512ELi2EEEvNS0_6detail10TensorInfoIT0_T2_EENSI_IT1_SK_EESK_T_
; %bb.0:
	s_clause 0x1
	s_load_b32 s4, s[0:1], 0x1e4
	s_load_b32 s20, s[0:1], 0x1b0
	s_add_u32 s2, s0, 0x1d8
	s_addc_u32 s3, s1, 0
	s_waitcnt lgkmcnt(0)
	s_and_b32 s14, s4, 0xffff
	s_mov_b32 s4, exec_lo
	v_mad_u64_u32 v[1:2], null, s15, s14, v[0:1]
	s_delay_alu instid0(VALU_DEP_1) | instskip(NEXT) | instid1(VALU_DEP_1)
	v_lshlrev_b32_e32 v24, 2, v1
	v_cmpx_gt_u32_e64 s20, v24
	s_cbranch_execz .LBB101_73
; %bb.1:
	s_load_b32 s16, s[0:1], 0x1a8
	s_load_b32 s2, s[2:3], 0x0
	s_clause 0x6
	s_load_b32 s3, s[0:1], 0x1d0
	s_load_b128 s[4:7], s[0:1], 0x1b8
	s_load_b64 s[8:9], s[0:1], 0x1c8
	s_load_b64 s[10:11], s[0:1], 0x0
	s_load_b32 s21, s[0:1], 0x6c
	s_load_b32 s22, s[0:1], 0x144
	s_load_b64 s[12:13], s[0:1], 0xd8
	s_add_u32 s17, s0, 0xd8
	s_addc_u32 s18, s1, 0
	v_mad_u64_u32 v[2:3], null, 0xcd9e8d57, v1, 0
	s_mov_b32 s15, 0
	v_mov_b32_e32 v4, 0
                                        ; implicit-def: $sgpr27
                                        ; implicit-def: $sgpr29
                                        ; implicit-def: $sgpr28
                                        ; implicit-def: $sgpr30
                                        ; implicit-def: $sgpr33
                                        ; implicit-def: $sgpr31
                                        ; implicit-def: $sgpr34
	s_delay_alu instid0(VALU_DEP_2)
	v_mov_b32_e32 v25, v3
	s_waitcnt lgkmcnt(0)
	s_cmp_gt_i32 s16, 1
	s_mul_i32 s2, s2, s14
	s_cselect_b32 s23, -1, 0
	s_bitcmp1_b32 s3, 0
	s_cselect_b32 s24, -1, 0
	s_add_i32 s14, s16, -1
	s_lshl_b32 s25, s2, 2
	s_lshl_b64 s[0:1], s[14:15], 2
	s_add_i32 s26, s16, 1
	s_add_u32 s0, s0, s17
	s_addc_u32 s1, s1, s18
	s_add_u32 s16, s0, 8
	s_addc_u32 s17, s1, 0
                                        ; implicit-def: $sgpr14
	s_branch .LBB101_3
.LBB101_2:                              ;   in Loop: Header=BB101_3 Depth=1
	s_or_b32 exec_lo, exec_lo, s1
	s_delay_alu instid0(SALU_CYCLE_1) | instskip(NEXT) | instid1(SALU_CYCLE_1)
	s_and_b32 s0, exec_lo, s0
	s_or_b32 s15, s0, s15
	s_and_not1_b32 s0, s14, exec_lo
	s_and_b32 s1, s34, exec_lo
	s_and_not1_b32 s2, s28, exec_lo
	s_and_b32 s3, s31, exec_lo
	s_or_b32 s14, s0, s1
	s_or_b32 s28, s2, s3
	s_and_not1_b32 s0, s29, exec_lo
	s_and_b32 s1, s33, exec_lo
	s_and_not1_b32 s2, s27, exec_lo
	s_and_b32 s3, s30, exec_lo
	s_or_b32 s29, s0, s1
	s_or_b32 s27, s2, s3
	s_and_not1_b32 exec_lo, exec_lo, s15
	s_cbranch_execz .LBB101_61
.LBB101_3:                              ; =>This Loop Header: Depth=1
                                        ;     Child Loop BB101_6 Depth 2
                                        ;     Child Loop BB101_11 Depth 2
	;; [unrolled: 1-line block ×4, first 2 shown]
	v_sub_nc_u32_e32 v27, s20, v24
	v_mov_b32_e32 v3, 0
	s_delay_alu instid0(VALU_DEP_2) | instskip(NEXT) | instid1(VALU_DEP_1)
	v_cmp_lt_i32_e64 s0, 0, v27
	s_and_saveexec_b32 s1, s0
	s_cbranch_execz .LBB101_8
; %bb.4:                                ;   in Loop: Header=BB101_3 Depth=1
	v_dual_mov_b32 v0, 0 :: v_dual_mov_b32 v3, v24
	s_and_not1_b32 vcc_lo, exec_lo, s23
	s_cbranch_vccnz .LBB101_7
; %bb.5:                                ;   in Loop: Header=BB101_3 Depth=1
	v_dual_mov_b32 v0, 0 :: v_dual_mov_b32 v3, v24
	s_mov_b64 s[2:3], s[16:17]
	s_mov_b32 s18, s26
	s_set_inst_prefetch_distance 0x1
	.p2align	6
.LBB101_6:                              ;   Parent Loop BB101_3 Depth=1
                                        ; =>  This Inner Loop Header: Depth=2
	s_clause 0x1
	s_load_b32 s19, s[2:3], 0x0
	s_load_b32 s35, s[2:3], 0x64
	v_mov_b32_e32 v7, v3
	s_add_i32 s18, s18, -1
	s_waitcnt lgkmcnt(0)
	v_cvt_f32_u32_e32 v5, s19
	s_sub_i32 s36, 0, s19
	s_add_u32 s2, s2, -4
	s_addc_u32 s3, s3, -1
	s_cmp_gt_u32 s18, 2
	v_rcp_iflag_f32_e32 v5, v5
	s_waitcnt_depctr 0xfff
	v_mul_f32_e32 v5, 0x4f7ffffe, v5
	s_delay_alu instid0(VALU_DEP_1) | instskip(NEXT) | instid1(VALU_DEP_1)
	v_cvt_u32_f32_e32 v5, v5
	v_mul_lo_u32 v6, s36, v5
	s_delay_alu instid0(VALU_DEP_1) | instskip(NEXT) | instid1(VALU_DEP_1)
	v_mul_hi_u32 v6, v5, v6
	v_add_nc_u32_e32 v3, v5, v6
	s_delay_alu instid0(VALU_DEP_1) | instskip(NEXT) | instid1(VALU_DEP_1)
	v_mul_hi_u32 v3, v7, v3
	v_add_nc_u32_e32 v6, 1, v3
	v_mul_lo_u32 v5, v3, s19
	s_delay_alu instid0(VALU_DEP_1) | instskip(NEXT) | instid1(VALU_DEP_1)
	v_sub_nc_u32_e32 v5, v7, v5
	v_subrev_nc_u32_e32 v8, s19, v5
	v_cmp_le_u32_e32 vcc_lo, s19, v5
	v_cndmask_b32_e32 v3, v3, v6, vcc_lo
	s_delay_alu instid0(VALU_DEP_1) | instskip(NEXT) | instid1(VALU_DEP_1)
	v_dual_cndmask_b32 v5, v5, v8 :: v_dual_add_nc_u32 v6, 1, v3
	v_cmp_le_u32_e32 vcc_lo, s19, v5
	s_delay_alu instid0(VALU_DEP_2) | instskip(NEXT) | instid1(VALU_DEP_1)
	v_cndmask_b32_e32 v3, v3, v6, vcc_lo
	v_mul_lo_u32 v5, v3, s19
	s_delay_alu instid0(VALU_DEP_1) | instskip(NEXT) | instid1(VALU_DEP_1)
	v_sub_nc_u32_e32 v7, v7, v5
	v_mad_u64_u32 v[5:6], null, s35, v7, v[0:1]
	s_delay_alu instid0(VALU_DEP_1)
	v_mov_b32_e32 v0, v5
	s_cbranch_scc1 .LBB101_6
.LBB101_7:                              ;   in Loop: Header=BB101_3 Depth=1
	s_set_inst_prefetch_distance 0x2
	s_delay_alu instid0(VALU_DEP_1) | instskip(NEXT) | instid1(VALU_DEP_1)
	v_mad_u64_u32 v[5:6], null, s22, v3, v[0:1]
	v_mov_b32_e32 v3, v5
.LBB101_8:                              ;   in Loop: Header=BB101_3 Depth=1
	s_or_b32 exec_lo, exec_lo, s1
	v_mov_b32_e32 v5, 0
	v_mov_b32_e32 v6, 0
	v_cmp_lt_i32_e64 s1, 1, v27
	s_delay_alu instid0(VALU_DEP_1)
	s_and_saveexec_b32 s18, s1
	s_cbranch_execz .LBB101_13
; %bb.9:                                ;   in Loop: Header=BB101_3 Depth=1
	v_or_b32_e32 v7, 1, v24
	v_mov_b32_e32 v0, 0
	s_and_not1_b32 vcc_lo, exec_lo, s23
	s_cbranch_vccnz .LBB101_12
; %bb.10:                               ;   in Loop: Header=BB101_3 Depth=1
	v_mov_b32_e32 v0, 0
	s_mov_b64 s[2:3], s[16:17]
	s_mov_b32 s19, s26
	s_set_inst_prefetch_distance 0x1
	.p2align	6
.LBB101_11:                             ;   Parent Loop BB101_3 Depth=1
                                        ; =>  This Inner Loop Header: Depth=2
	s_clause 0x1
	s_load_b32 s35, s[2:3], 0x0
	s_load_b32 s36, s[2:3], 0x64
	s_add_i32 s19, s19, -1
	v_mov_b32_e32 v8, v7
	s_waitcnt lgkmcnt(0)
	v_cvt_f32_u32_e32 v5, s35
	s_sub_i32 s37, 0, s35
	s_add_u32 s2, s2, -4
	s_addc_u32 s3, s3, -1
	s_cmp_gt_u32 s19, 2
	v_rcp_iflag_f32_e32 v5, v5
	s_waitcnt_depctr 0xfff
	v_mul_f32_e32 v5, 0x4f7ffffe, v5
	s_delay_alu instid0(VALU_DEP_1) | instskip(NEXT) | instid1(VALU_DEP_1)
	v_cvt_u32_f32_e32 v5, v5
	v_mul_lo_u32 v6, s37, v5
	s_delay_alu instid0(VALU_DEP_1) | instskip(NEXT) | instid1(VALU_DEP_1)
	v_mul_hi_u32 v6, v5, v6
	v_add_nc_u32_e32 v5, v5, v6
	s_delay_alu instid0(VALU_DEP_1) | instskip(NEXT) | instid1(VALU_DEP_1)
	v_mul_hi_u32 v5, v8, v5
	v_mul_lo_u32 v6, v5, s35
	v_add_nc_u32_e32 v7, 1, v5
	s_delay_alu instid0(VALU_DEP_2) | instskip(NEXT) | instid1(VALU_DEP_1)
	v_sub_nc_u32_e32 v6, v8, v6
	v_subrev_nc_u32_e32 v9, s35, v6
	v_cmp_le_u32_e32 vcc_lo, s35, v6
	s_delay_alu instid0(VALU_DEP_2) | instskip(NEXT) | instid1(VALU_DEP_1)
	v_dual_cndmask_b32 v5, v5, v7 :: v_dual_cndmask_b32 v6, v6, v9
	v_add_nc_u32_e32 v7, 1, v5
	s_delay_alu instid0(VALU_DEP_2) | instskip(NEXT) | instid1(VALU_DEP_2)
	v_cmp_le_u32_e32 vcc_lo, s35, v6
	v_cndmask_b32_e32 v7, v5, v7, vcc_lo
	s_delay_alu instid0(VALU_DEP_1) | instskip(NEXT) | instid1(VALU_DEP_1)
	v_mul_lo_u32 v5, v7, s35
	v_sub_nc_u32_e32 v8, v8, v5
	s_delay_alu instid0(VALU_DEP_1) | instskip(NEXT) | instid1(VALU_DEP_1)
	v_mad_u64_u32 v[5:6], null, s36, v8, v[0:1]
	v_mov_b32_e32 v0, v5
	s_cbranch_scc1 .LBB101_11
.LBB101_12:                             ;   in Loop: Header=BB101_3 Depth=1
	s_set_inst_prefetch_distance 0x2
	s_delay_alu instid0(VALU_DEP_1)
	v_mad_u64_u32 v[5:6], null, s22, v7, v[0:1]
	v_mov_b32_e32 v6, v4
.LBB101_13:                             ;   in Loop: Header=BB101_3 Depth=1
	s_or_b32 exec_lo, exec_lo, s18
	v_mov_b32_e32 v9, 0
	v_mov_b32_e32 v10, 0
	v_cmp_lt_i32_e64 s2, 2, v27
	s_delay_alu instid0(VALU_DEP_1)
	s_and_saveexec_b32 s3, s2
	s_cbranch_execz .LBB101_18
; %bb.14:                               ;   in Loop: Header=BB101_3 Depth=1
	v_or_b32_e32 v7, 2, v24
	v_mov_b32_e32 v0, 0
	s_and_not1_b32 vcc_lo, exec_lo, s23
	s_cbranch_vccnz .LBB101_17
; %bb.15:                               ;   in Loop: Header=BB101_3 Depth=1
	v_mov_b32_e32 v0, 0
	s_mov_b64 s[18:19], s[16:17]
	s_mov_b32 s35, s26
	s_set_inst_prefetch_distance 0x1
	.p2align	6
.LBB101_16:                             ;   Parent Loop BB101_3 Depth=1
                                        ; =>  This Inner Loop Header: Depth=2
	s_clause 0x1
	s_load_b32 s36, s[18:19], 0x0
	s_load_b32 s37, s[18:19], 0x64
	s_add_i32 s35, s35, -1
	s_waitcnt lgkmcnt(0)
	v_cvt_f32_u32_e32 v8, s36
	s_sub_i32 s38, 0, s36
	s_add_u32 s18, s18, -4
	s_addc_u32 s19, s19, -1
	s_cmp_gt_u32 s35, 2
	v_rcp_iflag_f32_e32 v8, v8
	s_waitcnt_depctr 0xfff
	v_mul_f32_e32 v8, 0x4f7ffffe, v8
	s_delay_alu instid0(VALU_DEP_1) | instskip(NEXT) | instid1(VALU_DEP_1)
	v_cvt_u32_f32_e32 v8, v8
	v_mul_lo_u32 v9, s38, v8
	s_delay_alu instid0(VALU_DEP_1) | instskip(NEXT) | instid1(VALU_DEP_1)
	v_mul_hi_u32 v9, v8, v9
	v_dual_mov_b32 v10, v7 :: v_dual_add_nc_u32 v7, v8, v9
	s_delay_alu instid0(VALU_DEP_1) | instskip(NEXT) | instid1(VALU_DEP_1)
	v_mul_hi_u32 v7, v10, v7
	v_mul_lo_u32 v8, v7, s36
	v_add_nc_u32_e32 v9, 1, v7
	s_delay_alu instid0(VALU_DEP_2) | instskip(NEXT) | instid1(VALU_DEP_1)
	v_sub_nc_u32_e32 v8, v10, v8
	v_subrev_nc_u32_e32 v11, s36, v8
	v_cmp_le_u32_e32 vcc_lo, s36, v8
	s_delay_alu instid0(VALU_DEP_2) | instskip(NEXT) | instid1(VALU_DEP_1)
	v_dual_cndmask_b32 v7, v7, v9 :: v_dual_cndmask_b32 v8, v8, v11
	v_add_nc_u32_e32 v9, 1, v7
	s_delay_alu instid0(VALU_DEP_2) | instskip(NEXT) | instid1(VALU_DEP_2)
	v_cmp_le_u32_e32 vcc_lo, s36, v8
	v_cndmask_b32_e32 v7, v7, v9, vcc_lo
	s_delay_alu instid0(VALU_DEP_1) | instskip(NEXT) | instid1(VALU_DEP_1)
	v_mul_lo_u32 v8, v7, s36
	v_sub_nc_u32_e32 v10, v10, v8
	s_delay_alu instid0(VALU_DEP_1) | instskip(NEXT) | instid1(VALU_DEP_1)
	v_mad_u64_u32 v[8:9], null, s37, v10, v[0:1]
	v_mov_b32_e32 v0, v8
	s_cbranch_scc1 .LBB101_16
.LBB101_17:                             ;   in Loop: Header=BB101_3 Depth=1
	s_set_inst_prefetch_distance 0x2
	s_delay_alu instid0(VALU_DEP_1)
	v_mad_u64_u32 v[9:10], null, s22, v7, v[0:1]
	v_mov_b32_e32 v10, v4
.LBB101_18:                             ;   in Loop: Header=BB101_3 Depth=1
	s_or_b32 exec_lo, exec_lo, s3
	v_mul_lo_u32 v26, v24, s21
	v_mov_b32_e32 v11, 0
	s_mov_b32 s3, exec_lo
	s_delay_alu instid0(VALU_DEP_2) | instskip(NEXT) | instid1(VALU_DEP_1)
	v_add_nc_u32_e32 v28, s21, v26
	v_dual_mov_b32 v12, 0 :: v_dual_add_nc_u32 v29, s21, v28
	s_delay_alu instid0(VALU_DEP_1)
	v_dual_mov_b32 v7, v11 :: v_dual_mov_b32 v8, v12
	v_cmpx_lt_i32_e32 3, v27
	s_cbranch_execz .LBB101_23
; %bb.19:                               ;   in Loop: Header=BB101_3 Depth=1
	v_or_b32_e32 v7, 3, v24
	v_mov_b32_e32 v0, 0
	s_and_not1_b32 vcc_lo, exec_lo, s23
	s_cbranch_vccnz .LBB101_22
; %bb.20:                               ;   in Loop: Header=BB101_3 Depth=1
	v_mov_b32_e32 v0, 0
	s_mov_b64 s[18:19], s[16:17]
	s_mov_b32 s35, s26
	s_set_inst_prefetch_distance 0x1
	.p2align	6
.LBB101_21:                             ;   Parent Loop BB101_3 Depth=1
                                        ; =>  This Inner Loop Header: Depth=2
	s_clause 0x1
	s_load_b32 s36, s[18:19], 0x0
	s_load_b32 s37, s[18:19], 0x64
	s_add_i32 s35, s35, -1
	s_waitcnt lgkmcnt(0)
	v_cvt_f32_u32_e32 v8, s36
	s_sub_i32 s38, 0, s36
	s_add_u32 s18, s18, -4
	s_addc_u32 s19, s19, -1
	s_cmp_gt_u32 s35, 2
	v_rcp_iflag_f32_e32 v8, v8
	s_waitcnt_depctr 0xfff
	v_mul_f32_e32 v8, 0x4f7ffffe, v8
	s_delay_alu instid0(VALU_DEP_1) | instskip(NEXT) | instid1(VALU_DEP_1)
	v_cvt_u32_f32_e32 v8, v8
	v_mul_lo_u32 v11, s38, v8
	s_delay_alu instid0(VALU_DEP_1) | instskip(NEXT) | instid1(VALU_DEP_1)
	v_mul_hi_u32 v11, v8, v11
	v_dual_mov_b32 v12, v7 :: v_dual_add_nc_u32 v7, v8, v11
	s_delay_alu instid0(VALU_DEP_1) | instskip(NEXT) | instid1(VALU_DEP_1)
	v_mul_hi_u32 v7, v12, v7
	v_mul_lo_u32 v8, v7, s36
	v_add_nc_u32_e32 v11, 1, v7
	s_delay_alu instid0(VALU_DEP_2) | instskip(NEXT) | instid1(VALU_DEP_1)
	v_sub_nc_u32_e32 v8, v12, v8
	v_subrev_nc_u32_e32 v13, s36, v8
	v_cmp_le_u32_e32 vcc_lo, s36, v8
	s_delay_alu instid0(VALU_DEP_2) | instskip(NEXT) | instid1(VALU_DEP_1)
	v_dual_cndmask_b32 v7, v7, v11 :: v_dual_cndmask_b32 v8, v8, v13
	v_add_nc_u32_e32 v11, 1, v7
	s_delay_alu instid0(VALU_DEP_2) | instskip(NEXT) | instid1(VALU_DEP_2)
	v_cmp_le_u32_e32 vcc_lo, s36, v8
	v_cndmask_b32_e32 v7, v7, v11, vcc_lo
	s_delay_alu instid0(VALU_DEP_1) | instskip(NEXT) | instid1(VALU_DEP_1)
	v_mul_lo_u32 v8, v7, s36
	v_sub_nc_u32_e32 v8, v12, v8
	s_delay_alu instid0(VALU_DEP_1) | instskip(NEXT) | instid1(VALU_DEP_1)
	v_mad_u64_u32 v[11:12], null, s37, v8, v[0:1]
	v_mov_b32_e32 v0, v11
	s_cbranch_scc1 .LBB101_21
.LBB101_22:                             ;   in Loop: Header=BB101_3 Depth=1
	s_set_inst_prefetch_distance 0x2
	s_delay_alu instid0(VALU_DEP_1)
	v_mad_u64_u32 v[11:12], null, s22, v7, v[0:1]
	v_dual_mov_b32 v8, v4 :: v_dual_add_nc_u32 v7, s21, v29
	v_mov_b32_e32 v12, v4
.LBB101_23:                             ;   in Loop: Header=BB101_3 Depth=1
	s_or_b32 exec_lo, exec_lo, s3
	v_lshlrev_b64 v[13:14], 2, v[3:4]
	v_lshlrev_b64 v[5:6], 2, v[5:6]
	;; [unrolled: 1-line block ×4, first 2 shown]
	s_delay_alu instid0(VALU_DEP_4)
	v_add_co_u32 v13, vcc_lo, s12, v13
	v_add_co_ci_u32_e32 v14, vcc_lo, s13, v14, vcc_lo
	v_add_co_u32 v5, vcc_lo, s12, v5
	v_add_co_ci_u32_e32 v6, vcc_lo, s13, v6, vcc_lo
	;; [unrolled: 2-line block ×4, first 2 shown]
	s_clause 0x3
	global_load_b32 v0, v[13:14], off
	global_load_b32 v30, v[5:6], off
	global_load_b32 v31, v[9:10], off
	global_load_b32 v3, v[11:12], off
	v_dual_mov_b32 v12, s7 :: v_dual_mov_b32 v11, s6
	v_dual_mov_b32 v14, s5 :: v_dual_mov_b32 v13, s4
	s_and_not1_b32 vcc_lo, exec_lo, s24
	s_cbranch_vccnz .LBB101_25
; %bb.24:                               ;   in Loop: Header=BB101_3 Depth=1
	v_dual_mov_b32 v5, s6 :: v_dual_mov_b32 v6, s7
	v_dual_mov_b32 v10, s5 :: v_dual_mov_b32 v9, s4
	flat_load_b64 v[5:6], v[5:6]
	flat_load_b64 v[13:14], v[9:10]
	s_waitcnt vmcnt(1) lgkmcnt(1)
	v_add_co_u32 v11, vcc_lo, v5, s8
	v_add_co_ci_u32_e32 v12, vcc_lo, s9, v6, vcc_lo
.LBB101_25:                             ;   in Loop: Header=BB101_3 Depth=1
	s_delay_alu instid0(VALU_DEP_1)
	v_alignbit_b32 v15, v12, v11, 2
	v_lshrrev_b32_e32 v9, 2, v12
	s_waitcnt vmcnt(0) lgkmcnt(0)
	v_add_nc_u32_e32 v32, 0x9e3779b9, v13
	v_add_nc_u32_e32 v34, 0x3c6ef372, v13
	;; [unrolled: 1-line block ×3, first 2 shown]
	v_add_co_u32 v10, vcc_lo, v15, 1
	s_delay_alu instid0(VALU_DEP_1) | instskip(SKIP_4) | instid1(VALU_DEP_4)
	v_cndmask_b32_e64 v5, 0, 1, vcc_lo
	v_add_co_ci_u32_e32 v12, vcc_lo, 0, v9, vcc_lo
	v_xor3_b32 v17, v25, v13, v9
	v_add_nc_u32_e32 v36, 0x32370b8f, v14
	v_add_nc_u32_e32 v37, 0xed9eba14, v14
	v_cmp_eq_u32_e32 vcc_lo, 0, v12
	v_add_nc_u32_e32 v38, 0x1fd5c5a3, v14
	s_mov_b32 s3, exec_lo
	v_dual_cndmask_b32 v16, 0, v5 :: v_dual_add_nc_u32 v33, 0xbb67ae85, v14
	v_mad_u64_u32 v[5:6], null, 0xd2511f53, v10, 0
	v_mad_u64_u32 v[9:10], null, 0xd2511f53, v15, 0
	s_delay_alu instid0(VALU_DEP_3) | instskip(NEXT) | instid1(VALU_DEP_3)
	v_add_nc_u32_e32 v19, v16, v1
	v_xor_b32_e32 v6, v6, v14
	s_delay_alu instid0(VALU_DEP_2) | instskip(SKIP_1) | instid1(VALU_DEP_1)
	v_cmp_eq_u32_e32 vcc_lo, 0, v19
	v_cndmask_b32_e32 v16, 0, v16, vcc_lo
	v_xor_b32_e32 v6, v16, v6
	v_mad_u64_u32 v[15:16], null, 0xd2511f53, v17, 0
	v_mad_u64_u32 v[17:18], null, 0xcd9e8d57, v19, 0
	s_delay_alu instid0(VALU_DEP_3) | instskip(SKIP_1) | instid1(VALU_DEP_4)
	v_mad_u64_u32 v[19:20], null, 0xcd9e8d57, v6, 0
	v_xor_b32_e32 v6, v10, v14
	v_xor3_b32 v21, v33, v16, v9
	s_delay_alu instid0(VALU_DEP_2) | instskip(SKIP_2) | instid1(VALU_DEP_4)
	v_mad_u64_u32 v[9:10], null, 0xcd9e8d57, v6, 0
	v_xor3_b32 v6, v18, v13, v12
	v_xor3_b32 v12, v32, v20, v17
	v_mad_u64_u32 v[16:17], null, 0xcd9e8d57, v21, 0
	s_delay_alu instid0(VALU_DEP_3) | instskip(NEXT) | instid1(VALU_DEP_3)
	v_mad_u64_u32 v[20:21], null, 0xd2511f53, v6, 0
	v_mad_u64_u32 v[22:23], null, 0xd2511f53, v12, 0
	v_xor3_b32 v6, v2, v10, v32
	s_delay_alu instid0(VALU_DEP_4) | instskip(SKIP_2) | instid1(VALU_DEP_4)
	v_xor3_b32 v17, v34, v17, v9
	v_add_nc_u32_e32 v12, 0xdaa66d2b, v13
	v_xor3_b32 v21, v33, v21, v5
	v_mad_u64_u32 v[9:10], null, 0xd2511f53, v6, 0
	v_xor3_b32 v23, v35, v23, v20
	v_mad_u64_u32 v[5:6], null, 0xd2511f53, v17, 0
	s_delay_alu instid0(VALU_DEP_4) | instskip(NEXT) | instid1(VALU_DEP_3)
	v_mad_u64_u32 v[17:18], null, 0xcd9e8d57, v21, 0
	v_mad_u64_u32 v[20:21], null, 0xcd9e8d57, v23, 0
	v_xor3_b32 v15, v35, v10, v15
	v_add_nc_u32_e32 v23, 0x78dde6e4, v13
	v_xor3_b32 v6, v36, v6, v9
	s_delay_alu instid0(VALU_DEP_3) | instskip(SKIP_2) | instid1(VALU_DEP_4)
	v_mad_u64_u32 v[9:10], null, 0xcd9e8d57, v15, 0
	v_xor3_b32 v15, v34, v18, v19
	v_xor3_b32 v19, v12, v21, v17
	v_mad_u64_u32 v[17:18], null, 0xcd9e8d57, v6, 0
	s_delay_alu instid0(VALU_DEP_3) | instskip(NEXT) | instid1(VALU_DEP_3)
	v_mad_u64_u32 v[32:33], null, 0xd2511f53, v15, 0
	v_mad_u64_u32 v[34:35], null, 0xd2511f53, v19, 0
	v_xor3_b32 v6, v12, v10, v16
	s_delay_alu instid0(VALU_DEP_4) | instskip(SKIP_2) | instid1(VALU_DEP_4)
	v_xor3_b32 v15, v23, v18, v9
	v_add_nc_u32_e32 v12, 0x1715609d, v13
	v_add_nc_u32_e32 v19, 0xa9066899, v14
	v_mad_u64_u32 v[9:10], null, 0xd2511f53, v6, 0
	v_xor3_b32 v6, v36, v33, v22
	v_xor3_b32 v18, v37, v35, v32
	v_mad_u64_u32 v[21:22], null, 0xd2511f53, v15, 0
	v_add_nc_u32_e32 v33, 0xb54cda56, v13
	s_delay_alu instid0(VALU_DEP_4) | instskip(NEXT) | instid1(VALU_DEP_4)
	v_mad_u64_u32 v[15:16], null, 0xcd9e8d57, v6, 0
	v_mad_u64_u32 v[35:36], null, 0xcd9e8d57, v18, 0
	v_xor3_b32 v10, v37, v10, v5
	v_xor3_b32 v18, v19, v22, v9
	v_add_nc_u32_e32 v32, 0x646e171e, v14
	v_xor3_b32 v20, v23, v16, v20
	s_delay_alu instid0(VALU_DEP_4) | instskip(SKIP_2) | instid1(VALU_DEP_4)
	v_mad_u64_u32 v[5:6], null, 0xcd9e8d57, v10, 0
	v_xor3_b32 v22, v12, v36, v15
	v_mad_u64_u32 v[9:10], null, 0xcd9e8d57, v18, 0
	v_mad_u64_u32 v[15:16], null, 0xd2511f53, v20, 0
	s_delay_alu instid0(VALU_DEP_3) | instskip(SKIP_3) | instid1(VALU_DEP_3)
	v_mad_u64_u32 v[36:37], null, 0xd2511f53, v22, 0
	v_xor3_b32 v12, v12, v6, v17
	v_add_nc_u32_e32 v20, 0x5384540f, v13
	v_xor3_b32 v10, v33, v10, v5
	v_mad_u64_u32 v[5:6], null, 0xd2511f53, v12, 0
	v_xor3_b32 v12, v19, v16, v34
	v_xor3_b32 v17, v32, v37, v15
	s_delay_alu instid0(VALU_DEP_4) | instskip(NEXT) | instid1(VALU_DEP_3)
	v_mad_u64_u32 v[15:16], null, 0xd2511f53, v10, 0
	v_mad_u64_u32 v[22:23], null, 0xcd9e8d57, v12, 0
	s_delay_alu instid0(VALU_DEP_3) | instskip(SKIP_1) | instid1(VALU_DEP_4)
	v_mad_u64_u32 v[18:19], null, 0xcd9e8d57, v17, 0
	v_xor3_b32 v10, v32, v6, v21
	v_xor3_b32 v12, v38, v16, v5
	v_add_co_u32 v32, null, 0xf1bbcdc8, v13
	s_delay_alu instid0(VALU_DEP_3) | instskip(SKIP_4) | instid1(VALU_DEP_4)
	v_mad_u64_u32 v[5:6], null, 0xcd9e8d57, v10, 0
	v_xor3_b32 v10, v33, v23, v35
	v_xor3_b32 v19, v20, v19, v22
	v_mad_u64_u32 v[16:17], null, 0xcd9e8d57, v12, 0
	v_add_nc_u32_e32 v33, 0xdb3d7428, v14
	v_mad_u64_u32 v[34:35], null, 0xd2511f53, v10, 0
	s_delay_alu instid0(VALU_DEP_4) | instskip(SKIP_4) | instid1(VALU_DEP_4)
	v_mad_u64_u32 v[21:22], null, 0xd2511f53, v19, 0
	v_xor3_b32 v6, v20, v6, v9
	v_xor3_b32 v9, v32, v17, v5
	v_add_nc_u32_e32 v17, 0x8ff34781, v13
	v_xor3_b32 v10, v38, v35, v36
	v_mad_u64_u32 v[19:20], null, 0xd2511f53, v6, 0
	v_xor3_b32 v12, v33, v22, v34
	v_mad_u64_u32 v[5:6], null, 0xd2511f53, v9, 0
	s_delay_alu instid0(VALU_DEP_4) | instskip(NEXT) | instid1(VALU_DEP_3)
	v_mad_u64_u32 v[22:23], null, 0xcd9e8d57, v10, 0
	v_mad_u64_u32 v[9:10], null, 0xcd9e8d57, v12, 0
	v_add_nc_u32_e32 v34, 0x96a522ad, v14
	v_and_b32_e32 v14, 3, v11
                                        ; implicit-def: $vgpr12
	s_delay_alu instid0(VALU_DEP_2) | instskip(NEXT) | instid1(VALU_DEP_4)
	v_xor3_b32 v13, v6, v19, v34
	v_xor3_b32 v6, v10, v22, v17
	s_delay_alu instid0(VALU_DEP_3)
	v_cmpx_lt_i32_e32 1, v14
	s_xor_b32 s3, exec_lo, s3
	s_cbranch_execz .LBB101_31
; %bb.26:                               ;   in Loop: Header=BB101_3 Depth=1
	s_mov_b32 s18, exec_lo
                                        ; implicit-def: $vgpr12
	v_cmpx_lt_i32_e32 2, v14
	s_xor_b32 s18, exec_lo, s18
; %bb.27:                               ;   in Loop: Header=BB101_3 Depth=1
	v_xor3_b32 v10, v32, v23, v18
                                        ; implicit-def: $vgpr13
	s_delay_alu instid0(VALU_DEP_1) | instskip(NEXT) | instid1(VALU_DEP_1)
	v_mul_hi_u32 v10, 0xd2511f53, v10
	v_xor3_b32 v12, v10, v21, v34
; %bb.28:                               ;   in Loop: Header=BB101_3 Depth=1
	s_and_not1_saveexec_b32 s18, s18
; %bb.29:                               ;   in Loop: Header=BB101_3 Depth=1
	v_dual_mov_b32 v12, v9 :: v_dual_mov_b32 v9, v6
	v_mov_b32_e32 v6, v5
	v_mov_b32_e32 v5, v13
; %bb.30:                               ;   in Loop: Header=BB101_3 Depth=1
	s_or_b32 exec_lo, exec_lo, s18
                                        ; implicit-def: $vgpr15_vgpr16
                                        ; implicit-def: $vgpr14
                                        ; implicit-def: $vgpr13
                                        ; implicit-def: $vgpr33
                                        ; implicit-def: $vgpr19_vgpr20
                                        ; implicit-def: $vgpr16_vgpr17
                                        ; implicit-def: $vgpr17
.LBB101_31:                             ;   in Loop: Header=BB101_3 Depth=1
	s_and_not1_saveexec_b32 s3, s3
	s_cbranch_execz .LBB101_35
; %bb.32:                               ;   in Loop: Header=BB101_3 Depth=1
	v_xor3_b32 v9, v33, v20, v15
	v_cmp_eq_u32_e32 vcc_lo, 1, v14
	s_delay_alu instid0(VALU_DEP_2) | instskip(SKIP_2) | instid1(VALU_DEP_3)
	v_mad_u64_u32 v[10:11], null, 0xcd9e8d57, v9, 0
	v_mov_b32_e32 v12, v5
	v_mov_b32_e32 v9, v13
	v_xor3_b32 v14, v11, v16, v17
	s_delay_alu instid0(VALU_DEP_4)
	v_mov_b32_e32 v11, v10
	s_and_saveexec_b32 s18, vcc_lo
; %bb.33:                               ;   in Loop: Header=BB101_3 Depth=1
	v_dual_mov_b32 v12, v6 :: v_dual_mov_b32 v9, v5
	v_dual_mov_b32 v11, v13 :: v_dual_mov_b32 v14, v10
; %bb.34:                               ;   in Loop: Header=BB101_3 Depth=1
	s_or_b32 exec_lo, exec_lo, s18
	s_delay_alu instid0(VALU_DEP_1)
	v_dual_mov_b32 v5, v14 :: v_dual_mov_b32 v6, v11
.LBB101_35:                             ;   in Loop: Header=BB101_3 Depth=1
	s_or_b32 exec_lo, exec_lo, s3
	v_min_i32_e32 v10, 4, v27
	s_mov_b32 s18, 0
	s_mov_b32 s38, 0
	;; [unrolled: 1-line block ×3, first 2 shown]
	s_mov_b32 s37, exec_lo
                                        ; implicit-def: $sgpr19
                                        ; implicit-def: $sgpr35
                                        ; implicit-def: $sgpr36
	v_cmpx_lt_i32_e32 2, v10
	s_xor_b32 s37, exec_lo, s37
	s_cbranch_execz .LBB101_47
; %bb.36:                               ;   in Loop: Header=BB101_3 Depth=1
	s_mov_b32 s3, -1
	s_mov_b32 s40, 0
	s_mov_b32 s35, exec_lo
                                        ; implicit-def: $sgpr19
                                        ; implicit-def: $sgpr39
	v_cmpx_lt_i32_e32 3, v10
	s_cbranch_execz .LBB101_42
; %bb.37:                               ;   in Loop: Header=BB101_3 Depth=1
	s_mov_b32 s3, 0
	s_mov_b32 s40, -1
	s_mov_b32 s36, exec_lo
                                        ; implicit-def: $sgpr19
                                        ; implicit-def: $sgpr39
	v_cmpx_eq_u32_e32 4, v10
	s_cbranch_execz .LBB101_41
; %bb.38:                               ;   in Loop: Header=BB101_3 Depth=1
	v_cmp_le_f32_e32 vcc_lo, 0, v3
	v_cmp_ge_f32_e64 s3, 1.0, v3
	s_mov_b32 s19, 0
	s_delay_alu instid0(VALU_DEP_1)
	s_and_b32 s40, vcc_lo, s3
	s_mov_b32 s3, 0
	s_and_saveexec_b32 s39, s40
	s_cbranch_execz .LBB101_40
; %bb.39:                               ;   in Loop: Header=BB101_3 Depth=1
	v_cvt_f32_u32_e32 v11, v12
	v_lshlrev_b64 v[7:8], 1, v[7:8]
	s_mov_b32 s3, exec_lo
	s_delay_alu instid0(VALU_DEP_2) | instskip(NEXT) | instid1(VALU_DEP_2)
	v_fmaak_f32 v11, 0x2f800000, v11, 0x2f800000
	v_add_co_u32 v7, vcc_lo, s10, v7
	s_delay_alu instid0(VALU_DEP_3) | instskip(NEXT) | instid1(VALU_DEP_3)
	v_add_co_ci_u32_e32 v8, vcc_lo, s11, v8, vcc_lo
	v_cmp_le_f32_e32 vcc_lo, v11, v3
	v_cndmask_b32_e64 v3, 0, 1.0, vcc_lo
	global_store_d16_hi_b16 v[7:8], v3, off
.LBB101_40:                             ;   in Loop: Header=BB101_3 Depth=1
	s_or_b32 exec_lo, exec_lo, s39
	s_mov_b32 s39, -1
	s_xor_b32 s40, exec_lo, -1
	s_and_b32 s3, s3, exec_lo
.LBB101_41:                             ;   in Loop: Header=BB101_3 Depth=1
	s_or_b32 exec_lo, exec_lo, s36
	s_delay_alu instid0(SALU_CYCLE_1)
	s_and_b32 s40, s40, exec_lo
	s_or_not1_b32 s3, s3, exec_lo
.LBB101_42:                             ;   in Loop: Header=BB101_3 Depth=1
	s_or_b32 exec_lo, exec_lo, s35
	s_mov_b32 s36, s19
	s_and_saveexec_b32 s35, s3
	s_cbranch_execz .LBB101_46
; %bb.43:                               ;   in Loop: Header=BB101_3 Depth=1
	v_cmp_le_f32_e32 vcc_lo, 0, v31
	v_cmp_ge_f32_e64 s3, 1.0, v31
	s_delay_alu instid0(VALU_DEP_1) | instskip(SKIP_2) | instid1(SALU_CYCLE_1)
	s_and_b32 s36, vcc_lo, s3
	s_mov_b32 s3, 0
	s_and_saveexec_b32 s38, s36
	s_xor_b32 s36, exec_lo, s38
	s_cbranch_execz .LBB101_45
; %bb.44:                               ;   in Loop: Header=BB101_3 Depth=1
	v_cndmask_b32_e64 v3, 0, v29, s2
	v_cvt_f32_u32_e32 v9, v9
	s_mov_b32 s3, exec_lo
	s_delay_alu instid0(VALU_DEP_2) | instskip(NEXT) | instid1(VALU_DEP_2)
	v_lshlrev_b64 v[7:8], 1, v[3:4]
	v_fmaak_f32 v3, 0x2f800000, v9, 0x2f800000
	s_delay_alu instid0(VALU_DEP_2) | instskip(NEXT) | instid1(VALU_DEP_3)
	v_add_co_u32 v7, vcc_lo, s10, v7
	v_add_co_ci_u32_e32 v8, vcc_lo, s11, v8, vcc_lo
	s_delay_alu instid0(VALU_DEP_3)
	v_cmp_le_f32_e32 vcc_lo, v3, v31
	v_cndmask_b32_e64 v3, 0, 1.0, vcc_lo
	global_store_d16_hi_b16 v[7:8], v3, off
.LBB101_45:                             ;   in Loop: Header=BB101_3 Depth=1
	s_or_b32 exec_lo, exec_lo, s36
	s_delay_alu instid0(SALU_CYCLE_1)
	s_and_not1_b32 s36, s19, exec_lo
	s_or_b32 s19, s19, exec_lo
	s_and_not1_b32 s39, s39, exec_lo
	s_and_b32 s38, s3, exec_lo
.LBB101_46:                             ;   in Loop: Header=BB101_3 Depth=1
	s_or_b32 exec_lo, exec_lo, s35
	s_delay_alu instid0(SALU_CYCLE_1)
	s_and_b32 s36, s36, exec_lo
	s_and_b32 s35, s19, exec_lo
	s_and_b32 s19, s39, exec_lo
	s_and_b32 s3, s40, exec_lo
	s_and_b32 s38, s38, exec_lo
.LBB101_47:                             ;   in Loop: Header=BB101_3 Depth=1
	s_and_not1_saveexec_b32 s2, s37
; %bb.48:                               ;   in Loop: Header=BB101_3 Depth=1
	v_cmp_lt_i32_e32 vcc_lo, 1, v10
	s_and_not1_b32 s37, s38, exec_lo
	s_mov_b32 s18, exec_lo
	s_and_not1_b32 s36, s36, exec_lo
	s_and_not1_b32 s35, s35, exec_lo
	s_and_b32 s38, vcc_lo, exec_lo
	s_and_not1_b32 s19, s19, exec_lo
	s_or_b32 s38, s37, s38
; %bb.49:                               ;   in Loop: Header=BB101_3 Depth=1
	s_or_b32 exec_lo, exec_lo, s2
	s_mov_b32 s37, 0
	s_mov_b32 s2, s36
	s_and_saveexec_b32 s39, s38
	s_cbranch_execnz .LBB101_52
; %bb.50:                               ;   in Loop: Header=BB101_3 Depth=1
	s_or_b32 exec_lo, exec_lo, s39
	s_and_saveexec_b32 s1, s18
	s_cbranch_execnz .LBB101_55
.LBB101_51:                             ;   in Loop: Header=BB101_3 Depth=1
	s_or_b32 exec_lo, exec_lo, s1
	s_and_saveexec_b32 s18, s37
	s_cbranch_execnz .LBB101_56
	s_branch .LBB101_59
.LBB101_52:                             ;   in Loop: Header=BB101_3 Depth=1
	v_cmp_le_f32_e32 vcc_lo, 0, v30
	v_cmp_ge_f32_e64 s2, 1.0, v30
	s_delay_alu instid0(VALU_DEP_1) | instskip(NEXT) | instid1(SALU_CYCLE_1)
	s_and_b32 s2, vcc_lo, s2
	s_and_saveexec_b32 s38, s2
	s_delay_alu instid0(SALU_CYCLE_1)
	s_xor_b32 s2, exec_lo, s38
	s_cbranch_execz .LBB101_54
; %bb.53:                               ;   in Loop: Header=BB101_3 Depth=1
	v_cndmask_b32_e64 v3, 0, v28, s1
	v_cvt_f32_u32_e32 v8, v6
	s_mov_b32 s37, exec_lo
	s_delay_alu instid0(VALU_DEP_2) | instskip(NEXT) | instid1(VALU_DEP_2)
	v_lshlrev_b64 v[6:7], 1, v[3:4]
	v_fmaak_f32 v3, 0x2f800000, v8, 0x2f800000
	s_delay_alu instid0(VALU_DEP_2) | instskip(NEXT) | instid1(VALU_DEP_3)
	v_add_co_u32 v6, vcc_lo, s10, v6
	v_add_co_ci_u32_e32 v7, vcc_lo, s11, v7, vcc_lo
	s_delay_alu instid0(VALU_DEP_3)
	v_cmp_le_f32_e32 vcc_lo, v3, v30
	v_cndmask_b32_e64 v3, 0, 1.0, vcc_lo
	global_store_d16_hi_b16 v[6:7], v3, off
.LBB101_54:                             ;   in Loop: Header=BB101_3 Depth=1
	s_or_b32 exec_lo, exec_lo, s2
	s_delay_alu instid0(SALU_CYCLE_1)
	s_and_not1_b32 s2, s36, exec_lo
	s_or_b32 s36, s36, exec_lo
	s_and_not1_b32 s35, s35, exec_lo
	s_and_not1_b32 s19, s19, exec_lo
	s_and_b32 s37, s37, exec_lo
	s_and_not1_b32 s18, s18, exec_lo
	s_or_b32 exec_lo, exec_lo, s39
	s_and_saveexec_b32 s1, s18
	s_cbranch_execz .LBB101_51
.LBB101_55:                             ;   in Loop: Header=BB101_3 Depth=1
	v_cmp_eq_u32_e32 vcc_lo, 1, v10
	s_and_not1_b32 s18, s37, exec_lo
	s_and_not1_b32 s2, s2, exec_lo
	;; [unrolled: 1-line block ×4, first 2 shown]
	s_and_b32 s37, vcc_lo, exec_lo
	s_and_not1_b32 s19, s19, exec_lo
	s_or_b32 s3, s3, exec_lo
	s_or_b32 s37, s18, s37
	s_or_b32 exec_lo, exec_lo, s1
	s_and_saveexec_b32 s18, s37
	s_cbranch_execz .LBB101_59
.LBB101_56:                             ;   in Loop: Header=BB101_3 Depth=1
	v_cmp_le_f32_e32 vcc_lo, 0, v0
	v_cmp_ge_f32_e64 s1, 1.0, v0
	s_delay_alu instid0(VALU_DEP_1)
	s_and_b32 s38, vcc_lo, s1
	s_mov_b32 s1, 0
	s_and_saveexec_b32 s37, s38
	s_cbranch_execz .LBB101_58
; %bb.57:                               ;   in Loop: Header=BB101_3 Depth=1
	v_cndmask_b32_e64 v3, 0, v26, s0
	v_cvt_f32_u32_e32 v7, v5
	s_mov_b32 s1, exec_lo
	s_delay_alu instid0(VALU_DEP_2) | instskip(NEXT) | instid1(VALU_DEP_2)
	v_lshlrev_b64 v[5:6], 1, v[3:4]
	v_fmaak_f32 v3, 0x2f800000, v7, 0x2f800000
	s_delay_alu instid0(VALU_DEP_2) | instskip(NEXT) | instid1(VALU_DEP_3)
	v_add_co_u32 v5, vcc_lo, s10, v5
	v_add_co_ci_u32_e32 v6, vcc_lo, s11, v6, vcc_lo
	s_delay_alu instid0(VALU_DEP_3)
	v_cmp_le_f32_e32 vcc_lo, v3, v0
	v_cndmask_b32_e64 v0, 0, 1.0, vcc_lo
	global_store_d16_hi_b16 v[5:6], v0, off
.LBB101_58:                             ;   in Loop: Header=BB101_3 Depth=1
	s_or_b32 exec_lo, exec_lo, s37
	s_delay_alu instid0(SALU_CYCLE_1)
	s_and_not1_b32 s0, s3, exec_lo
	s_and_b32 s1, s1, exec_lo
	s_or_b32 s2, s2, exec_lo
	s_and_not1_b32 s36, s36, exec_lo
	s_and_not1_b32 s35, s35, exec_lo
	;; [unrolled: 1-line block ×3, first 2 shown]
	s_or_b32 s3, s0, s1
.LBB101_59:                             ;   in Loop: Header=BB101_3 Depth=1
	s_or_b32 exec_lo, exec_lo, s18
	s_delay_alu instid0(SALU_CYCLE_1)
	s_and_not1_b32 s1, s34, exec_lo
	s_and_b32 s2, s2, exec_lo
	s_and_not1_b32 s18, s31, exec_lo
	s_and_b32 s31, s36, exec_lo
	s_or_b32 s34, s1, s2
	s_or_b32 s31, s18, s31
	s_and_not1_b32 s1, s33, exec_lo
	s_and_b32 s2, s35, exec_lo
	s_and_not1_b32 s18, s30, exec_lo
	s_and_b32 s19, s19, exec_lo
	s_mov_b32 s0, -1
	s_or_b32 s33, s1, s2
	s_or_b32 s30, s18, s19
	s_and_saveexec_b32 s1, s3
	s_cbranch_execz .LBB101_2
; %bb.60:                               ;   in Loop: Header=BB101_3 Depth=1
	v_add_nc_u32_e32 v24, s25, v24
	s_and_not1_b32 s34, s34, exec_lo
	s_and_not1_b32 s31, s31, exec_lo
	s_and_not1_b32 s33, s33, exec_lo
	s_and_not1_b32 s30, s30, exec_lo
	v_cmp_le_u32_e32 vcc_lo, s20, v24
	s_or_not1_b32 s0, vcc_lo, exec_lo
	s_branch .LBB101_2
.LBB101_61:
	s_or_b32 exec_lo, exec_lo, s15
	s_xor_b32 s3, s28, -1
	s_xor_b32 s4, s29, -1
	;; [unrolled: 1-line block ×3, first 2 shown]
	s_mov_b32 s1, 0
	s_and_saveexec_b32 s2, s0
	s_delay_alu instid0(SALU_CYCLE_1)
	s_xor_b32 s0, exec_lo, s2
	s_cbranch_execz .LBB101_70
; %bb.62:
	s_mov_b32 s2, 0
	s_and_saveexec_b32 s1, s4
	s_delay_alu instid0(SALU_CYCLE_1)
	s_xor_b32 s1, exec_lo, s1
	s_cbranch_execz .LBB101_68
; %bb.63:
	s_and_saveexec_b32 s4, s3
	s_delay_alu instid0(SALU_CYCLE_1)
	s_xor_b32 s3, exec_lo, s4
	s_cbranch_execz .LBB101_66
; %bb.64:
	s_and_saveexec_b32 s4, s14
	s_delay_alu instid0(SALU_CYCLE_1)
	s_xor_b32 s4, exec_lo, s4
	s_cbranch_execnz .LBB101_84
.LBB101_65:
	s_or_b32 exec_lo, exec_lo, s4
	s_delay_alu instid0(SALU_CYCLE_1)
	s_and_b32 s2, s2, exec_lo
.LBB101_66:
	s_and_not1_saveexec_b32 s3, s3
	s_cbranch_execnz .LBB101_80
.LBB101_67:
	s_or_b32 exec_lo, exec_lo, s3
	s_delay_alu instid0(SALU_CYCLE_1)
	s_and_b32 s2, s2, exec_lo
.LBB101_68:
	s_and_not1_saveexec_b32 s1, s1
	s_cbranch_execnz .LBB101_76
.LBB101_69:
	s_or_b32 exec_lo, exec_lo, s1
	s_delay_alu instid0(SALU_CYCLE_1)
	s_and_b32 s1, s2, exec_lo
.LBB101_70:
	s_and_not1_saveexec_b32 s0, s0
	s_cbranch_execnz .LBB101_74
; %bb.71:
	s_or_b32 exec_lo, exec_lo, s0
	s_delay_alu instid0(SALU_CYCLE_1)
	s_and_b32 exec_lo, exec_lo, s1
.LBB101_72:
	; divergent unreachable
.LBB101_73:
	s_nop 0
	s_sendmsg sendmsg(MSG_DEALLOC_VGPRS)
	s_endpgm
.LBB101_74:
	s_cbranch_execnz .LBB101_78
; %bb.75:
	s_or_b32 s1, s1, exec_lo
	s_or_b32 exec_lo, exec_lo, s0
	s_delay_alu instid0(SALU_CYCLE_1)
	s_and_b32 exec_lo, exec_lo, s1
	s_cbranch_execnz .LBB101_72
	s_branch .LBB101_73
.LBB101_76:
	s_cbranch_execnz .LBB101_82
; %bb.77:
	s_or_b32 s2, s2, exec_lo
	s_branch .LBB101_69
.LBB101_78:
	s_trap 2
	s_sendmsg_rtn_b32 s0, sendmsg(MSG_RTN_GET_DOORBELL)
	s_mov_b32 ttmp2, m0
	s_waitcnt lgkmcnt(0)
	s_and_b32 s0, s0, 0x3ff
	s_delay_alu instid0(SALU_CYCLE_1) | instskip(NEXT) | instid1(SALU_CYCLE_1)
	s_bitset1_b32 s0, 10
	s_mov_b32 m0, s0
	s_sendmsg sendmsg(MSG_INTERRUPT)
	s_mov_b32 m0, ttmp2
.LBB101_79:                             ; =>This Inner Loop Header: Depth=1
	s_sethalt 5
	s_branch .LBB101_79
.LBB101_80:
	s_cbranch_execnz .LBB101_86
; %bb.81:
	s_or_b32 s2, s2, exec_lo
	s_branch .LBB101_67
.LBB101_82:
	s_trap 2
	s_sendmsg_rtn_b32 s0, sendmsg(MSG_RTN_GET_DOORBELL)
	s_mov_b32 ttmp2, m0
	s_waitcnt lgkmcnt(0)
	s_and_b32 s0, s0, 0x3ff
	s_delay_alu instid0(SALU_CYCLE_1) | instskip(NEXT) | instid1(SALU_CYCLE_1)
	s_bitset1_b32 s0, 10
	s_mov_b32 m0, s0
	s_sendmsg sendmsg(MSG_INTERRUPT)
	s_mov_b32 m0, ttmp2
.LBB101_83:                             ; =>This Inner Loop Header: Depth=1
	s_sethalt 5
	s_branch .LBB101_83
.LBB101_84:
	s_cbranch_execnz .LBB101_88
; %bb.85:
	s_mov_b32 s2, exec_lo
	s_branch .LBB101_65
.LBB101_86:
	s_trap 2
	s_sendmsg_rtn_b32 s0, sendmsg(MSG_RTN_GET_DOORBELL)
	s_mov_b32 ttmp2, m0
	s_waitcnt lgkmcnt(0)
	s_and_b32 s0, s0, 0x3ff
	s_delay_alu instid0(SALU_CYCLE_1) | instskip(NEXT) | instid1(SALU_CYCLE_1)
	s_bitset1_b32 s0, 10
	s_mov_b32 m0, s0
	s_sendmsg sendmsg(MSG_INTERRUPT)
	s_mov_b32 m0, ttmp2
.LBB101_87:                             ; =>This Inner Loop Header: Depth=1
	s_sethalt 5
	s_branch .LBB101_87
.LBB101_88:
	s_trap 2
	s_sendmsg_rtn_b32 s0, sendmsg(MSG_RTN_GET_DOORBELL)
	s_mov_b32 ttmp2, m0
	s_waitcnt lgkmcnt(0)
	s_and_b32 s0, s0, 0x3ff
	s_delay_alu instid0(SALU_CYCLE_1) | instskip(NEXT) | instid1(SALU_CYCLE_1)
	s_bitset1_b32 s0, 10
	s_mov_b32 m0, s0
	s_sendmsg sendmsg(MSG_INTERRUPT)
	s_mov_b32 m0, ttmp2
.LBB101_89:                             ; =>This Inner Loop Header: Depth=1
	s_sethalt 5
	s_branch .LBB101_89
	.section	.rodata,"a",@progbits
	.p2align	6, 0x0
	.amdhsa_kernel _ZN2at4cuda12_GLOBAL__N_121kernelPointwiseApply2IZNS_6native9templates4cuda28bernoulli_tensor_cuda_kernelIN3c108BFloat16EfEEvRKNS_10TensorBaseESB_NS_15PhiloxCudaStateEEUliRS8_SD_SD_SD_RKfSF_SF_SF_E_S8_SE_jLi1ELin1ELi4ELi512ELi2EEEvNS0_6detail10TensorInfoIT0_T2_EENSI_IT1_SK_EESK_T_
		.amdhsa_group_segment_fixed_size 0
		.amdhsa_private_segment_fixed_size 0
		.amdhsa_kernarg_size 728
		.amdhsa_user_sgpr_count 15
		.amdhsa_user_sgpr_dispatch_ptr 0
		.amdhsa_user_sgpr_queue_ptr 0
		.amdhsa_user_sgpr_kernarg_segment_ptr 1
		.amdhsa_user_sgpr_dispatch_id 0
		.amdhsa_user_sgpr_private_segment_size 0
		.amdhsa_wavefront_size32 1
		.amdhsa_uses_dynamic_stack 0
		.amdhsa_enable_private_segment 0
		.amdhsa_system_sgpr_workgroup_id_x 1
		.amdhsa_system_sgpr_workgroup_id_y 0
		.amdhsa_system_sgpr_workgroup_id_z 0
		.amdhsa_system_sgpr_workgroup_info 0
		.amdhsa_system_vgpr_workitem_id 0
		.amdhsa_next_free_vgpr 39
		.amdhsa_next_free_sgpr 41
		.amdhsa_reserve_vcc 1
		.amdhsa_float_round_mode_32 0
		.amdhsa_float_round_mode_16_64 0
		.amdhsa_float_denorm_mode_32 3
		.amdhsa_float_denorm_mode_16_64 3
		.amdhsa_dx10_clamp 1
		.amdhsa_ieee_mode 1
		.amdhsa_fp16_overflow 0
		.amdhsa_workgroup_processor_mode 1
		.amdhsa_memory_ordered 1
		.amdhsa_forward_progress 0
		.amdhsa_shared_vgpr_count 0
		.amdhsa_exception_fp_ieee_invalid_op 0
		.amdhsa_exception_fp_denorm_src 0
		.amdhsa_exception_fp_ieee_div_zero 0
		.amdhsa_exception_fp_ieee_overflow 0
		.amdhsa_exception_fp_ieee_underflow 0
		.amdhsa_exception_fp_ieee_inexact 0
		.amdhsa_exception_int_div_zero 0
	.end_amdhsa_kernel
	.section	.text._ZN2at4cuda12_GLOBAL__N_121kernelPointwiseApply2IZNS_6native9templates4cuda28bernoulli_tensor_cuda_kernelIN3c108BFloat16EfEEvRKNS_10TensorBaseESB_NS_15PhiloxCudaStateEEUliRS8_SD_SD_SD_RKfSF_SF_SF_E_S8_SE_jLi1ELin1ELi4ELi512ELi2EEEvNS0_6detail10TensorInfoIT0_T2_EENSI_IT1_SK_EESK_T_,"axG",@progbits,_ZN2at4cuda12_GLOBAL__N_121kernelPointwiseApply2IZNS_6native9templates4cuda28bernoulli_tensor_cuda_kernelIN3c108BFloat16EfEEvRKNS_10TensorBaseESB_NS_15PhiloxCudaStateEEUliRS8_SD_SD_SD_RKfSF_SF_SF_E_S8_SE_jLi1ELin1ELi4ELi512ELi2EEEvNS0_6detail10TensorInfoIT0_T2_EENSI_IT1_SK_EESK_T_,comdat
.Lfunc_end101:
	.size	_ZN2at4cuda12_GLOBAL__N_121kernelPointwiseApply2IZNS_6native9templates4cuda28bernoulli_tensor_cuda_kernelIN3c108BFloat16EfEEvRKNS_10TensorBaseESB_NS_15PhiloxCudaStateEEUliRS8_SD_SD_SD_RKfSF_SF_SF_E_S8_SE_jLi1ELin1ELi4ELi512ELi2EEEvNS0_6detail10TensorInfoIT0_T2_EENSI_IT1_SK_EESK_T_, .Lfunc_end101-_ZN2at4cuda12_GLOBAL__N_121kernelPointwiseApply2IZNS_6native9templates4cuda28bernoulli_tensor_cuda_kernelIN3c108BFloat16EfEEvRKNS_10TensorBaseESB_NS_15PhiloxCudaStateEEUliRS8_SD_SD_SD_RKfSF_SF_SF_E_S8_SE_jLi1ELin1ELi4ELi512ELi2EEEvNS0_6detail10TensorInfoIT0_T2_EENSI_IT1_SK_EESK_T_
                                        ; -- End function
	.section	.AMDGPU.csdata,"",@progbits
; Kernel info:
; codeLenInByte = 4272
; NumSgprs: 43
; NumVgprs: 39
; ScratchSize: 0
; MemoryBound: 0
; FloatMode: 240
; IeeeMode: 1
; LDSByteSize: 0 bytes/workgroup (compile time only)
; SGPRBlocks: 5
; VGPRBlocks: 4
; NumSGPRsForWavesPerEU: 43
; NumVGPRsForWavesPerEU: 39
; Occupancy: 16
; WaveLimiterHint : 1
; COMPUTE_PGM_RSRC2:SCRATCH_EN: 0
; COMPUTE_PGM_RSRC2:USER_SGPR: 15
; COMPUTE_PGM_RSRC2:TRAP_HANDLER: 0
; COMPUTE_PGM_RSRC2:TGID_X_EN: 1
; COMPUTE_PGM_RSRC2:TGID_Y_EN: 0
; COMPUTE_PGM_RSRC2:TGID_Z_EN: 0
; COMPUTE_PGM_RSRC2:TIDIG_COMP_CNT: 0
	.section	.text._ZN2at4cuda12_GLOBAL__N_121kernelPointwiseApply2IZNS_6native9templates4cuda28bernoulli_tensor_cuda_kernelIN3c108BFloat16EfEEvRKNS_10TensorBaseESB_NS_15PhiloxCudaStateEEUliRS8_SD_SD_SD_RKfSF_SF_SF_E_S8_SE_jLi2ELi1ELi4ELi512ELi2EEEvNS0_6detail10TensorInfoIT0_T2_EENSI_IT1_SK_EESK_T_,"axG",@progbits,_ZN2at4cuda12_GLOBAL__N_121kernelPointwiseApply2IZNS_6native9templates4cuda28bernoulli_tensor_cuda_kernelIN3c108BFloat16EfEEvRKNS_10TensorBaseESB_NS_15PhiloxCudaStateEEUliRS8_SD_SD_SD_RKfSF_SF_SF_E_S8_SE_jLi2ELi1ELi4ELi512ELi2EEEvNS0_6detail10TensorInfoIT0_T2_EENSI_IT1_SK_EESK_T_,comdat
	.globl	_ZN2at4cuda12_GLOBAL__N_121kernelPointwiseApply2IZNS_6native9templates4cuda28bernoulli_tensor_cuda_kernelIN3c108BFloat16EfEEvRKNS_10TensorBaseESB_NS_15PhiloxCudaStateEEUliRS8_SD_SD_SD_RKfSF_SF_SF_E_S8_SE_jLi2ELi1ELi4ELi512ELi2EEEvNS0_6detail10TensorInfoIT0_T2_EENSI_IT1_SK_EESK_T_ ; -- Begin function _ZN2at4cuda12_GLOBAL__N_121kernelPointwiseApply2IZNS_6native9templates4cuda28bernoulli_tensor_cuda_kernelIN3c108BFloat16EfEEvRKNS_10TensorBaseESB_NS_15PhiloxCudaStateEEUliRS8_SD_SD_SD_RKfSF_SF_SF_E_S8_SE_jLi2ELi1ELi4ELi512ELi2EEEvNS0_6detail10TensorInfoIT0_T2_EENSI_IT1_SK_EESK_T_
	.p2align	8
	.type	_ZN2at4cuda12_GLOBAL__N_121kernelPointwiseApply2IZNS_6native9templates4cuda28bernoulli_tensor_cuda_kernelIN3c108BFloat16EfEEvRKNS_10TensorBaseESB_NS_15PhiloxCudaStateEEUliRS8_SD_SD_SD_RKfSF_SF_SF_E_S8_SE_jLi2ELi1ELi4ELi512ELi2EEEvNS0_6detail10TensorInfoIT0_T2_EENSI_IT1_SK_EESK_T_,@function
_ZN2at4cuda12_GLOBAL__N_121kernelPointwiseApply2IZNS_6native9templates4cuda28bernoulli_tensor_cuda_kernelIN3c108BFloat16EfEEvRKNS_10TensorBaseESB_NS_15PhiloxCudaStateEEUliRS8_SD_SD_SD_RKfSF_SF_SF_E_S8_SE_jLi2ELi1ELi4ELi512ELi2EEEvNS0_6detail10TensorInfoIT0_T2_EENSI_IT1_SK_EESK_T_: ; @_ZN2at4cuda12_GLOBAL__N_121kernelPointwiseApply2IZNS_6native9templates4cuda28bernoulli_tensor_cuda_kernelIN3c108BFloat16EfEEvRKNS_10TensorBaseESB_NS_15PhiloxCudaStateEEUliRS8_SD_SD_SD_RKfSF_SF_SF_E_S8_SE_jLi2ELi1ELi4ELi512ELi2EEEvNS0_6detail10TensorInfoIT0_T2_EENSI_IT1_SK_EESK_T_
; %bb.0:
	s_clause 0x1
	s_load_b32 s4, s[0:1], 0x1e4
	s_load_b32 s16, s[0:1], 0x1b0
	s_add_u32 s2, s0, 0x1d8
	s_addc_u32 s3, s1, 0
	s_waitcnt lgkmcnt(0)
	s_and_b32 s20, s4, 0xffff
	s_mov_b32 s4, exec_lo
	v_mad_u64_u32 v[1:2], null, s15, s20, v[0:1]
	s_delay_alu instid0(VALU_DEP_1) | instskip(NEXT) | instid1(VALU_DEP_1)
	v_lshlrev_b32_e32 v0, 2, v1
	v_cmpx_gt_u32_e64 s16, v0
	s_cbranch_execz .LBB102_59
; %bb.1:
	s_clause 0x4
	s_load_b32 s17, s[0:1], 0xc
	s_load_b64 s[8:9], s[0:1], 0x6c
	s_load_b64 s[10:11], s[0:1], 0xd8
	s_load_b32 s4, s[0:1], 0x1d0
	s_load_b32 s23, s[0:1], 0x144
	s_load_b32 s2, s[2:3], 0x0
	s_clause 0x1
	s_load_b64 s[12:13], s[0:1], 0x0
	s_load_b64 s[14:15], s[0:1], 0x1c8
	v_add_nc_u32_e32 v8, 3, v0
	v_sub_nc_u32_e32 v31, s16, v0
	s_mov_b32 s22, 0
	s_mov_b32 s25, 0
                                        ; implicit-def: $sgpr24
                                        ; implicit-def: $sgpr27
                                        ; implicit-def: $sgpr26
                                        ; implicit-def: $sgpr28
                                        ; implicit-def: $sgpr30
                                        ; implicit-def: $sgpr29
                                        ; implicit-def: $sgpr31
	v_add_nc_u32_e32 v7, 2, v0
	s_waitcnt lgkmcnt(0)
	v_cvt_f32_u32_e32 v2, s17
	s_bitcmp1_b32 s4, 0
	s_load_b128 s[4:7], s[0:1], 0x1b8
	s_delay_alu instid0(VALU_DEP_1)
	v_rcp_iflag_f32_e32 v2, v2
	s_cselect_b32 s18, -1, 0
	s_sub_i32 s19, 0, s17
	v_mul_lo_u32 v30, v0, s23
	v_mul_lo_u32 v34, s23, v8
	s_mul_i32 s2, s2, s20
	v_mov_b32_e32 v4, 0
	s_lshl_b32 s21, s2, 2
                                        ; implicit-def: $sgpr20
	v_mul_lo_u32 v33, s23, v7
	s_waitcnt_depctr 0xfff
	v_mul_f32_e32 v2, 0x4f7ffffe, v2
	v_add_nc_u32_e32 v35, s23, v30
	s_mul_i32 s23, s21, s23
	s_delay_alu instid0(VALU_DEP_2) | instskip(SKIP_1) | instid1(VALU_DEP_2)
	v_cvt_u32_f32_e32 v5, v2
	v_mad_u64_u32 v[2:3], null, 0xcd9e8d57, v1, 0
	v_mul_lo_u32 v6, s19, v5
	s_delay_alu instid0(VALU_DEP_2) | instskip(NEXT) | instid1(VALU_DEP_2)
	v_mov_b32_e32 v32, v3
	v_mul_hi_u32 v6, v5, v6
	s_delay_alu instid0(VALU_DEP_1)
	v_add_nc_u32_e32 v36, v5, v6
	s_branch .LBB102_3
.LBB102_2:                              ;   in Loop: Header=BB102_3 Depth=1
	s_or_b32 exec_lo, exec_lo, s1
	s_delay_alu instid0(SALU_CYCLE_1) | instskip(NEXT) | instid1(SALU_CYCLE_1)
	s_and_b32 s0, exec_lo, s0
	s_or_b32 s22, s0, s22
	s_and_not1_b32 s0, s20, exec_lo
	s_and_b32 s1, s31, exec_lo
	s_and_not1_b32 s2, s26, exec_lo
	s_and_b32 s3, s29, exec_lo
	s_or_b32 s20, s0, s1
	s_or_b32 s26, s2, s3
	s_and_not1_b32 s0, s27, exec_lo
	s_and_b32 s1, s30, exec_lo
	s_and_not1_b32 s2, s24, exec_lo
	s_and_b32 s3, s28, exec_lo
	s_or_b32 s27, s0, s1
	s_or_b32 s24, s2, s3
	s_and_not1_b32 exec_lo, exec_lo, s22
	s_cbranch_execz .LBB102_47
.LBB102_3:                              ; =>This Inner Loop Header: Depth=1
	v_mov_b32_e32 v7, 0
	v_mov_b32_e32 v8, 0
	v_cmp_lt_i32_e32 vcc_lo, 0, v31
	s_delay_alu instid0(VALU_DEP_2)
	v_dual_mov_b32 v5, v7 :: v_dual_mov_b32 v6, v8
	s_and_saveexec_b32 s1, vcc_lo
	s_cbranch_execz .LBB102_5
; %bb.4:                                ;   in Loop: Header=BB102_3 Depth=1
	v_mul_hi_u32 v3, v36, v0
	s_delay_alu instid0(VALU_DEP_1) | instskip(SKIP_2) | instid1(VALU_DEP_3)
	v_not_b32_e32 v11, v3
	v_mad_u64_u32 v[5:6], null, s19, v3, v[0:1]
	v_add_nc_u32_e32 v6, 1, v3
	v_mad_u64_u32 v[9:10], null, s17, v11, v[0:1]
	s_delay_alu instid0(VALU_DEP_3) | instskip(NEXT) | instid1(VALU_DEP_1)
	v_cmp_le_u32_e64 s0, s17, v5
	v_cndmask_b32_e64 v3, v3, v6, s0
	s_delay_alu instid0(VALU_DEP_3) | instskip(NEXT) | instid1(VALU_DEP_2)
	v_cndmask_b32_e64 v5, v5, v9, s0
	v_add_nc_u32_e32 v6, 1, v3
	s_delay_alu instid0(VALU_DEP_2) | instskip(NEXT) | instid1(VALU_DEP_1)
	v_cmp_le_u32_e64 s0, s17, v5
	v_cndmask_b32_e64 v9, v3, v6, s0
	s_delay_alu instid0(VALU_DEP_1) | instskip(NEXT) | instid1(VALU_DEP_1)
	v_mad_u64_u32 v[5:6], null, s19, v9, v[0:1]
	v_mul_lo_u32 v3, v5, s9
	s_delay_alu instid0(VALU_DEP_1)
	v_mad_u64_u32 v[5:6], null, v9, s8, v[3:4]
	v_mov_b32_e32 v6, v4
.LBB102_5:                              ;   in Loop: Header=BB102_3 Depth=1
	s_or_b32 exec_lo, exec_lo, s1
	v_cmp_lt_i32_e64 s0, 1, v31
	s_delay_alu instid0(VALU_DEP_1)
	s_and_saveexec_b32 s2, s0
	s_cbranch_execz .LBB102_7
; %bb.6:                                ;   in Loop: Header=BB102_3 Depth=1
	v_add_nc_u32_e32 v3, 1, v0
	s_delay_alu instid0(VALU_DEP_1) | instskip(NEXT) | instid1(VALU_DEP_1)
	v_mul_hi_u32 v7, v3, v36
	v_mul_lo_u32 v8, v7, s17
	v_add_nc_u32_e32 v9, 1, v7
	s_delay_alu instid0(VALU_DEP_2) | instskip(NEXT) | instid1(VALU_DEP_1)
	v_sub_nc_u32_e32 v8, v3, v8
	v_subrev_nc_u32_e32 v10, s17, v8
	v_cmp_le_u32_e64 s1, s17, v8
	s_delay_alu instid0(VALU_DEP_1) | instskip(NEXT) | instid1(VALU_DEP_3)
	v_cndmask_b32_e64 v7, v7, v9, s1
	v_cndmask_b32_e64 v8, v8, v10, s1
	s_delay_alu instid0(VALU_DEP_2) | instskip(NEXT) | instid1(VALU_DEP_2)
	v_add_nc_u32_e32 v9, 1, v7
	v_cmp_le_u32_e64 s1, s17, v8
	s_delay_alu instid0(VALU_DEP_1) | instskip(NEXT) | instid1(VALU_DEP_1)
	v_cndmask_b32_e64 v9, v7, v9, s1
	v_mul_lo_u32 v7, v9, s17
	s_delay_alu instid0(VALU_DEP_1) | instskip(NEXT) | instid1(VALU_DEP_1)
	v_sub_nc_u32_e32 v3, v3, v7
	v_mul_lo_u32 v3, v3, s9
	s_delay_alu instid0(VALU_DEP_1)
	v_mad_u64_u32 v[7:8], null, v9, s8, v[3:4]
	v_mov_b32_e32 v8, v4
.LBB102_7:                              ;   in Loop: Header=BB102_3 Depth=1
	s_or_b32 exec_lo, exec_lo, s2
	v_mov_b32_e32 v11, 0
	v_mov_b32_e32 v12, 0
	v_cmp_lt_i32_e64 s1, 2, v31
	s_delay_alu instid0(VALU_DEP_2) | instskip(NEXT) | instid1(VALU_DEP_2)
	v_dual_mov_b32 v9, v11 :: v_dual_mov_b32 v10, v12
	s_and_saveexec_b32 s3, s1
	s_cbranch_execz .LBB102_9
; %bb.8:                                ;   in Loop: Header=BB102_3 Depth=1
	v_add_nc_u32_e32 v3, 2, v0
	s_delay_alu instid0(VALU_DEP_1) | instskip(NEXT) | instid1(VALU_DEP_1)
	v_mul_hi_u32 v9, v3, v36
	v_mul_lo_u32 v10, v9, s17
	v_add_nc_u32_e32 v13, 1, v9
	s_delay_alu instid0(VALU_DEP_2) | instskip(NEXT) | instid1(VALU_DEP_1)
	v_sub_nc_u32_e32 v10, v3, v10
	v_subrev_nc_u32_e32 v14, s17, v10
	v_cmp_le_u32_e64 s2, s17, v10
	s_delay_alu instid0(VALU_DEP_1) | instskip(NEXT) | instid1(VALU_DEP_3)
	v_cndmask_b32_e64 v9, v9, v13, s2
	v_cndmask_b32_e64 v10, v10, v14, s2
	s_delay_alu instid0(VALU_DEP_2) | instskip(NEXT) | instid1(VALU_DEP_2)
	v_add_nc_u32_e32 v13, 1, v9
	v_cmp_le_u32_e64 s2, s17, v10
	s_delay_alu instid0(VALU_DEP_1) | instskip(NEXT) | instid1(VALU_DEP_1)
	v_cndmask_b32_e64 v13, v9, v13, s2
	v_mul_lo_u32 v9, v13, s17
	s_delay_alu instid0(VALU_DEP_1) | instskip(NEXT) | instid1(VALU_DEP_1)
	v_sub_nc_u32_e32 v3, v3, v9
	v_mul_lo_u32 v3, v3, s9
	s_delay_alu instid0(VALU_DEP_1)
	v_mad_u64_u32 v[9:10], null, v13, s8, v[3:4]
	v_mov_b32_e32 v10, v4
.LBB102_9:                              ;   in Loop: Header=BB102_3 Depth=1
	s_or_b32 exec_lo, exec_lo, s3
	v_cmp_lt_i32_e64 s2, 3, v31
	s_delay_alu instid0(VALU_DEP_1)
	s_and_saveexec_b32 s33, s2
	s_cbranch_execz .LBB102_11
; %bb.10:                               ;   in Loop: Header=BB102_3 Depth=1
	v_add_nc_u32_e32 v3, 3, v0
	s_delay_alu instid0(VALU_DEP_1) | instskip(NEXT) | instid1(VALU_DEP_1)
	v_mul_hi_u32 v11, v3, v36
	v_mul_lo_u32 v12, v11, s17
	v_add_nc_u32_e32 v13, 1, v11
	s_delay_alu instid0(VALU_DEP_2) | instskip(NEXT) | instid1(VALU_DEP_1)
	v_sub_nc_u32_e32 v12, v3, v12
	v_subrev_nc_u32_e32 v14, s17, v12
	v_cmp_le_u32_e64 s3, s17, v12
	s_delay_alu instid0(VALU_DEP_1) | instskip(NEXT) | instid1(VALU_DEP_3)
	v_cndmask_b32_e64 v11, v11, v13, s3
	v_cndmask_b32_e64 v12, v12, v14, s3
	s_delay_alu instid0(VALU_DEP_2) | instskip(NEXT) | instid1(VALU_DEP_2)
	v_add_nc_u32_e32 v13, 1, v11
	v_cmp_le_u32_e64 s3, s17, v12
	s_delay_alu instid0(VALU_DEP_1) | instskip(NEXT) | instid1(VALU_DEP_1)
	v_cndmask_b32_e64 v13, v11, v13, s3
	v_mul_lo_u32 v11, v13, s17
	s_delay_alu instid0(VALU_DEP_1) | instskip(NEXT) | instid1(VALU_DEP_1)
	v_sub_nc_u32_e32 v3, v3, v11
	v_mul_lo_u32 v3, v3, s9
	s_delay_alu instid0(VALU_DEP_1)
	v_mad_u64_u32 v[11:12], null, v13, s8, v[3:4]
	v_mov_b32_e32 v12, v4
.LBB102_11:                             ;   in Loop: Header=BB102_3 Depth=1
	s_or_b32 exec_lo, exec_lo, s33
	v_add_nc_u32_e32 v3, s25, v30
	v_add_nc_u32_e32 v15, s25, v35
	;; [unrolled: 1-line block ×4, first 2 shown]
	s_delay_alu instid0(VALU_DEP_4) | instskip(NEXT) | instid1(VALU_DEP_1)
	v_cndmask_b32_e32 v3, 0, v3, vcc_lo
	v_lshlrev_b64 v[13:14], 2, v[3:4]
	v_cndmask_b32_e64 v3, 0, v15, s0
	s_delay_alu instid0(VALU_DEP_1) | instskip(SKIP_1) | instid1(VALU_DEP_4)
	v_lshlrev_b64 v[15:16], 2, v[3:4]
	v_cndmask_b32_e64 v3, 0, v17, s1
	v_add_co_u32 v13, vcc_lo, s10, v13
	v_add_co_ci_u32_e32 v14, vcc_lo, s11, v14, vcc_lo
	s_delay_alu instid0(VALU_DEP_3) | instskip(SKIP_3) | instid1(VALU_DEP_3)
	v_lshlrev_b64 v[17:18], 2, v[3:4]
	v_cndmask_b32_e64 v3, 0, v19, s2
	v_add_co_u32 v15, vcc_lo, s10, v15
	v_add_co_ci_u32_e32 v16, vcc_lo, s11, v16, vcc_lo
	v_lshlrev_b64 v[19:20], 2, v[3:4]
	v_add_co_u32 v17, vcc_lo, s10, v17
	v_add_co_ci_u32_e32 v18, vcc_lo, s11, v18, vcc_lo
	s_delay_alu instid0(VALU_DEP_3) | instskip(NEXT) | instid1(VALU_DEP_4)
	v_add_co_u32 v19, vcc_lo, s10, v19
	v_add_co_ci_u32_e32 v20, vcc_lo, s11, v20, vcc_lo
	s_clause 0x3
	global_load_b32 v3, v[13:14], off
	global_load_b32 v37, v[15:16], off
	;; [unrolled: 1-line block ×4, first 2 shown]
	s_waitcnt lgkmcnt(0)
	v_mov_b32_e32 v20, s5
	v_dual_mov_b32 v18, s7 :: v_dual_mov_b32 v17, s6
	v_mov_b32_e32 v19, s4
	s_and_not1_b32 vcc_lo, exec_lo, s18
	s_cbranch_vccnz .LBB102_13
; %bb.12:                               ;   in Loop: Header=BB102_3 Depth=1
	v_dual_mov_b32 v14, s7 :: v_dual_mov_b32 v13, s6
	v_dual_mov_b32 v16, s5 :: v_dual_mov_b32 v15, s4
	flat_load_b64 v[13:14], v[13:14]
	flat_load_b64 v[19:20], v[15:16]
	s_waitcnt vmcnt(1) lgkmcnt(1)
	v_add_co_u32 v17, vcc_lo, v13, s14
	v_add_co_ci_u32_e32 v18, vcc_lo, s15, v14, vcc_lo
.LBB102_13:                             ;   in Loop: Header=BB102_3 Depth=1
	s_delay_alu instid0(VALU_DEP_1)
	v_alignbit_b32 v16, v18, v17, 2
	v_lshrrev_b32_e32 v15, 2, v18
	s_waitcnt vmcnt(0) lgkmcnt(0)
	v_add_nc_u32_e32 v41, 0xbb67ae85, v20
	v_add_nc_u32_e32 v42, 0x76cf5d0a, v20
	;; [unrolled: 1-line block ×3, first 2 shown]
	v_add_co_u32 v18, vcc_lo, v16, 1
	s_delay_alu instid0(VALU_DEP_1) | instskip(SKIP_4) | instid1(VALU_DEP_4)
	v_cndmask_b32_e64 v13, 0, 1, vcc_lo
	v_add_co_ci_u32_e32 v27, vcc_lo, 0, v15, vcc_lo
	v_xor3_b32 v23, v32, v19, v15
	v_add_nc_u32_e32 v44, 0x32370b8f, v20
	v_add_nc_u32_e32 v45, 0xed9eba14, v20
	v_cmp_eq_u32_e32 vcc_lo, 0, v27
	v_add_nc_u32_e32 v46, 0x1715609d, v19
	v_add_nc_u32_e32 v47, 0xa9066899, v20
	s_mov_b32 s0, exec_lo
	v_dual_cndmask_b32 v21, 0, v13 :: v_dual_add_nc_u32 v40, 0x9e3779b9, v19
	v_mad_u64_u32 v[13:14], null, 0xd2511f53, v18, 0
	s_delay_alu instid0(VALU_DEP_2) | instskip(NEXT) | instid1(VALU_DEP_2)
	v_add_nc_u32_e32 v18, v21, v1
	v_xor_b32_e32 v22, v14, v20
	s_delay_alu instid0(VALU_DEP_2) | instskip(SKIP_2) | instid1(VALU_DEP_1)
	v_cmp_eq_u32_e32 vcc_lo, 0, v18
	v_mad_u64_u32 v[14:15], null, 0xd2511f53, v16, 0
	v_cndmask_b32_e32 v21, 0, v21, vcc_lo
	v_xor_b32_e32 v16, v21, v22
	v_mad_u64_u32 v[21:22], null, 0xd2511f53, v23, 0
	v_mad_u64_u32 v[23:24], null, 0xcd9e8d57, v18, 0
	v_add_nc_u32_e32 v18, 0x3c6ef372, v19
	s_delay_alu instid0(VALU_DEP_4) | instskip(SKIP_2) | instid1(VALU_DEP_2)
	v_mad_u64_u32 v[25:26], null, 0xcd9e8d57, v16, 0
	v_xor_b32_e32 v16, v15, v20
	v_xor3_b32 v28, v41, v22, v14
	v_mad_u64_u32 v[14:15], null, 0xcd9e8d57, v16, 0
	v_xor3_b32 v16, v24, v19, v27
	v_xor3_b32 v24, v40, v26, v23
	s_delay_alu instid0(VALU_DEP_4) | instskip(NEXT) | instid1(VALU_DEP_3)
	v_mad_u64_u32 v[22:23], null, 0xcd9e8d57, v28, 0
	v_mad_u64_u32 v[26:27], null, 0xd2511f53, v16, 0
	s_delay_alu instid0(VALU_DEP_3) | instskip(SKIP_1) | instid1(VALU_DEP_4)
	v_mad_u64_u32 v[28:29], null, 0xd2511f53, v24, 0
	v_xor3_b32 v16, v2, v15, v40
	v_xor3_b32 v40, v18, v23, v14
	s_delay_alu instid0(VALU_DEP_4) | instskip(NEXT) | instid1(VALU_DEP_3)
	v_xor3_b32 v13, v41, v27, v13
	v_mad_u64_u32 v[14:15], null, 0xd2511f53, v16, 0
	v_xor3_b32 v16, v42, v29, v26
	s_delay_alu instid0(VALU_DEP_4) | instskip(NEXT) | instid1(VALU_DEP_4)
	v_mad_u64_u32 v[23:24], null, 0xd2511f53, v40, 0
	v_mad_u64_u32 v[26:27], null, 0xcd9e8d57, v13, 0
	s_delay_alu instid0(VALU_DEP_3) | instskip(SKIP_4) | instid1(VALU_DEP_4)
	v_mad_u64_u32 v[40:41], null, 0xcd9e8d57, v16, 0
	v_xor3_b32 v15, v42, v15, v21
	v_add_nc_u32_e32 v29, 0x78dde6e4, v19
	v_xor3_b32 v21, v44, v24, v14
	v_xor3_b32 v18, v18, v27, v25
	v_mad_u64_u32 v[13:14], null, 0xcd9e8d57, v15, 0
	v_xor3_b32 v41, v43, v41, v26
	s_delay_alu instid0(VALU_DEP_4) | instskip(NEXT) | instid1(VALU_DEP_4)
	v_mad_u64_u32 v[15:16], null, 0xcd9e8d57, v21, 0
	v_mad_u64_u32 v[24:25], null, 0xd2511f53, v18, 0
	s_delay_alu instid0(VALU_DEP_3) | instskip(SKIP_1) | instid1(VALU_DEP_4)
	v_mad_u64_u32 v[26:27], null, 0xd2511f53, v41, 0
	v_xor3_b32 v18, v43, v14, v22
	v_xor3_b32 v16, v29, v16, v13
	s_delay_alu instid0(VALU_DEP_2) | instskip(SKIP_2) | instid1(VALU_DEP_4)
	v_mad_u64_u32 v[13:14], null, 0xd2511f53, v18, 0
	v_xor3_b32 v18, v44, v25, v28
	v_xor3_b32 v24, v45, v27, v24
	v_mad_u64_u32 v[27:28], null, 0xd2511f53, v16, 0
	s_delay_alu instid0(VALU_DEP_3) | instskip(NEXT) | instid1(VALU_DEP_3)
	v_mad_u64_u32 v[21:22], null, 0xcd9e8d57, v18, 0
	v_mad_u64_u32 v[41:42], null, 0xcd9e8d57, v24, 0
	v_xor3_b32 v16, v45, v14, v23
	s_delay_alu instid0(VALU_DEP_4) | instskip(SKIP_2) | instid1(VALU_DEP_4)
	v_xor3_b32 v24, v47, v28, v13
	v_add_nc_u32_e32 v18, 0xb54cda56, v19
	v_add_nc_u32_e32 v23, 0x646e171e, v20
	v_mad_u64_u32 v[13:14], null, 0xcd9e8d57, v16, 0
	v_xor3_b32 v16, v29, v22, v40
	v_xor3_b32 v25, v46, v42, v21
	v_mad_u64_u32 v[42:43], null, 0xcd9e8d57, v24, 0
	v_add_nc_u32_e32 v29, 0x5384540f, v19
	s_delay_alu instid0(VALU_DEP_4) | instskip(NEXT) | instid1(VALU_DEP_4)
	v_mad_u64_u32 v[21:22], null, 0xd2511f53, v16, 0
	v_mad_u64_u32 v[44:45], null, 0xd2511f53, v25, 0
	v_xor3_b32 v15, v46, v14, v15
	v_xor3_b32 v16, v18, v43, v13
	v_add_nc_u32_e32 v46, 0x1fd5c5a3, v20
	v_add_co_u32 v40, null, 0xf1bbcdc8, v19
	v_xor3_b32 v24, v47, v22, v26
	v_xor3_b32 v26, v23, v45, v21
	v_mad_u64_u32 v[13:14], null, 0xd2511f53, v15, 0
	v_mad_u64_u32 v[21:22], null, 0xd2511f53, v16, 0
	s_delay_alu instid0(VALU_DEP_4) | instskip(NEXT) | instid1(VALU_DEP_4)
	v_mad_u64_u32 v[15:16], null, 0xcd9e8d57, v24, 0
	v_mad_u64_u32 v[24:25], null, 0xcd9e8d57, v26, 0
	s_delay_alu instid0(VALU_DEP_4) | instskip(NEXT) | instid1(VALU_DEP_4)
	v_xor3_b32 v23, v23, v14, v27
	v_xor3_b32 v26, v46, v22, v13
	s_delay_alu instid0(VALU_DEP_4) | instskip(NEXT) | instid1(VALU_DEP_3)
	v_xor3_b32 v18, v18, v16, v41
	v_mad_u64_u32 v[13:14], null, 0xcd9e8d57, v23, 0
	v_xor3_b32 v25, v29, v25, v15
	s_delay_alu instid0(VALU_DEP_4) | instskip(NEXT) | instid1(VALU_DEP_4)
	v_mad_u64_u32 v[22:23], null, 0xcd9e8d57, v26, 0
	v_mad_u64_u32 v[15:16], null, 0xd2511f53, v18, 0
	s_delay_alu instid0(VALU_DEP_3)
	v_mad_u64_u32 v[27:28], null, 0xd2511f53, v25, 0
	v_add_nc_u32_e32 v41, 0xdb3d7428, v20
	v_xor3_b32 v14, v29, v14, v42
	v_xor3_b32 v18, v40, v23, v13
	v_add_nc_u32_e32 v42, 0x96a522ad, v20
	v_xor3_b32 v16, v46, v16, v44
	v_and_b32_e32 v20, 3, v17
	v_xor3_b32 v23, v41, v28, v15
	v_mad_u64_u32 v[25:26], null, 0xd2511f53, v14, 0
	v_mad_u64_u32 v[13:14], null, 0xd2511f53, v18, 0
	;; [unrolled: 1-line block ×3, first 2 shown]
	s_delay_alu instid0(VALU_DEP_4) | instskip(SKIP_1) | instid1(VALU_DEP_4)
	v_mad_u64_u32 v[15:16], null, 0xcd9e8d57, v23, 0
	v_add_nc_u32_e32 v23, 0x8ff34781, v19
                                        ; implicit-def: $vgpr18
	v_xor3_b32 v19, v14, v25, v42
	s_delay_alu instid0(VALU_DEP_2)
	v_xor3_b32 v14, v16, v28, v23
	v_cmpx_lt_i32_e32 1, v20
	s_xor_b32 s0, exec_lo, s0
	s_cbranch_execz .LBB102_19
; %bb.14:                               ;   in Loop: Header=BB102_3 Depth=1
	s_mov_b32 s1, exec_lo
                                        ; implicit-def: $vgpr18
	v_cmpx_lt_i32_e32 2, v20
	s_xor_b32 s1, exec_lo, s1
; %bb.15:                               ;   in Loop: Header=BB102_3 Depth=1
	v_xor3_b32 v16, v40, v29, v24
                                        ; implicit-def: $vgpr19
	s_delay_alu instid0(VALU_DEP_1) | instskip(NEXT) | instid1(VALU_DEP_1)
	v_mul_hi_u32 v16, 0xd2511f53, v16
	v_xor3_b32 v18, v16, v27, v42
; %bb.16:                               ;   in Loop: Header=BB102_3 Depth=1
	s_and_not1_saveexec_b32 s1, s1
; %bb.17:                               ;   in Loop: Header=BB102_3 Depth=1
	v_dual_mov_b32 v18, v15 :: v_dual_mov_b32 v15, v14
	v_dual_mov_b32 v14, v13 :: v_dual_mov_b32 v13, v19
; %bb.18:                               ;   in Loop: Header=BB102_3 Depth=1
	s_or_b32 exec_lo, exec_lo, s1
                                        ; implicit-def: $vgpr21_vgpr22
                                        ; implicit-def: $vgpr20
                                        ; implicit-def: $vgpr19
                                        ; implicit-def: $vgpr41
                                        ; implicit-def: $vgpr25_vgpr26
                                        ; implicit-def: $vgpr22_vgpr23
                                        ; implicit-def: $vgpr23
.LBB102_19:                             ;   in Loop: Header=BB102_3 Depth=1
	s_and_not1_saveexec_b32 s0, s0
	s_cbranch_execz .LBB102_23
; %bb.20:                               ;   in Loop: Header=BB102_3 Depth=1
	v_xor3_b32 v15, v41, v26, v21
	v_cmp_eq_u32_e32 vcc_lo, 1, v20
	v_mov_b32_e32 v18, v13
	s_delay_alu instid0(VALU_DEP_3) | instskip(SKIP_1) | instid1(VALU_DEP_2)
	v_mad_u64_u32 v[16:17], null, 0xcd9e8d57, v15, 0
	v_mov_b32_e32 v15, v19
	v_xor3_b32 v20, v17, v22, v23
	s_delay_alu instid0(VALU_DEP_3)
	v_mov_b32_e32 v17, v16
	s_and_saveexec_b32 s1, vcc_lo
; %bb.21:                               ;   in Loop: Header=BB102_3 Depth=1
	v_dual_mov_b32 v18, v14 :: v_dual_mov_b32 v15, v13
	v_dual_mov_b32 v17, v19 :: v_dual_mov_b32 v20, v16
; %bb.22:                               ;   in Loop: Header=BB102_3 Depth=1
	s_or_b32 exec_lo, exec_lo, s1
	s_delay_alu instid0(VALU_DEP_1)
	v_dual_mov_b32 v13, v20 :: v_dual_mov_b32 v14, v17
.LBB102_23:                             ;   in Loop: Header=BB102_3 Depth=1
	s_or_b32 exec_lo, exec_lo, s0
	v_min_i32_e32 v16, 4, v31
	s_mov_b32 s1, 0
	s_mov_b32 s36, 0
                                        ; implicit-def: $sgpr2
                                        ; implicit-def: $sgpr3
                                        ; implicit-def: $sgpr33
	s_mov_b32 s0, exec_lo
	s_delay_alu instid0(VALU_DEP_1)
	v_cmpx_lt_i32_e32 2, v16
	s_xor_b32 s34, exec_lo, s0
	s_cbranch_execz .LBB102_33
; %bb.24:                               ;   in Loop: Header=BB102_3 Depth=1
	s_mov_b32 s33, -1
	s_mov_b32 s3, exec_lo
                                        ; implicit-def: $sgpr2
                                        ; implicit-def: $sgpr35
	v_cmpx_lt_i32_e32 3, v16
	s_cbranch_execz .LBB102_28
; %bb.25:                               ;   in Loop: Header=BB102_3 Depth=1
	v_cmp_le_f32_e32 vcc_lo, 0, v39
	v_cmp_ge_f32_e64 s0, 1.0, v39
	s_mov_b32 s2, 0
	s_delay_alu instid0(VALU_DEP_1)
	s_and_b32 s35, vcc_lo, s0
	s_mov_b32 s0, 0
	s_and_saveexec_b32 s33, s35
	s_cbranch_execz .LBB102_27
; %bb.26:                               ;   in Loop: Header=BB102_3 Depth=1
	v_cvt_f32_u32_e32 v17, v18
	v_lshlrev_b64 v[11:12], 1, v[11:12]
	s_mov_b32 s0, exec_lo
	s_delay_alu instid0(VALU_DEP_2) | instskip(NEXT) | instid1(VALU_DEP_2)
	v_fmaak_f32 v17, 0x2f800000, v17, 0x2f800000
	v_add_co_u32 v11, vcc_lo, s12, v11
	s_delay_alu instid0(VALU_DEP_3) | instskip(NEXT) | instid1(VALU_DEP_3)
	v_add_co_ci_u32_e32 v12, vcc_lo, s13, v12, vcc_lo
	v_cmp_le_f32_e32 vcc_lo, v17, v39
	v_cndmask_b32_e64 v17, 0, 1.0, vcc_lo
	global_store_d16_hi_b16 v[11:12], v17, off
.LBB102_27:                             ;   in Loop: Header=BB102_3 Depth=1
	s_or_b32 exec_lo, exec_lo, s33
	s_mov_b32 s35, -1
	s_or_not1_b32 s33, s0, exec_lo
.LBB102_28:                             ;   in Loop: Header=BB102_3 Depth=1
	s_or_b32 exec_lo, exec_lo, s3
	s_mov_b32 s0, 0
	s_mov_b32 s36, s2
	s_and_saveexec_b32 s3, s33
	s_cbranch_execz .LBB102_32
; %bb.29:                               ;   in Loop: Header=BB102_3 Depth=1
	v_cmp_le_f32_e32 vcc_lo, 0, v38
	v_cmp_ge_f32_e64 s0, 1.0, v38
	s_delay_alu instid0(VALU_DEP_1) | instskip(SKIP_2) | instid1(SALU_CYCLE_1)
	s_and_b32 s33, vcc_lo, s0
	s_mov_b32 s0, 0
	s_and_saveexec_b32 s36, s33
	s_xor_b32 s33, exec_lo, s36
	s_cbranch_execz .LBB102_31
; %bb.30:                               ;   in Loop: Header=BB102_3 Depth=1
	v_cvt_f32_u32_e32 v11, v15
	v_lshlrev_b64 v[9:10], 1, v[9:10]
	s_mov_b32 s0, exec_lo
	s_delay_alu instid0(VALU_DEP_2) | instskip(NEXT) | instid1(VALU_DEP_2)
	v_fmaak_f32 v11, 0x2f800000, v11, 0x2f800000
	v_add_co_u32 v9, vcc_lo, s12, v9
	s_delay_alu instid0(VALU_DEP_3) | instskip(NEXT) | instid1(VALU_DEP_3)
	v_add_co_ci_u32_e32 v10, vcc_lo, s13, v10, vcc_lo
	v_cmp_le_f32_e32 vcc_lo, v11, v38
	v_cndmask_b32_e64 v11, 0, 1.0, vcc_lo
	global_store_d16_hi_b16 v[9:10], v11, off
.LBB102_31:                             ;   in Loop: Header=BB102_3 Depth=1
	s_or_b32 exec_lo, exec_lo, s33
	s_delay_alu instid0(SALU_CYCLE_1)
	s_and_not1_b32 s36, s2, exec_lo
	s_or_b32 s2, s2, exec_lo
	s_and_not1_b32 s35, s35, exec_lo
	s_and_b32 s0, s0, exec_lo
.LBB102_32:                             ;   in Loop: Header=BB102_3 Depth=1
	s_or_b32 exec_lo, exec_lo, s3
	s_delay_alu instid0(SALU_CYCLE_1)
	s_and_b32 s33, s36, exec_lo
	s_and_b32 s3, s2, exec_lo
	s_and_b32 s2, s35, exec_lo
	s_and_b32 s36, s0, exec_lo
.LBB102_33:                             ;   in Loop: Header=BB102_3 Depth=1
	s_and_not1_saveexec_b32 s0, s34
; %bb.34:                               ;   in Loop: Header=BB102_3 Depth=1
	v_cmp_lt_i32_e32 vcc_lo, 1, v16
	s_and_not1_b32 s34, s36, exec_lo
	s_mov_b32 s1, exec_lo
	s_and_not1_b32 s33, s33, exec_lo
	s_and_not1_b32 s3, s3, exec_lo
	s_and_b32 s35, vcc_lo, exec_lo
	s_and_not1_b32 s2, s2, exec_lo
	s_or_b32 s36, s34, s35
; %bb.35:                               ;   in Loop: Header=BB102_3 Depth=1
	s_or_b32 exec_lo, exec_lo, s0
	s_mov_b32 s34, 0
	s_mov_b32 s0, 0
	;; [unrolled: 1-line block ×3, first 2 shown]
	s_and_saveexec_b32 s37, s36
	s_cbranch_execnz .LBB102_38
; %bb.36:                               ;   in Loop: Header=BB102_3 Depth=1
	s_or_b32 exec_lo, exec_lo, s37
	s_and_saveexec_b32 s36, s1
	s_cbranch_execnz .LBB102_41
.LBB102_37:                             ;   in Loop: Header=BB102_3 Depth=1
	s_or_b32 exec_lo, exec_lo, s36
	s_and_saveexec_b32 s1, s0
	s_cbranch_execnz .LBB102_42
	s_branch .LBB102_45
.LBB102_38:                             ;   in Loop: Header=BB102_3 Depth=1
	v_cmp_le_f32_e32 vcc_lo, 0, v37
	v_cmp_ge_f32_e64 s0, 1.0, v37
	s_delay_alu instid0(VALU_DEP_1) | instskip(SKIP_2) | instid1(SALU_CYCLE_1)
	s_and_b32 s35, vcc_lo, s0
	s_mov_b32 s0, 0
	s_and_saveexec_b32 s36, s35
	s_xor_b32 s35, exec_lo, s36
	s_cbranch_execz .LBB102_40
; %bb.39:                               ;   in Loop: Header=BB102_3 Depth=1
	v_cvt_f32_u32_e32 v9, v14
	v_lshlrev_b64 v[7:8], 1, v[7:8]
	s_mov_b32 s0, exec_lo
	s_delay_alu instid0(VALU_DEP_2) | instskip(NEXT) | instid1(VALU_DEP_2)
	v_fmaak_f32 v9, 0x2f800000, v9, 0x2f800000
	v_add_co_u32 v7, vcc_lo, s12, v7
	s_delay_alu instid0(VALU_DEP_3) | instskip(NEXT) | instid1(VALU_DEP_3)
	v_add_co_ci_u32_e32 v8, vcc_lo, s13, v8, vcc_lo
	v_cmp_le_f32_e32 vcc_lo, v9, v37
	v_cndmask_b32_e64 v9, 0, 1.0, vcc_lo
	global_store_d16_hi_b16 v[7:8], v9, off
.LBB102_40:                             ;   in Loop: Header=BB102_3 Depth=1
	s_or_b32 exec_lo, exec_lo, s35
	s_delay_alu instid0(SALU_CYCLE_1)
	s_and_not1_b32 s35, s33, exec_lo
	s_or_b32 s33, s33, exec_lo
	s_and_not1_b32 s3, s3, exec_lo
	s_and_not1_b32 s2, s2, exec_lo
	s_and_b32 s0, s0, exec_lo
	s_and_not1_b32 s1, s1, exec_lo
	s_or_b32 exec_lo, exec_lo, s37
	s_and_saveexec_b32 s36, s1
	s_cbranch_execz .LBB102_37
.LBB102_41:                             ;   in Loop: Header=BB102_3 Depth=1
	v_cmp_eq_u32_e32 vcc_lo, 1, v16
	s_and_not1_b32 s0, s0, exec_lo
	s_mov_b32 s34, exec_lo
	s_and_not1_b32 s35, s35, exec_lo
	s_and_not1_b32 s33, s33, exec_lo
	s_and_b32 s1, vcc_lo, exec_lo
	s_and_not1_b32 s3, s3, exec_lo
	s_and_not1_b32 s2, s2, exec_lo
	s_or_b32 s0, s0, s1
	s_or_b32 exec_lo, exec_lo, s36
	s_and_saveexec_b32 s1, s0
	s_cbranch_execz .LBB102_45
.LBB102_42:                             ;   in Loop: Header=BB102_3 Depth=1
	v_cmp_le_f32_e32 vcc_lo, 0, v3
	v_cmp_ge_f32_e64 s0, 1.0, v3
	s_delay_alu instid0(VALU_DEP_1)
	s_and_b32 s37, vcc_lo, s0
	s_mov_b32 s0, 0
	s_and_saveexec_b32 s36, s37
	s_cbranch_execz .LBB102_44
; %bb.43:                               ;   in Loop: Header=BB102_3 Depth=1
	v_cvt_f32_u32_e32 v7, v13
	v_lshlrev_b64 v[5:6], 1, v[5:6]
	s_mov_b32 s0, exec_lo
	s_delay_alu instid0(VALU_DEP_2) | instskip(NEXT) | instid1(VALU_DEP_2)
	v_fmaak_f32 v7, 0x2f800000, v7, 0x2f800000
	v_add_co_u32 v5, vcc_lo, s12, v5
	s_delay_alu instid0(VALU_DEP_3) | instskip(NEXT) | instid1(VALU_DEP_3)
	v_add_co_ci_u32_e32 v6, vcc_lo, s13, v6, vcc_lo
	v_cmp_le_f32_e32 vcc_lo, v7, v3
	v_cndmask_b32_e64 v3, 0, 1.0, vcc_lo
	global_store_d16_hi_b16 v[5:6], v3, off
.LBB102_44:                             ;   in Loop: Header=BB102_3 Depth=1
	s_or_b32 exec_lo, exec_lo, s36
	s_delay_alu instid0(SALU_CYCLE_1)
	s_and_not1_b32 s34, s34, exec_lo
	s_and_b32 s0, s0, exec_lo
	s_or_b32 s35, s35, exec_lo
	s_and_not1_b32 s33, s33, exec_lo
	s_and_not1_b32 s3, s3, exec_lo
	;; [unrolled: 1-line block ×3, first 2 shown]
	s_or_b32 s34, s34, s0
.LBB102_45:                             ;   in Loop: Header=BB102_3 Depth=1
	s_or_b32 exec_lo, exec_lo, s1
	s_delay_alu instid0(SALU_CYCLE_1)
	s_and_not1_b32 s1, s31, exec_lo
	s_and_b32 s31, s35, exec_lo
	s_and_not1_b32 s29, s29, exec_lo
	s_and_b32 s33, s33, exec_lo
	s_or_b32 s31, s1, s31
	s_and_not1_b32 s1, s30, exec_lo
	s_and_b32 s3, s3, exec_lo
	s_and_not1_b32 s28, s28, exec_lo
	s_and_b32 s2, s2, exec_lo
	s_mov_b32 s0, -1
	s_or_b32 s29, s29, s33
	s_or_b32 s30, s1, s3
	;; [unrolled: 1-line block ×3, first 2 shown]
	s_and_saveexec_b32 s1, s34
	s_cbranch_execz .LBB102_2
; %bb.46:                               ;   in Loop: Header=BB102_3 Depth=1
	v_add_nc_u32_e32 v0, s21, v0
	v_subrev_nc_u32_e32 v31, s21, v31
	s_add_i32 s25, s25, s23
	s_and_not1_b32 s31, s31, exec_lo
	s_and_not1_b32 s29, s29, exec_lo
	v_cmp_le_u32_e32 vcc_lo, s16, v0
	s_and_not1_b32 s30, s30, exec_lo
	s_and_not1_b32 s28, s28, exec_lo
	s_or_not1_b32 s0, vcc_lo, exec_lo
	s_branch .LBB102_2
.LBB102_47:
	s_or_b32 exec_lo, exec_lo, s22
	s_xor_b32 s3, s26, -1
	s_xor_b32 s4, s27, -1
	;; [unrolled: 1-line block ×3, first 2 shown]
	s_mov_b32 s1, 0
	s_and_saveexec_b32 s2, s0
	s_delay_alu instid0(SALU_CYCLE_1)
	s_xor_b32 s0, exec_lo, s2
	s_cbranch_execz .LBB102_56
; %bb.48:
	s_mov_b32 s2, 0
	s_and_saveexec_b32 s1, s4
	s_delay_alu instid0(SALU_CYCLE_1)
	s_xor_b32 s1, exec_lo, s1
	s_cbranch_execz .LBB102_54
; %bb.49:
	s_and_saveexec_b32 s4, s3
	s_delay_alu instid0(SALU_CYCLE_1)
	s_xor_b32 s3, exec_lo, s4
	s_cbranch_execz .LBB102_52
; %bb.50:
	s_and_saveexec_b32 s4, s20
	s_delay_alu instid0(SALU_CYCLE_1)
	s_xor_b32 s4, exec_lo, s4
	s_cbranch_execnz .LBB102_70
.LBB102_51:
	s_or_b32 exec_lo, exec_lo, s4
	s_delay_alu instid0(SALU_CYCLE_1)
	s_and_b32 s2, s2, exec_lo
.LBB102_52:
	s_and_not1_saveexec_b32 s3, s3
	s_cbranch_execnz .LBB102_66
.LBB102_53:
	s_or_b32 exec_lo, exec_lo, s3
	s_delay_alu instid0(SALU_CYCLE_1)
	s_and_b32 s2, s2, exec_lo
.LBB102_54:
	s_and_not1_saveexec_b32 s1, s1
	s_cbranch_execnz .LBB102_62
.LBB102_55:
	s_or_b32 exec_lo, exec_lo, s1
	s_delay_alu instid0(SALU_CYCLE_1)
	s_and_b32 s1, s2, exec_lo
.LBB102_56:
	s_and_not1_saveexec_b32 s0, s0
	s_cbranch_execnz .LBB102_60
; %bb.57:
	s_or_b32 exec_lo, exec_lo, s0
	s_delay_alu instid0(SALU_CYCLE_1)
	s_and_b32 exec_lo, exec_lo, s1
.LBB102_58:
	; divergent unreachable
.LBB102_59:
	s_nop 0
	s_sendmsg sendmsg(MSG_DEALLOC_VGPRS)
	s_endpgm
.LBB102_60:
	s_cbranch_execnz .LBB102_64
; %bb.61:
	s_or_b32 s1, s1, exec_lo
	s_or_b32 exec_lo, exec_lo, s0
	s_delay_alu instid0(SALU_CYCLE_1)
	s_and_b32 exec_lo, exec_lo, s1
	s_cbranch_execnz .LBB102_58
	s_branch .LBB102_59
.LBB102_62:
	s_cbranch_execnz .LBB102_68
; %bb.63:
	s_or_b32 s2, s2, exec_lo
	s_branch .LBB102_55
.LBB102_64:
	s_trap 2
	s_sendmsg_rtn_b32 s0, sendmsg(MSG_RTN_GET_DOORBELL)
	s_mov_b32 ttmp2, m0
	s_waitcnt lgkmcnt(0)
	s_and_b32 s0, s0, 0x3ff
	s_delay_alu instid0(SALU_CYCLE_1) | instskip(NEXT) | instid1(SALU_CYCLE_1)
	s_bitset1_b32 s0, 10
	s_mov_b32 m0, s0
	s_sendmsg sendmsg(MSG_INTERRUPT)
	s_mov_b32 m0, ttmp2
.LBB102_65:                             ; =>This Inner Loop Header: Depth=1
	s_sethalt 5
	s_branch .LBB102_65
.LBB102_66:
	s_cbranch_execnz .LBB102_72
; %bb.67:
	s_or_b32 s2, s2, exec_lo
	s_branch .LBB102_53
.LBB102_68:
	s_trap 2
	s_sendmsg_rtn_b32 s0, sendmsg(MSG_RTN_GET_DOORBELL)
	s_mov_b32 ttmp2, m0
	s_waitcnt lgkmcnt(0)
	s_and_b32 s0, s0, 0x3ff
	s_delay_alu instid0(SALU_CYCLE_1) | instskip(NEXT) | instid1(SALU_CYCLE_1)
	s_bitset1_b32 s0, 10
	s_mov_b32 m0, s0
	s_sendmsg sendmsg(MSG_INTERRUPT)
	s_mov_b32 m0, ttmp2
.LBB102_69:                             ; =>This Inner Loop Header: Depth=1
	s_sethalt 5
	s_branch .LBB102_69
.LBB102_70:
	s_cbranch_execnz .LBB102_74
; %bb.71:
	s_mov_b32 s2, exec_lo
	s_branch .LBB102_51
.LBB102_72:
	s_trap 2
	s_sendmsg_rtn_b32 s0, sendmsg(MSG_RTN_GET_DOORBELL)
	s_mov_b32 ttmp2, m0
	s_waitcnt lgkmcnt(0)
	s_and_b32 s0, s0, 0x3ff
	s_delay_alu instid0(SALU_CYCLE_1) | instskip(NEXT) | instid1(SALU_CYCLE_1)
	s_bitset1_b32 s0, 10
	s_mov_b32 m0, s0
	s_sendmsg sendmsg(MSG_INTERRUPT)
	s_mov_b32 m0, ttmp2
.LBB102_73:                             ; =>This Inner Loop Header: Depth=1
	s_sethalt 5
	s_branch .LBB102_73
.LBB102_74:
	s_trap 2
	s_sendmsg_rtn_b32 s0, sendmsg(MSG_RTN_GET_DOORBELL)
	s_mov_b32 ttmp2, m0
	s_waitcnt lgkmcnt(0)
	s_and_b32 s0, s0, 0x3ff
	s_delay_alu instid0(SALU_CYCLE_1) | instskip(NEXT) | instid1(SALU_CYCLE_1)
	s_bitset1_b32 s0, 10
	s_mov_b32 m0, s0
	s_sendmsg sendmsg(MSG_INTERRUPT)
	s_mov_b32 m0, ttmp2
.LBB102_75:                             ; =>This Inner Loop Header: Depth=1
	s_sethalt 5
	s_branch .LBB102_75
	.section	.rodata,"a",@progbits
	.p2align	6, 0x0
	.amdhsa_kernel _ZN2at4cuda12_GLOBAL__N_121kernelPointwiseApply2IZNS_6native9templates4cuda28bernoulli_tensor_cuda_kernelIN3c108BFloat16EfEEvRKNS_10TensorBaseESB_NS_15PhiloxCudaStateEEUliRS8_SD_SD_SD_RKfSF_SF_SF_E_S8_SE_jLi2ELi1ELi4ELi512ELi2EEEvNS0_6detail10TensorInfoIT0_T2_EENSI_IT1_SK_EESK_T_
		.amdhsa_group_segment_fixed_size 0
		.amdhsa_private_segment_fixed_size 0
		.amdhsa_kernarg_size 728
		.amdhsa_user_sgpr_count 15
		.amdhsa_user_sgpr_dispatch_ptr 0
		.amdhsa_user_sgpr_queue_ptr 0
		.amdhsa_user_sgpr_kernarg_segment_ptr 1
		.amdhsa_user_sgpr_dispatch_id 0
		.amdhsa_user_sgpr_private_segment_size 0
		.amdhsa_wavefront_size32 1
		.amdhsa_uses_dynamic_stack 0
		.amdhsa_enable_private_segment 0
		.amdhsa_system_sgpr_workgroup_id_x 1
		.amdhsa_system_sgpr_workgroup_id_y 0
		.amdhsa_system_sgpr_workgroup_id_z 0
		.amdhsa_system_sgpr_workgroup_info 0
		.amdhsa_system_vgpr_workitem_id 0
		.amdhsa_next_free_vgpr 48
		.amdhsa_next_free_sgpr 38
		.amdhsa_reserve_vcc 1
		.amdhsa_float_round_mode_32 0
		.amdhsa_float_round_mode_16_64 0
		.amdhsa_float_denorm_mode_32 3
		.amdhsa_float_denorm_mode_16_64 3
		.amdhsa_dx10_clamp 1
		.amdhsa_ieee_mode 1
		.amdhsa_fp16_overflow 0
		.amdhsa_workgroup_processor_mode 1
		.amdhsa_memory_ordered 1
		.amdhsa_forward_progress 0
		.amdhsa_shared_vgpr_count 0
		.amdhsa_exception_fp_ieee_invalid_op 0
		.amdhsa_exception_fp_denorm_src 0
		.amdhsa_exception_fp_ieee_div_zero 0
		.amdhsa_exception_fp_ieee_overflow 0
		.amdhsa_exception_fp_ieee_underflow 0
		.amdhsa_exception_fp_ieee_inexact 0
		.amdhsa_exception_int_div_zero 0
	.end_amdhsa_kernel
	.section	.text._ZN2at4cuda12_GLOBAL__N_121kernelPointwiseApply2IZNS_6native9templates4cuda28bernoulli_tensor_cuda_kernelIN3c108BFloat16EfEEvRKNS_10TensorBaseESB_NS_15PhiloxCudaStateEEUliRS8_SD_SD_SD_RKfSF_SF_SF_E_S8_SE_jLi2ELi1ELi4ELi512ELi2EEEvNS0_6detail10TensorInfoIT0_T2_EENSI_IT1_SK_EESK_T_,"axG",@progbits,_ZN2at4cuda12_GLOBAL__N_121kernelPointwiseApply2IZNS_6native9templates4cuda28bernoulli_tensor_cuda_kernelIN3c108BFloat16EfEEvRKNS_10TensorBaseESB_NS_15PhiloxCudaStateEEUliRS8_SD_SD_SD_RKfSF_SF_SF_E_S8_SE_jLi2ELi1ELi4ELi512ELi2EEEvNS0_6detail10TensorInfoIT0_T2_EENSI_IT1_SK_EESK_T_,comdat
.Lfunc_end102:
	.size	_ZN2at4cuda12_GLOBAL__N_121kernelPointwiseApply2IZNS_6native9templates4cuda28bernoulli_tensor_cuda_kernelIN3c108BFloat16EfEEvRKNS_10TensorBaseESB_NS_15PhiloxCudaStateEEUliRS8_SD_SD_SD_RKfSF_SF_SF_E_S8_SE_jLi2ELi1ELi4ELi512ELi2EEEvNS0_6detail10TensorInfoIT0_T2_EENSI_IT1_SK_EESK_T_, .Lfunc_end102-_ZN2at4cuda12_GLOBAL__N_121kernelPointwiseApply2IZNS_6native9templates4cuda28bernoulli_tensor_cuda_kernelIN3c108BFloat16EfEEvRKNS_10TensorBaseESB_NS_15PhiloxCudaStateEEUliRS8_SD_SD_SD_RKfSF_SF_SF_E_S8_SE_jLi2ELi1ELi4ELi512ELi2EEEvNS0_6detail10TensorInfoIT0_T2_EENSI_IT1_SK_EESK_T_
                                        ; -- End function
	.section	.AMDGPU.csdata,"",@progbits
; Kernel info:
; codeLenInByte = 3804
; NumSgprs: 40
; NumVgprs: 48
; ScratchSize: 0
; MemoryBound: 0
; FloatMode: 240
; IeeeMode: 1
; LDSByteSize: 0 bytes/workgroup (compile time only)
; SGPRBlocks: 4
; VGPRBlocks: 5
; NumSGPRsForWavesPerEU: 40
; NumVGPRsForWavesPerEU: 48
; Occupancy: 16
; WaveLimiterHint : 1
; COMPUTE_PGM_RSRC2:SCRATCH_EN: 0
; COMPUTE_PGM_RSRC2:USER_SGPR: 15
; COMPUTE_PGM_RSRC2:TRAP_HANDLER: 0
; COMPUTE_PGM_RSRC2:TGID_X_EN: 1
; COMPUTE_PGM_RSRC2:TGID_Y_EN: 0
; COMPUTE_PGM_RSRC2:TGID_Z_EN: 0
; COMPUTE_PGM_RSRC2:TIDIG_COMP_CNT: 0
	.section	.text._ZN2at4cuda12_GLOBAL__N_121kernelPointwiseApply2IZNS_6native9templates4cuda28bernoulli_tensor_cuda_kernelIN3c108BFloat16EfEEvRKNS_10TensorBaseESB_NS_15PhiloxCudaStateEEUliRS8_SD_SD_SD_RKfSF_SF_SF_E_S8_SE_jLi2ELi2ELi4ELi512ELi2EEEvNS0_6detail10TensorInfoIT0_T2_EENSI_IT1_SK_EESK_T_,"axG",@progbits,_ZN2at4cuda12_GLOBAL__N_121kernelPointwiseApply2IZNS_6native9templates4cuda28bernoulli_tensor_cuda_kernelIN3c108BFloat16EfEEvRKNS_10TensorBaseESB_NS_15PhiloxCudaStateEEUliRS8_SD_SD_SD_RKfSF_SF_SF_E_S8_SE_jLi2ELi2ELi4ELi512ELi2EEEvNS0_6detail10TensorInfoIT0_T2_EENSI_IT1_SK_EESK_T_,comdat
	.globl	_ZN2at4cuda12_GLOBAL__N_121kernelPointwiseApply2IZNS_6native9templates4cuda28bernoulli_tensor_cuda_kernelIN3c108BFloat16EfEEvRKNS_10TensorBaseESB_NS_15PhiloxCudaStateEEUliRS8_SD_SD_SD_RKfSF_SF_SF_E_S8_SE_jLi2ELi2ELi4ELi512ELi2EEEvNS0_6detail10TensorInfoIT0_T2_EENSI_IT1_SK_EESK_T_ ; -- Begin function _ZN2at4cuda12_GLOBAL__N_121kernelPointwiseApply2IZNS_6native9templates4cuda28bernoulli_tensor_cuda_kernelIN3c108BFloat16EfEEvRKNS_10TensorBaseESB_NS_15PhiloxCudaStateEEUliRS8_SD_SD_SD_RKfSF_SF_SF_E_S8_SE_jLi2ELi2ELi4ELi512ELi2EEEvNS0_6detail10TensorInfoIT0_T2_EENSI_IT1_SK_EESK_T_
	.p2align	8
	.type	_ZN2at4cuda12_GLOBAL__N_121kernelPointwiseApply2IZNS_6native9templates4cuda28bernoulli_tensor_cuda_kernelIN3c108BFloat16EfEEvRKNS_10TensorBaseESB_NS_15PhiloxCudaStateEEUliRS8_SD_SD_SD_RKfSF_SF_SF_E_S8_SE_jLi2ELi2ELi4ELi512ELi2EEEvNS0_6detail10TensorInfoIT0_T2_EENSI_IT1_SK_EESK_T_,@function
_ZN2at4cuda12_GLOBAL__N_121kernelPointwiseApply2IZNS_6native9templates4cuda28bernoulli_tensor_cuda_kernelIN3c108BFloat16EfEEvRKNS_10TensorBaseESB_NS_15PhiloxCudaStateEEUliRS8_SD_SD_SD_RKfSF_SF_SF_E_S8_SE_jLi2ELi2ELi4ELi512ELi2EEEvNS0_6detail10TensorInfoIT0_T2_EENSI_IT1_SK_EESK_T_: ; @_ZN2at4cuda12_GLOBAL__N_121kernelPointwiseApply2IZNS_6native9templates4cuda28bernoulli_tensor_cuda_kernelIN3c108BFloat16EfEEvRKNS_10TensorBaseESB_NS_15PhiloxCudaStateEEUliRS8_SD_SD_SD_RKfSF_SF_SF_E_S8_SE_jLi2ELi2ELi4ELi512ELi2EEEvNS0_6detail10TensorInfoIT0_T2_EENSI_IT1_SK_EESK_T_
; %bb.0:
	s_clause 0x1
	s_load_b32 s2, s[0:1], 0x1e4
	s_load_b32 s16, s[0:1], 0x1b0
	s_add_u32 s4, s0, 0x1d8
	s_addc_u32 s5, s1, 0
	s_waitcnt lgkmcnt(0)
	s_and_b32 s22, s2, 0xffff
	s_mov_b32 s2, exec_lo
	v_mad_u64_u32 v[1:2], null, s15, s22, v[0:1]
	s_delay_alu instid0(VALU_DEP_1) | instskip(NEXT) | instid1(VALU_DEP_1)
	v_lshlrev_b32_e32 v0, 2, v1
	v_cmpx_gt_u32_e64 s16, v0
	s_cbranch_execz .LBB103_67
; %bb.1:
	s_clause 0x6
	s_load_b32 s17, s[0:1], 0xc
	s_load_b32 s18, s[0:1], 0xe4
	s_load_b64 s[2:3], s[0:1], 0x6c
	s_load_b64 s[8:9], s[0:1], 0xd8
	;; [unrolled: 1-line block ×3, first 2 shown]
	s_load_b32 s6, s[0:1], 0x1d0
	s_load_b64 s[12:13], s[0:1], 0x0
	s_load_b32 s23, s[4:5], 0x0
	v_sub_nc_u32_e32 v32, s16, v0
                                        ; implicit-def: $sgpr26
                                        ; implicit-def: $sgpr25
                                        ; implicit-def: $sgpr27
                                        ; implicit-def: $sgpr29
                                        ; implicit-def: $sgpr28
                                        ; implicit-def: $sgpr30
	s_waitcnt lgkmcnt(0)
	v_cvt_f32_u32_e32 v2, s17
	v_cvt_f32_u32_e32 v3, s18
	s_delay_alu instid0(VALU_DEP_2) | instskip(NEXT) | instid1(VALU_DEP_1)
	v_rcp_iflag_f32_e32 v2, v2
	v_rcp_iflag_f32_e32 v3, v3
	s_bitcmp1_b32 s6, 0
	s_clause 0x1
	s_load_b64 s[14:15], s[0:1], 0x1c8
	s_load_b128 s[4:7], s[0:1], 0x1b8
	s_cselect_b32 s19, -1, 0
	s_sub_i32 s20, 0, s17
	s_sub_i32 s21, 0, s18
	s_mul_i32 s23, s23, s22
	s_mov_b32 s22, 0
	s_lshl_b32 s24, s23, 2
	s_waitcnt_depctr 0xfff
	v_dual_mul_f32 v2, 0x4f7ffffe, v2 :: v_dual_mul_f32 v3, 0x4f7ffffe, v3
                                        ; implicit-def: $sgpr23
                                        ; implicit-def: $sgpr1
	s_delay_alu instid0(VALU_DEP_1) | instskip(NEXT) | instid1(VALU_DEP_2)
	v_cvt_u32_f32_e32 v5, v2
	v_cvt_u32_f32_e32 v6, v3
	v_mad_u64_u32 v[2:3], null, 0xcd9e8d57, v1, 0
	s_delay_alu instid0(VALU_DEP_3) | instskip(NEXT) | instid1(VALU_DEP_3)
	v_mul_lo_u32 v4, s20, v5
	v_mul_lo_u32 v7, s21, v6
	s_delay_alu instid0(VALU_DEP_3) | instskip(NEXT) | instid1(VALU_DEP_3)
	v_mov_b32_e32 v29, v3
	v_mul_hi_u32 v8, v5, v4
	s_delay_alu instid0(VALU_DEP_3) | instskip(SKIP_1) | instid1(VALU_DEP_3)
	v_mul_hi_u32 v7, v6, v7
	v_mov_b32_e32 v4, 0
	v_add_nc_u32_e32 v30, v5, v8
	s_delay_alu instid0(VALU_DEP_3)
	v_add_nc_u32_e32 v31, v6, v7
	s_branch .LBB103_3
.LBB103_2:                              ;   in Loop: Header=BB103_3 Depth=1
	s_or_b32 exec_lo, exec_lo, s31
	s_delay_alu instid0(SALU_CYCLE_1) | instskip(NEXT) | instid1(SALU_CYCLE_1)
	s_and_b32 s0, exec_lo, s0
	s_or_b32 s22, s0, s22
	s_and_not1_b32 s0, s1, exec_lo
	s_and_b32 s1, s30, exec_lo
	s_and_not1_b32 s25, s25, exec_lo
	s_and_b32 s31, s28, exec_lo
	s_or_b32 s1, s0, s1
	s_or_b32 s25, s25, s31
	s_and_not1_b32 s0, s26, exec_lo
	s_and_b32 s26, s29, exec_lo
	s_and_not1_b32 s23, s23, exec_lo
	s_and_b32 s31, s27, exec_lo
	s_or_b32 s26, s0, s26
	s_or_b32 s23, s23, s31
	s_and_not1_b32 exec_lo, exec_lo, s22
	s_cbranch_execz .LBB103_55
.LBB103_3:                              ; =>This Inner Loop Header: Depth=1
	v_cmp_lt_i32_e32 vcc_lo, 0, v32
	v_mov_b32_e32 v5, 0
	s_and_saveexec_b32 s31, vcc_lo
	s_cbranch_execz .LBB103_5
; %bb.4:                                ;   in Loop: Header=BB103_3 Depth=1
	v_mul_hi_u32 v3, v30, v0
	s_delay_alu instid0(VALU_DEP_1) | instskip(SKIP_2) | instid1(VALU_DEP_3)
	v_not_b32_e32 v8, v3
	v_mad_u64_u32 v[5:6], null, s20, v3, v[0:1]
	v_add_nc_u32_e32 v9, 1, v3
	v_mad_u64_u32 v[6:7], null, s17, v8, v[0:1]
	s_delay_alu instid0(VALU_DEP_3) | instskip(NEXT) | instid1(VALU_DEP_1)
	v_cmp_le_u32_e64 s0, s17, v5
	v_cndmask_b32_e64 v3, v3, v9, s0
	s_delay_alu instid0(VALU_DEP_3) | instskip(NEXT) | instid1(VALU_DEP_2)
	v_cndmask_b32_e64 v5, v5, v6, s0
	v_add_nc_u32_e32 v6, 1, v3
	s_delay_alu instid0(VALU_DEP_2) | instskip(NEXT) | instid1(VALU_DEP_1)
	v_cmp_le_u32_e64 s0, s17, v5
	v_cndmask_b32_e64 v7, v3, v6, s0
	s_delay_alu instid0(VALU_DEP_1) | instskip(NEXT) | instid1(VALU_DEP_1)
	v_mad_u64_u32 v[5:6], null, s20, v7, v[0:1]
	v_mul_lo_u32 v3, v5, s3
	s_delay_alu instid0(VALU_DEP_1)
	v_mad_u64_u32 v[5:6], null, v7, s2, v[3:4]
.LBB103_5:                              ;   in Loop: Header=BB103_3 Depth=1
	s_or_b32 exec_lo, exec_lo, s31
	v_mov_b32_e32 v3, 0
	s_and_saveexec_b32 s0, vcc_lo
	s_cbranch_execz .LBB103_7
; %bb.6:                                ;   in Loop: Header=BB103_3 Depth=1
	v_mul_hi_u32 v3, v31, v0
	s_delay_alu instid0(VALU_DEP_1) | instskip(SKIP_2) | instid1(VALU_DEP_3)
	v_not_b32_e32 v9, v3
	v_mad_u64_u32 v[6:7], null, s21, v3, v[0:1]
	v_add_nc_u32_e32 v10, 1, v3
	v_mad_u64_u32 v[7:8], null, s18, v9, v[0:1]
	s_delay_alu instid0(VALU_DEP_3) | instskip(NEXT) | instid1(VALU_DEP_2)
	v_cmp_le_u32_e32 vcc_lo, s18, v6
	v_dual_cndmask_b32 v3, v3, v10 :: v_dual_cndmask_b32 v6, v6, v7
	s_delay_alu instid0(VALU_DEP_1) | instskip(NEXT) | instid1(VALU_DEP_2)
	v_add_nc_u32_e32 v7, 1, v3
	v_cmp_le_u32_e32 vcc_lo, s18, v6
	s_delay_alu instid0(VALU_DEP_2) | instskip(NEXT) | instid1(VALU_DEP_1)
	v_cndmask_b32_e32 v8, v3, v7, vcc_lo
	v_mad_u64_u32 v[6:7], null, s21, v8, v[0:1]
	s_delay_alu instid0(VALU_DEP_1) | instskip(NEXT) | instid1(VALU_DEP_1)
	v_mul_lo_u32 v3, v6, s11
	v_mad_u64_u32 v[6:7], null, v8, s10, v[3:4]
	s_delay_alu instid0(VALU_DEP_1)
	v_mov_b32_e32 v3, v6
.LBB103_7:                              ;   in Loop: Header=BB103_3 Depth=1
	s_or_b32 exec_lo, exec_lo, s0
	v_mov_b32_e32 v12, 0
	v_dual_mov_b32 v13, 0 :: v_dual_add_nc_u32 v8, 1, v0
	v_cmp_lt_i32_e32 vcc_lo, 1, v32
	s_delay_alu instid0(VALU_DEP_2)
	v_dual_mov_b32 v6, v12 :: v_dual_mov_b32 v7, v13
	s_and_saveexec_b32 s31, vcc_lo
	s_cbranch_execz .LBB103_9
; %bb.8:                                ;   in Loop: Header=BB103_3 Depth=1
	v_mul_hi_u32 v6, v8, v30
	s_delay_alu instid0(VALU_DEP_1) | instskip(SKIP_1) | instid1(VALU_DEP_2)
	v_mul_lo_u32 v7, v6, s17
	v_add_nc_u32_e32 v9, 1, v6
	v_sub_nc_u32_e32 v7, v8, v7
	s_delay_alu instid0(VALU_DEP_1) | instskip(SKIP_1) | instid1(VALU_DEP_1)
	v_subrev_nc_u32_e32 v10, s17, v7
	v_cmp_le_u32_e64 s0, s17, v7
	v_cndmask_b32_e64 v6, v6, v9, s0
	s_delay_alu instid0(VALU_DEP_3) | instskip(NEXT) | instid1(VALU_DEP_2)
	v_cndmask_b32_e64 v7, v7, v10, s0
	v_add_nc_u32_e32 v9, 1, v6
	s_delay_alu instid0(VALU_DEP_2) | instskip(NEXT) | instid1(VALU_DEP_1)
	v_cmp_le_u32_e64 s0, s17, v7
	v_cndmask_b32_e64 v10, v6, v9, s0
	s_delay_alu instid0(VALU_DEP_1) | instskip(NEXT) | instid1(VALU_DEP_1)
	v_mul_lo_u32 v6, v10, s17
	v_sub_nc_u32_e32 v6, v8, v6
	s_delay_alu instid0(VALU_DEP_1) | instskip(NEXT) | instid1(VALU_DEP_1)
	v_mul_lo_u32 v9, v6, s3
	v_mad_u64_u32 v[6:7], null, v10, s2, v[9:10]
	v_mov_b32_e32 v7, v4
.LBB103_9:                              ;   in Loop: Header=BB103_3 Depth=1
	s_or_b32 exec_lo, exec_lo, s31
	s_and_saveexec_b32 s0, vcc_lo
	s_cbranch_execz .LBB103_11
; %bb.10:                               ;   in Loop: Header=BB103_3 Depth=1
	v_mul_hi_u32 v9, v8, v31
	s_delay_alu instid0(VALU_DEP_1) | instskip(NEXT) | instid1(VALU_DEP_1)
	v_mul_lo_u32 v10, v9, s18
	v_sub_nc_u32_e32 v10, v8, v10
	s_delay_alu instid0(VALU_DEP_1) | instskip(SKIP_1) | instid1(VALU_DEP_2)
	v_subrev_nc_u32_e32 v12, s18, v10
	v_cmp_le_u32_e32 vcc_lo, s18, v10
	v_dual_cndmask_b32 v10, v10, v12 :: v_dual_add_nc_u32 v11, 1, v9
	s_delay_alu instid0(VALU_DEP_1) | instskip(NEXT) | instid1(VALU_DEP_2)
	v_cndmask_b32_e32 v9, v9, v11, vcc_lo
	v_cmp_le_u32_e32 vcc_lo, s18, v10
	s_delay_alu instid0(VALU_DEP_2) | instskip(NEXT) | instid1(VALU_DEP_1)
	v_add_nc_u32_e32 v11, 1, v9
	v_cndmask_b32_e32 v9, v9, v11, vcc_lo
	s_delay_alu instid0(VALU_DEP_1) | instskip(NEXT) | instid1(VALU_DEP_1)
	v_mul_lo_u32 v10, v9, s18
	v_sub_nc_u32_e32 v8, v8, v10
	s_delay_alu instid0(VALU_DEP_1) | instskip(NEXT) | instid1(VALU_DEP_1)
	v_mul_lo_u32 v8, v8, s11
	v_mad_u64_u32 v[12:13], null, v9, s10, v[8:9]
	v_mov_b32_e32 v13, v4
.LBB103_11:                             ;   in Loop: Header=BB103_3 Depth=1
	s_or_b32 exec_lo, exec_lo, s0
	v_mov_b32_e32 v14, 0
	v_dual_mov_b32 v15, 0 :: v_dual_add_nc_u32 v10, 2, v0
	v_cmp_lt_i32_e32 vcc_lo, 2, v32
	s_delay_alu instid0(VALU_DEP_2)
	v_dual_mov_b32 v8, v14 :: v_dual_mov_b32 v9, v15
	s_and_saveexec_b32 s31, vcc_lo
	s_cbranch_execz .LBB103_13
; %bb.12:                               ;   in Loop: Header=BB103_3 Depth=1
	v_mul_hi_u32 v8, v10, v30
	s_delay_alu instid0(VALU_DEP_1) | instskip(SKIP_1) | instid1(VALU_DEP_2)
	v_mul_lo_u32 v9, v8, s17
	v_add_nc_u32_e32 v11, 1, v8
	v_sub_nc_u32_e32 v9, v10, v9
	s_delay_alu instid0(VALU_DEP_1) | instskip(SKIP_1) | instid1(VALU_DEP_1)
	v_subrev_nc_u32_e32 v16, s17, v9
	v_cmp_le_u32_e64 s0, s17, v9
	v_cndmask_b32_e64 v8, v8, v11, s0
	s_delay_alu instid0(VALU_DEP_3) | instskip(NEXT) | instid1(VALU_DEP_2)
	v_cndmask_b32_e64 v9, v9, v16, s0
	v_add_nc_u32_e32 v11, 1, v8
	s_delay_alu instid0(VALU_DEP_2) | instskip(NEXT) | instid1(VALU_DEP_1)
	v_cmp_le_u32_e64 s0, s17, v9
	v_cndmask_b32_e64 v16, v8, v11, s0
	s_delay_alu instid0(VALU_DEP_1) | instskip(NEXT) | instid1(VALU_DEP_1)
	v_mul_lo_u32 v8, v16, s17
	v_sub_nc_u32_e32 v8, v10, v8
	s_delay_alu instid0(VALU_DEP_1) | instskip(NEXT) | instid1(VALU_DEP_1)
	v_mul_lo_u32 v11, v8, s3
	v_mad_u64_u32 v[8:9], null, v16, s2, v[11:12]
	v_mov_b32_e32 v9, v4
.LBB103_13:                             ;   in Loop: Header=BB103_3 Depth=1
	s_or_b32 exec_lo, exec_lo, s31
	s_and_saveexec_b32 s0, vcc_lo
	s_cbranch_execz .LBB103_15
; %bb.14:                               ;   in Loop: Header=BB103_3 Depth=1
	v_mul_hi_u32 v11, v10, v31
	s_delay_alu instid0(VALU_DEP_1) | instskip(NEXT) | instid1(VALU_DEP_1)
	v_mul_lo_u32 v14, v11, s18
	v_sub_nc_u32_e32 v14, v10, v14
	s_delay_alu instid0(VALU_DEP_1) | instskip(SKIP_1) | instid1(VALU_DEP_2)
	v_subrev_nc_u32_e32 v16, s18, v14
	v_cmp_le_u32_e32 vcc_lo, s18, v14
	v_dual_cndmask_b32 v14, v14, v16 :: v_dual_add_nc_u32 v15, 1, v11
	s_delay_alu instid0(VALU_DEP_1) | instskip(NEXT) | instid1(VALU_DEP_2)
	v_cndmask_b32_e32 v11, v11, v15, vcc_lo
	v_cmp_le_u32_e32 vcc_lo, s18, v14
	s_delay_alu instid0(VALU_DEP_2) | instskip(NEXT) | instid1(VALU_DEP_1)
	v_add_nc_u32_e32 v15, 1, v11
	v_cndmask_b32_e32 v11, v11, v15, vcc_lo
	s_delay_alu instid0(VALU_DEP_1) | instskip(NEXT) | instid1(VALU_DEP_1)
	v_mul_lo_u32 v14, v11, s18
	v_sub_nc_u32_e32 v10, v10, v14
	s_delay_alu instid0(VALU_DEP_1) | instskip(NEXT) | instid1(VALU_DEP_1)
	v_mul_lo_u32 v10, v10, s11
	v_mad_u64_u32 v[14:15], null, v11, s10, v[10:11]
	v_mov_b32_e32 v15, v4
.LBB103_15:                             ;   in Loop: Header=BB103_3 Depth=1
	s_or_b32 exec_lo, exec_lo, s0
	v_mov_b32_e32 v16, 0
	v_dual_mov_b32 v17, 0 :: v_dual_add_nc_u32 v18, 3, v0
	v_cmp_lt_i32_e32 vcc_lo, 3, v32
	s_delay_alu instid0(VALU_DEP_2)
	v_dual_mov_b32 v10, v16 :: v_dual_mov_b32 v11, v17
	s_and_saveexec_b32 s31, vcc_lo
	s_cbranch_execz .LBB103_17
; %bb.16:                               ;   in Loop: Header=BB103_3 Depth=1
	v_mul_hi_u32 v10, v18, v30
	s_delay_alu instid0(VALU_DEP_1) | instskip(SKIP_1) | instid1(VALU_DEP_2)
	v_mul_lo_u32 v11, v10, s17
	v_add_nc_u32_e32 v19, 1, v10
	v_sub_nc_u32_e32 v11, v18, v11
	s_delay_alu instid0(VALU_DEP_1) | instskip(SKIP_1) | instid1(VALU_DEP_1)
	v_subrev_nc_u32_e32 v20, s17, v11
	v_cmp_le_u32_e64 s0, s17, v11
	v_cndmask_b32_e64 v10, v10, v19, s0
	s_delay_alu instid0(VALU_DEP_3) | instskip(NEXT) | instid1(VALU_DEP_2)
	v_cndmask_b32_e64 v11, v11, v20, s0
	v_add_nc_u32_e32 v19, 1, v10
	s_delay_alu instid0(VALU_DEP_2) | instskip(NEXT) | instid1(VALU_DEP_1)
	v_cmp_le_u32_e64 s0, s17, v11
	v_cndmask_b32_e64 v20, v10, v19, s0
	s_delay_alu instid0(VALU_DEP_1) | instskip(NEXT) | instid1(VALU_DEP_1)
	v_mul_lo_u32 v10, v20, s17
	v_sub_nc_u32_e32 v10, v18, v10
	s_delay_alu instid0(VALU_DEP_1) | instskip(NEXT) | instid1(VALU_DEP_1)
	v_mul_lo_u32 v19, v10, s3
	v_mad_u64_u32 v[10:11], null, v20, s2, v[19:20]
	v_mov_b32_e32 v11, v4
.LBB103_17:                             ;   in Loop: Header=BB103_3 Depth=1
	s_or_b32 exec_lo, exec_lo, s31
	s_and_saveexec_b32 s0, vcc_lo
	s_cbranch_execz .LBB103_19
; %bb.18:                               ;   in Loop: Header=BB103_3 Depth=1
	v_mul_hi_u32 v16, v18, v31
	s_delay_alu instid0(VALU_DEP_1) | instskip(SKIP_1) | instid1(VALU_DEP_2)
	v_mul_lo_u32 v17, v16, s18
	v_add_nc_u32_e32 v19, 1, v16
	v_sub_nc_u32_e32 v17, v18, v17
	s_delay_alu instid0(VALU_DEP_1) | instskip(SKIP_1) | instid1(VALU_DEP_2)
	v_subrev_nc_u32_e32 v20, s18, v17
	v_cmp_le_u32_e32 vcc_lo, s18, v17
	v_dual_cndmask_b32 v16, v16, v19 :: v_dual_cndmask_b32 v17, v17, v20
	s_delay_alu instid0(VALU_DEP_1) | instskip(NEXT) | instid1(VALU_DEP_2)
	v_add_nc_u32_e32 v19, 1, v16
	v_cmp_le_u32_e32 vcc_lo, s18, v17
	s_delay_alu instid0(VALU_DEP_2) | instskip(NEXT) | instid1(VALU_DEP_1)
	v_cndmask_b32_e32 v19, v16, v19, vcc_lo
	v_mul_lo_u32 v16, v19, s18
	s_delay_alu instid0(VALU_DEP_1) | instskip(NEXT) | instid1(VALU_DEP_1)
	v_sub_nc_u32_e32 v16, v18, v16
	v_mul_lo_u32 v18, v16, s11
	s_delay_alu instid0(VALU_DEP_1)
	v_mad_u64_u32 v[16:17], null, v19, s10, v[18:19]
	v_mov_b32_e32 v17, v4
.LBB103_19:                             ;   in Loop: Header=BB103_3 Depth=1
	s_or_b32 exec_lo, exec_lo, s0
	v_lshlrev_b64 v[18:19], 2, v[3:4]
	v_lshlrev_b64 v[12:13], 2, v[12:13]
	;; [unrolled: 1-line block ×4, first 2 shown]
	s_delay_alu instid0(VALU_DEP_4)
	v_add_co_u32 v18, vcc_lo, s8, v18
	v_add_co_ci_u32_e32 v19, vcc_lo, s9, v19, vcc_lo
	v_add_co_u32 v12, vcc_lo, s8, v12
	v_add_co_ci_u32_e32 v13, vcc_lo, s9, v13, vcc_lo
	;; [unrolled: 2-line block ×4, first 2 shown]
	s_clause 0x3
	global_load_b32 v3, v[18:19], off
	global_load_b32 v33, v[12:13], off
	;; [unrolled: 1-line block ×4, first 2 shown]
	s_waitcnt lgkmcnt(0)
	v_dual_mov_b32 v17, s7 :: v_dual_mov_b32 v16, s6
	v_dual_mov_b32 v19, s5 :: v_dual_mov_b32 v18, s4
	s_and_not1_b32 vcc_lo, exec_lo, s19
	s_cbranch_vccnz .LBB103_21
; %bb.20:                               ;   in Loop: Header=BB103_3 Depth=1
	v_dual_mov_b32 v13, s7 :: v_dual_mov_b32 v12, s6
	v_dual_mov_b32 v15, s5 :: v_dual_mov_b32 v14, s4
	flat_load_b64 v[12:13], v[12:13]
	flat_load_b64 v[18:19], v[14:15]
	s_waitcnt vmcnt(1) lgkmcnt(1)
	v_add_co_u32 v16, vcc_lo, v12, s14
	v_add_co_ci_u32_e32 v17, vcc_lo, s15, v13, vcc_lo
.LBB103_21:                             ;   in Loop: Header=BB103_3 Depth=1
	s_delay_alu instid0(VALU_DEP_1)
	v_alignbit_b32 v15, v17, v16, 2
	v_lshrrev_b32_e32 v14, 2, v17
	s_waitcnt vmcnt(0) lgkmcnt(0)
	v_add_nc_u32_e32 v36, 0x9e3779b9, v18
	v_add_nc_u32_e32 v38, 0x76cf5d0a, v19
	v_add_nc_u32_e32 v39, 0xdaa66d2b, v18
	v_add_co_u32 v17, vcc_lo, v15, 1
	s_delay_alu instid0(VALU_DEP_1) | instskip(SKIP_4) | instid1(VALU_DEP_4)
	v_cndmask_b32_e64 v12, 0, 1, vcc_lo
	v_add_co_ci_u32_e32 v26, vcc_lo, 0, v14, vcc_lo
	v_xor3_b32 v22, v29, v18, v14
	v_add_nc_u32_e32 v40, 0x32370b8f, v19
	v_add_nc_u32_e32 v41, 0xed9eba14, v19
	v_cmp_eq_u32_e32 vcc_lo, 0, v26
	v_add_nc_u32_e32 v42, 0x1715609d, v18
	v_add_nc_u32_e32 v43, 0xa9066899, v19
	s_mov_b32 s0, exec_lo
	v_dual_cndmask_b32 v20, 0, v12 :: v_dual_add_nc_u32 v37, 0xbb67ae85, v19
	v_mad_u64_u32 v[12:13], null, 0xd2511f53, v17, 0
	s_delay_alu instid0(VALU_DEP_2) | instskip(NEXT) | instid1(VALU_DEP_2)
	v_add_nc_u32_e32 v17, v20, v1
	v_xor_b32_e32 v21, v13, v19
	s_delay_alu instid0(VALU_DEP_2) | instskip(SKIP_2) | instid1(VALU_DEP_1)
	v_cmp_eq_u32_e32 vcc_lo, 0, v17
	v_mad_u64_u32 v[13:14], null, 0xd2511f53, v15, 0
	v_cndmask_b32_e32 v20, 0, v20, vcc_lo
	v_xor_b32_e32 v15, v20, v21
	v_mad_u64_u32 v[20:21], null, 0xd2511f53, v22, 0
	v_mad_u64_u32 v[22:23], null, 0xcd9e8d57, v17, 0
	s_delay_alu instid0(VALU_DEP_3) | instskip(SKIP_3) | instid1(VALU_DEP_3)
	v_mad_u64_u32 v[24:25], null, 0xcd9e8d57, v15, 0
	v_xor_b32_e32 v15, v14, v19
	v_add_nc_u32_e32 v17, 0x3c6ef372, v18
	v_xor3_b32 v27, v37, v21, v13
	v_mad_u64_u32 v[13:14], null, 0xcd9e8d57, v15, 0
	v_xor3_b32 v15, v23, v18, v26
	v_xor3_b32 v23, v36, v25, v22
	s_delay_alu instid0(VALU_DEP_4) | instskip(NEXT) | instid1(VALU_DEP_3)
	v_mad_u64_u32 v[21:22], null, 0xcd9e8d57, v27, 0
	v_mad_u64_u32 v[25:26], null, 0xd2511f53, v15, 0
	s_delay_alu instid0(VALU_DEP_3) | instskip(SKIP_1) | instid1(VALU_DEP_4)
	v_mad_u64_u32 v[27:28], null, 0xd2511f53, v23, 0
	v_xor3_b32 v15, v2, v14, v36
	v_xor3_b32 v36, v17, v22, v13
	s_delay_alu instid0(VALU_DEP_4) | instskip(NEXT) | instid1(VALU_DEP_3)
	v_xor3_b32 v12, v37, v26, v12
	v_mad_u64_u32 v[13:14], null, 0xd2511f53, v15, 0
	v_xor3_b32 v15, v38, v28, v25
	s_delay_alu instid0(VALU_DEP_4) | instskip(NEXT) | instid1(VALU_DEP_4)
	v_mad_u64_u32 v[22:23], null, 0xd2511f53, v36, 0
	v_mad_u64_u32 v[25:26], null, 0xcd9e8d57, v12, 0
	s_delay_alu instid0(VALU_DEP_3) | instskip(SKIP_4) | instid1(VALU_DEP_4)
	v_mad_u64_u32 v[36:37], null, 0xcd9e8d57, v15, 0
	v_xor3_b32 v14, v38, v14, v20
	v_add_nc_u32_e32 v28, 0x78dde6e4, v18
	v_xor3_b32 v20, v40, v23, v13
	v_xor3_b32 v17, v17, v26, v24
	v_mad_u64_u32 v[12:13], null, 0xcd9e8d57, v14, 0
	v_xor3_b32 v37, v39, v37, v25
	s_delay_alu instid0(VALU_DEP_4) | instskip(NEXT) | instid1(VALU_DEP_4)
	v_mad_u64_u32 v[14:15], null, 0xcd9e8d57, v20, 0
	v_mad_u64_u32 v[23:24], null, 0xd2511f53, v17, 0
	s_delay_alu instid0(VALU_DEP_3) | instskip(SKIP_1) | instid1(VALU_DEP_4)
	v_mad_u64_u32 v[25:26], null, 0xd2511f53, v37, 0
	v_xor3_b32 v17, v39, v13, v21
	v_xor3_b32 v15, v28, v15, v12
	s_delay_alu instid0(VALU_DEP_2) | instskip(SKIP_2) | instid1(VALU_DEP_4)
	v_mad_u64_u32 v[12:13], null, 0xd2511f53, v17, 0
	v_xor3_b32 v17, v40, v24, v27
	v_xor3_b32 v23, v41, v26, v23
	v_mad_u64_u32 v[26:27], null, 0xd2511f53, v15, 0
	s_delay_alu instid0(VALU_DEP_3) | instskip(NEXT) | instid1(VALU_DEP_3)
	v_mad_u64_u32 v[20:21], null, 0xcd9e8d57, v17, 0
	v_mad_u64_u32 v[37:38], null, 0xcd9e8d57, v23, 0
	v_xor3_b32 v15, v41, v13, v22
	s_delay_alu instid0(VALU_DEP_4) | instskip(SKIP_2) | instid1(VALU_DEP_4)
	v_xor3_b32 v23, v43, v27, v12
	v_add_nc_u32_e32 v17, 0xb54cda56, v18
	v_add_nc_u32_e32 v22, 0x646e171e, v19
	v_mad_u64_u32 v[12:13], null, 0xcd9e8d57, v15, 0
	v_xor3_b32 v15, v28, v21, v36
	v_xor3_b32 v24, v42, v38, v20
	v_mad_u64_u32 v[38:39], null, 0xcd9e8d57, v23, 0
	v_add_nc_u32_e32 v28, 0x5384540f, v18
	s_delay_alu instid0(VALU_DEP_4) | instskip(NEXT) | instid1(VALU_DEP_4)
	v_mad_u64_u32 v[20:21], null, 0xd2511f53, v15, 0
	v_mad_u64_u32 v[40:41], null, 0xd2511f53, v24, 0
	v_xor3_b32 v14, v42, v13, v14
	v_xor3_b32 v15, v17, v39, v12
	v_add_nc_u32_e32 v42, 0x1fd5c5a3, v19
	v_add_co_u32 v36, null, 0xf1bbcdc8, v18
	v_xor3_b32 v23, v43, v21, v25
	v_xor3_b32 v25, v22, v41, v20
	v_mad_u64_u32 v[12:13], null, 0xd2511f53, v14, 0
	v_mad_u64_u32 v[20:21], null, 0xd2511f53, v15, 0
	s_delay_alu instid0(VALU_DEP_4) | instskip(NEXT) | instid1(VALU_DEP_4)
	v_mad_u64_u32 v[14:15], null, 0xcd9e8d57, v23, 0
	v_mad_u64_u32 v[23:24], null, 0xcd9e8d57, v25, 0
	s_delay_alu instid0(VALU_DEP_4) | instskip(NEXT) | instid1(VALU_DEP_4)
	v_xor3_b32 v22, v22, v13, v26
	v_xor3_b32 v25, v42, v21, v12
	s_delay_alu instid0(VALU_DEP_4) | instskip(NEXT) | instid1(VALU_DEP_3)
	v_xor3_b32 v17, v17, v15, v37
	v_mad_u64_u32 v[12:13], null, 0xcd9e8d57, v22, 0
	v_xor3_b32 v24, v28, v24, v14
	s_delay_alu instid0(VALU_DEP_4) | instskip(NEXT) | instid1(VALU_DEP_4)
	v_mad_u64_u32 v[21:22], null, 0xcd9e8d57, v25, 0
	v_mad_u64_u32 v[14:15], null, 0xd2511f53, v17, 0
	s_delay_alu instid0(VALU_DEP_3)
	v_mad_u64_u32 v[26:27], null, 0xd2511f53, v24, 0
	v_add_nc_u32_e32 v37, 0xdb3d7428, v19
	v_xor3_b32 v13, v28, v13, v38
	v_xor3_b32 v17, v36, v22, v12
	v_add_nc_u32_e32 v38, 0x96a522ad, v19
	v_xor3_b32 v15, v42, v15, v40
	v_and_b32_e32 v19, 3, v16
	v_xor3_b32 v22, v37, v27, v14
	v_mad_u64_u32 v[24:25], null, 0xd2511f53, v13, 0
	v_mad_u64_u32 v[12:13], null, 0xd2511f53, v17, 0
	;; [unrolled: 1-line block ×3, first 2 shown]
	s_delay_alu instid0(VALU_DEP_4) | instskip(SKIP_1) | instid1(VALU_DEP_4)
	v_mad_u64_u32 v[14:15], null, 0xcd9e8d57, v22, 0
	v_add_nc_u32_e32 v22, 0x8ff34781, v18
                                        ; implicit-def: $vgpr17
	v_xor3_b32 v18, v13, v24, v38
	s_delay_alu instid0(VALU_DEP_2)
	v_xor3_b32 v13, v15, v27, v22
	v_cmpx_lt_i32_e32 1, v19
	s_xor_b32 s0, exec_lo, s0
	s_cbranch_execz .LBB103_27
; %bb.22:                               ;   in Loop: Header=BB103_3 Depth=1
	s_mov_b32 s31, exec_lo
                                        ; implicit-def: $vgpr17
	v_cmpx_lt_i32_e32 2, v19
	s_xor_b32 s31, exec_lo, s31
; %bb.23:                               ;   in Loop: Header=BB103_3 Depth=1
	v_xor3_b32 v15, v36, v28, v23
                                        ; implicit-def: $vgpr18
	s_delay_alu instid0(VALU_DEP_1) | instskip(NEXT) | instid1(VALU_DEP_1)
	v_mul_hi_u32 v15, 0xd2511f53, v15
	v_xor3_b32 v17, v15, v26, v38
; %bb.24:                               ;   in Loop: Header=BB103_3 Depth=1
	s_and_not1_saveexec_b32 s31, s31
; %bb.25:                               ;   in Loop: Header=BB103_3 Depth=1
	v_dual_mov_b32 v17, v14 :: v_dual_mov_b32 v14, v13
	v_dual_mov_b32 v13, v12 :: v_dual_mov_b32 v12, v18
; %bb.26:                               ;   in Loop: Header=BB103_3 Depth=1
	s_or_b32 exec_lo, exec_lo, s31
                                        ; implicit-def: $vgpr20_vgpr21
                                        ; implicit-def: $vgpr19
                                        ; implicit-def: $vgpr18
                                        ; implicit-def: $vgpr37
                                        ; implicit-def: $vgpr24_vgpr25
                                        ; implicit-def: $vgpr21_vgpr22
                                        ; implicit-def: $vgpr22
.LBB103_27:                             ;   in Loop: Header=BB103_3 Depth=1
	s_and_not1_saveexec_b32 s0, s0
	s_cbranch_execz .LBB103_31
; %bb.28:                               ;   in Loop: Header=BB103_3 Depth=1
	v_xor3_b32 v14, v37, v25, v20
	v_cmp_eq_u32_e32 vcc_lo, 1, v19
	v_mov_b32_e32 v17, v12
	s_delay_alu instid0(VALU_DEP_3) | instskip(SKIP_1) | instid1(VALU_DEP_2)
	v_mad_u64_u32 v[15:16], null, 0xcd9e8d57, v14, 0
	v_mov_b32_e32 v14, v18
	v_xor3_b32 v19, v16, v21, v22
	s_delay_alu instid0(VALU_DEP_3)
	v_mov_b32_e32 v16, v15
	s_and_saveexec_b32 s31, vcc_lo
; %bb.29:                               ;   in Loop: Header=BB103_3 Depth=1
	v_dual_mov_b32 v17, v13 :: v_dual_mov_b32 v14, v12
	v_dual_mov_b32 v16, v18 :: v_dual_mov_b32 v19, v15
; %bb.30:                               ;   in Loop: Header=BB103_3 Depth=1
	s_or_b32 exec_lo, exec_lo, s31
	s_delay_alu instid0(VALU_DEP_1)
	v_dual_mov_b32 v12, v19 :: v_dual_mov_b32 v13, v16
.LBB103_31:                             ;   in Loop: Header=BB103_3 Depth=1
	s_or_b32 exec_lo, exec_lo, s0
	v_min_i32_e32 v15, 4, v32
	s_mov_b32 s31, 0
	s_mov_b32 s38, 0
                                        ; implicit-def: $sgpr33
                                        ; implicit-def: $sgpr34
                                        ; implicit-def: $sgpr35
	s_mov_b32 s0, exec_lo
	s_delay_alu instid0(VALU_DEP_1)
	v_cmpx_lt_i32_e32 2, v15
	s_xor_b32 s36, exec_lo, s0
	s_cbranch_execz .LBB103_41
; %bb.32:                               ;   in Loop: Header=BB103_3 Depth=1
	s_mov_b32 s35, -1
	s_mov_b32 s34, exec_lo
                                        ; implicit-def: $sgpr33
                                        ; implicit-def: $sgpr37
	v_cmpx_lt_i32_e32 3, v15
	s_cbranch_execz .LBB103_36
; %bb.33:                               ;   in Loop: Header=BB103_3 Depth=1
	v_cmp_le_f32_e32 vcc_lo, 0, v35
	v_cmp_ge_f32_e64 s0, 1.0, v35
	s_mov_b32 s33, 0
	s_delay_alu instid0(VALU_DEP_1)
	s_and_b32 s37, vcc_lo, s0
	s_mov_b32 s0, 0
	s_and_saveexec_b32 s35, s37
	s_cbranch_execz .LBB103_35
; %bb.34:                               ;   in Loop: Header=BB103_3 Depth=1
	v_cvt_f32_u32_e32 v16, v17
	v_lshlrev_b64 v[10:11], 1, v[10:11]
	s_mov_b32 s0, exec_lo
	s_delay_alu instid0(VALU_DEP_2) | instskip(NEXT) | instid1(VALU_DEP_2)
	v_fmaak_f32 v16, 0x2f800000, v16, 0x2f800000
	v_add_co_u32 v10, vcc_lo, s12, v10
	s_delay_alu instid0(VALU_DEP_3) | instskip(NEXT) | instid1(VALU_DEP_3)
	v_add_co_ci_u32_e32 v11, vcc_lo, s13, v11, vcc_lo
	v_cmp_le_f32_e32 vcc_lo, v16, v35
	v_cndmask_b32_e64 v16, 0, 1.0, vcc_lo
	global_store_d16_hi_b16 v[10:11], v16, off
.LBB103_35:                             ;   in Loop: Header=BB103_3 Depth=1
	s_or_b32 exec_lo, exec_lo, s35
	s_mov_b32 s37, -1
	s_or_not1_b32 s35, s0, exec_lo
.LBB103_36:                             ;   in Loop: Header=BB103_3 Depth=1
	s_or_b32 exec_lo, exec_lo, s34
	s_mov_b32 s0, 0
	s_mov_b32 s38, s33
	s_and_saveexec_b32 s34, s35
	s_cbranch_execz .LBB103_40
; %bb.37:                               ;   in Loop: Header=BB103_3 Depth=1
	v_cmp_le_f32_e32 vcc_lo, 0, v34
	v_cmp_ge_f32_e64 s0, 1.0, v34
	s_delay_alu instid0(VALU_DEP_1) | instskip(SKIP_2) | instid1(SALU_CYCLE_1)
	s_and_b32 s35, vcc_lo, s0
	s_mov_b32 s0, 0
	s_and_saveexec_b32 s38, s35
	s_xor_b32 s35, exec_lo, s38
	s_cbranch_execz .LBB103_39
; %bb.38:                               ;   in Loop: Header=BB103_3 Depth=1
	v_cvt_f32_u32_e32 v10, v14
	v_lshlrev_b64 v[8:9], 1, v[8:9]
	s_mov_b32 s0, exec_lo
	s_delay_alu instid0(VALU_DEP_2) | instskip(NEXT) | instid1(VALU_DEP_2)
	v_fmaak_f32 v10, 0x2f800000, v10, 0x2f800000
	v_add_co_u32 v8, vcc_lo, s12, v8
	s_delay_alu instid0(VALU_DEP_3) | instskip(NEXT) | instid1(VALU_DEP_3)
	v_add_co_ci_u32_e32 v9, vcc_lo, s13, v9, vcc_lo
	v_cmp_le_f32_e32 vcc_lo, v10, v34
	v_cndmask_b32_e64 v10, 0, 1.0, vcc_lo
	global_store_d16_hi_b16 v[8:9], v10, off
.LBB103_39:                             ;   in Loop: Header=BB103_3 Depth=1
	s_or_b32 exec_lo, exec_lo, s35
	s_delay_alu instid0(SALU_CYCLE_1)
	s_and_not1_b32 s38, s33, exec_lo
	s_or_b32 s33, s33, exec_lo
	s_and_not1_b32 s37, s37, exec_lo
	s_and_b32 s0, s0, exec_lo
.LBB103_40:                             ;   in Loop: Header=BB103_3 Depth=1
	s_or_b32 exec_lo, exec_lo, s34
	s_delay_alu instid0(SALU_CYCLE_1)
	s_and_b32 s35, s38, exec_lo
	s_and_b32 s34, s33, exec_lo
	;; [unrolled: 1-line block ×4, first 2 shown]
.LBB103_41:                             ;   in Loop: Header=BB103_3 Depth=1
	s_and_not1_saveexec_b32 s0, s36
; %bb.42:                               ;   in Loop: Header=BB103_3 Depth=1
	v_cmp_lt_i32_e32 vcc_lo, 1, v15
	s_and_not1_b32 s36, s38, exec_lo
	s_mov_b32 s31, exec_lo
	s_and_not1_b32 s35, s35, exec_lo
	s_and_not1_b32 s34, s34, exec_lo
	s_and_b32 s37, vcc_lo, exec_lo
	s_and_not1_b32 s33, s33, exec_lo
	s_or_b32 s38, s36, s37
; %bb.43:                               ;   in Loop: Header=BB103_3 Depth=1
	s_or_b32 exec_lo, exec_lo, s0
	s_mov_b32 s36, 0
	s_mov_b32 s0, 0
	;; [unrolled: 1-line block ×3, first 2 shown]
	s_and_saveexec_b32 s39, s38
	s_cbranch_execnz .LBB103_46
; %bb.44:                               ;   in Loop: Header=BB103_3 Depth=1
	s_or_b32 exec_lo, exec_lo, s39
	s_and_saveexec_b32 s38, s31
	s_cbranch_execnz .LBB103_49
.LBB103_45:                             ;   in Loop: Header=BB103_3 Depth=1
	s_or_b32 exec_lo, exec_lo, s38
	s_and_saveexec_b32 s31, s0
	s_cbranch_execnz .LBB103_50
	s_branch .LBB103_53
.LBB103_46:                             ;   in Loop: Header=BB103_3 Depth=1
	v_cmp_le_f32_e32 vcc_lo, 0, v33
	v_cmp_ge_f32_e64 s0, 1.0, v33
	s_delay_alu instid0(VALU_DEP_1) | instskip(SKIP_2) | instid1(SALU_CYCLE_1)
	s_and_b32 s37, vcc_lo, s0
	s_mov_b32 s0, 0
	s_and_saveexec_b32 s38, s37
	s_xor_b32 s37, exec_lo, s38
	s_cbranch_execz .LBB103_48
; %bb.47:                               ;   in Loop: Header=BB103_3 Depth=1
	v_cvt_f32_u32_e32 v8, v13
	v_lshlrev_b64 v[6:7], 1, v[6:7]
	s_mov_b32 s0, exec_lo
	s_delay_alu instid0(VALU_DEP_2) | instskip(NEXT) | instid1(VALU_DEP_2)
	v_fmaak_f32 v8, 0x2f800000, v8, 0x2f800000
	v_add_co_u32 v6, vcc_lo, s12, v6
	s_delay_alu instid0(VALU_DEP_3) | instskip(NEXT) | instid1(VALU_DEP_3)
	v_add_co_ci_u32_e32 v7, vcc_lo, s13, v7, vcc_lo
	v_cmp_le_f32_e32 vcc_lo, v8, v33
	v_cndmask_b32_e64 v8, 0, 1.0, vcc_lo
	global_store_d16_hi_b16 v[6:7], v8, off
.LBB103_48:                             ;   in Loop: Header=BB103_3 Depth=1
	s_or_b32 exec_lo, exec_lo, s37
	s_delay_alu instid0(SALU_CYCLE_1)
	s_and_not1_b32 s37, s35, exec_lo
	s_or_b32 s35, s35, exec_lo
	s_and_not1_b32 s34, s34, exec_lo
	s_and_not1_b32 s33, s33, exec_lo
	s_and_b32 s0, s0, exec_lo
	s_and_not1_b32 s31, s31, exec_lo
	s_or_b32 exec_lo, exec_lo, s39
	s_and_saveexec_b32 s38, s31
	s_cbranch_execz .LBB103_45
.LBB103_49:                             ;   in Loop: Header=BB103_3 Depth=1
	v_cmp_eq_u32_e32 vcc_lo, 1, v15
	s_and_not1_b32 s0, s0, exec_lo
	s_mov_b32 s36, exec_lo
	s_and_not1_b32 s37, s37, exec_lo
	s_and_not1_b32 s35, s35, exec_lo
	s_and_b32 s31, vcc_lo, exec_lo
	s_and_not1_b32 s34, s34, exec_lo
	s_and_not1_b32 s33, s33, exec_lo
	s_or_b32 s0, s0, s31
	s_or_b32 exec_lo, exec_lo, s38
	s_and_saveexec_b32 s31, s0
	s_cbranch_execz .LBB103_53
.LBB103_50:                             ;   in Loop: Header=BB103_3 Depth=1
	v_cmp_le_f32_e32 vcc_lo, 0, v3
	v_cmp_ge_f32_e64 s0, 1.0, v3
	s_delay_alu instid0(VALU_DEP_1)
	s_and_b32 s39, vcc_lo, s0
	s_mov_b32 s0, 0
	s_and_saveexec_b32 s38, s39
	s_cbranch_execz .LBB103_52
; %bb.51:                               ;   in Loop: Header=BB103_3 Depth=1
	v_cvt_f32_u32_e32 v7, v12
	v_mov_b32_e32 v6, v4
	s_mov_b32 s0, exec_lo
	s_delay_alu instid0(VALU_DEP_2) | instskip(NEXT) | instid1(VALU_DEP_2)
	v_fmaak_f32 v7, 0x2f800000, v7, 0x2f800000
	v_lshlrev_b64 v[5:6], 1, v[5:6]
	s_delay_alu instid0(VALU_DEP_1) | instskip(NEXT) | instid1(VALU_DEP_2)
	v_add_co_u32 v5, vcc_lo, s12, v5
	v_add_co_ci_u32_e32 v6, vcc_lo, s13, v6, vcc_lo
	s_delay_alu instid0(VALU_DEP_4)
	v_cmp_le_f32_e32 vcc_lo, v7, v3
	v_cndmask_b32_e64 v3, 0, 1.0, vcc_lo
	global_store_d16_hi_b16 v[5:6], v3, off
.LBB103_52:                             ;   in Loop: Header=BB103_3 Depth=1
	s_or_b32 exec_lo, exec_lo, s38
	s_delay_alu instid0(SALU_CYCLE_1)
	s_and_not1_b32 s36, s36, exec_lo
	s_and_b32 s0, s0, exec_lo
	s_or_b32 s37, s37, exec_lo
	s_and_not1_b32 s35, s35, exec_lo
	s_and_not1_b32 s34, s34, exec_lo
	;; [unrolled: 1-line block ×3, first 2 shown]
	s_or_b32 s36, s36, s0
.LBB103_53:                             ;   in Loop: Header=BB103_3 Depth=1
	s_or_b32 exec_lo, exec_lo, s31
	s_delay_alu instid0(SALU_CYCLE_1)
	s_and_not1_b32 s30, s30, exec_lo
	s_and_b32 s31, s37, exec_lo
	s_and_not1_b32 s28, s28, exec_lo
	s_and_b32 s35, s35, exec_lo
	s_or_b32 s30, s30, s31
	s_and_not1_b32 s29, s29, exec_lo
	s_and_b32 s31, s34, exec_lo
	s_and_not1_b32 s27, s27, exec_lo
	s_and_b32 s33, s33, exec_lo
	s_mov_b32 s0, -1
	s_or_b32 s28, s28, s35
	s_or_b32 s29, s29, s31
	s_or_b32 s27, s27, s33
	s_and_saveexec_b32 s31, s36
	s_cbranch_execz .LBB103_2
; %bb.54:                               ;   in Loop: Header=BB103_3 Depth=1
	v_add_nc_u32_e32 v0, s24, v0
	v_subrev_nc_u32_e32 v32, s24, v32
	s_and_not1_b32 s30, s30, exec_lo
	s_and_not1_b32 s28, s28, exec_lo
	;; [unrolled: 1-line block ×3, first 2 shown]
	v_cmp_le_u32_e32 vcc_lo, s16, v0
	s_and_not1_b32 s27, s27, exec_lo
	s_or_not1_b32 s0, vcc_lo, exec_lo
	s_branch .LBB103_2
.LBB103_55:
	s_or_b32 exec_lo, exec_lo, s22
	s_xor_b32 s4, s25, -1
	s_xor_b32 s5, s26, -1
	s_xor_b32 s0, s23, -1
	s_mov_b32 s2, 0
	s_and_saveexec_b32 s3, s0
	s_delay_alu instid0(SALU_CYCLE_1)
	s_xor_b32 s0, exec_lo, s3
	s_cbranch_execz .LBB103_64
; %bb.56:
	s_mov_b32 s3, 0
	s_and_saveexec_b32 s2, s5
	s_delay_alu instid0(SALU_CYCLE_1)
	s_xor_b32 s2, exec_lo, s2
	s_cbranch_execz .LBB103_62
; %bb.57:
	s_and_saveexec_b32 s5, s4
	s_delay_alu instid0(SALU_CYCLE_1)
	s_xor_b32 s4, exec_lo, s5
	s_cbranch_execz .LBB103_60
; %bb.58:
	s_and_saveexec_b32 s5, s1
	s_delay_alu instid0(SALU_CYCLE_1)
	s_xor_b32 s1, exec_lo, s5
	s_cbranch_execnz .LBB103_78
.LBB103_59:
	s_or_b32 exec_lo, exec_lo, s1
	s_delay_alu instid0(SALU_CYCLE_1)
	s_and_b32 s3, s3, exec_lo
.LBB103_60:
	s_and_not1_saveexec_b32 s1, s4
	s_cbranch_execnz .LBB103_74
.LBB103_61:
	s_or_b32 exec_lo, exec_lo, s1
	s_delay_alu instid0(SALU_CYCLE_1)
	s_and_b32 s3, s3, exec_lo
.LBB103_62:
	s_and_not1_saveexec_b32 s1, s2
	s_cbranch_execnz .LBB103_70
.LBB103_63:
	s_or_b32 exec_lo, exec_lo, s1
	s_delay_alu instid0(SALU_CYCLE_1)
	s_and_b32 s2, s3, exec_lo
.LBB103_64:
	s_and_not1_saveexec_b32 s0, s0
	s_cbranch_execnz .LBB103_68
; %bb.65:
	s_or_b32 exec_lo, exec_lo, s0
	s_delay_alu instid0(SALU_CYCLE_1)
	s_and_b32 exec_lo, exec_lo, s2
.LBB103_66:
	; divergent unreachable
.LBB103_67:
	s_nop 0
	s_sendmsg sendmsg(MSG_DEALLOC_VGPRS)
	s_endpgm
.LBB103_68:
	s_cbranch_execnz .LBB103_72
; %bb.69:
	s_or_b32 s2, s2, exec_lo
	s_or_b32 exec_lo, exec_lo, s0
	s_delay_alu instid0(SALU_CYCLE_1)
	s_and_b32 exec_lo, exec_lo, s2
	s_cbranch_execnz .LBB103_66
	s_branch .LBB103_67
.LBB103_70:
	s_cbranch_execnz .LBB103_76
; %bb.71:
	s_or_b32 s3, s3, exec_lo
	s_branch .LBB103_63
.LBB103_72:
	s_trap 2
	s_sendmsg_rtn_b32 s0, sendmsg(MSG_RTN_GET_DOORBELL)
	s_mov_b32 ttmp2, m0
	s_waitcnt lgkmcnt(0)
	s_and_b32 s0, s0, 0x3ff
	s_delay_alu instid0(SALU_CYCLE_1) | instskip(NEXT) | instid1(SALU_CYCLE_1)
	s_bitset1_b32 s0, 10
	s_mov_b32 m0, s0
	s_sendmsg sendmsg(MSG_INTERRUPT)
	s_mov_b32 m0, ttmp2
.LBB103_73:                             ; =>This Inner Loop Header: Depth=1
	s_sethalt 5
	s_branch .LBB103_73
.LBB103_74:
	s_cbranch_execnz .LBB103_80
; %bb.75:
	s_or_b32 s3, s3, exec_lo
	s_branch .LBB103_61
.LBB103_76:
	s_trap 2
	s_sendmsg_rtn_b32 s0, sendmsg(MSG_RTN_GET_DOORBELL)
	s_mov_b32 ttmp2, m0
	s_waitcnt lgkmcnt(0)
	s_and_b32 s0, s0, 0x3ff
	s_delay_alu instid0(SALU_CYCLE_1) | instskip(NEXT) | instid1(SALU_CYCLE_1)
	s_bitset1_b32 s0, 10
	s_mov_b32 m0, s0
	s_sendmsg sendmsg(MSG_INTERRUPT)
	s_mov_b32 m0, ttmp2
.LBB103_77:                             ; =>This Inner Loop Header: Depth=1
	s_sethalt 5
	s_branch .LBB103_77
.LBB103_78:
	s_cbranch_execnz .LBB103_82
; %bb.79:
	s_mov_b32 s3, exec_lo
	s_branch .LBB103_59
.LBB103_80:
	s_trap 2
	s_sendmsg_rtn_b32 s0, sendmsg(MSG_RTN_GET_DOORBELL)
	s_mov_b32 ttmp2, m0
	s_waitcnt lgkmcnt(0)
	s_and_b32 s0, s0, 0x3ff
	s_delay_alu instid0(SALU_CYCLE_1) | instskip(NEXT) | instid1(SALU_CYCLE_1)
	s_bitset1_b32 s0, 10
	s_mov_b32 m0, s0
	s_sendmsg sendmsg(MSG_INTERRUPT)
	s_mov_b32 m0, ttmp2
.LBB103_81:                             ; =>This Inner Loop Header: Depth=1
	s_sethalt 5
	s_branch .LBB103_81
.LBB103_82:
	s_trap 2
	s_sendmsg_rtn_b32 s0, sendmsg(MSG_RTN_GET_DOORBELL)
	s_mov_b32 ttmp2, m0
	s_waitcnt lgkmcnt(0)
	s_and_b32 s0, s0, 0x3ff
	s_delay_alu instid0(SALU_CYCLE_1) | instskip(NEXT) | instid1(SALU_CYCLE_1)
	s_bitset1_b32 s0, 10
	s_mov_b32 m0, s0
	s_sendmsg sendmsg(MSG_INTERRUPT)
	s_mov_b32 m0, ttmp2
.LBB103_83:                             ; =>This Inner Loop Header: Depth=1
	s_sethalt 5
	s_branch .LBB103_83
	.section	.rodata,"a",@progbits
	.p2align	6, 0x0
	.amdhsa_kernel _ZN2at4cuda12_GLOBAL__N_121kernelPointwiseApply2IZNS_6native9templates4cuda28bernoulli_tensor_cuda_kernelIN3c108BFloat16EfEEvRKNS_10TensorBaseESB_NS_15PhiloxCudaStateEEUliRS8_SD_SD_SD_RKfSF_SF_SF_E_S8_SE_jLi2ELi2ELi4ELi512ELi2EEEvNS0_6detail10TensorInfoIT0_T2_EENSI_IT1_SK_EESK_T_
		.amdhsa_group_segment_fixed_size 0
		.amdhsa_private_segment_fixed_size 0
		.amdhsa_kernarg_size 728
		.amdhsa_user_sgpr_count 15
		.amdhsa_user_sgpr_dispatch_ptr 0
		.amdhsa_user_sgpr_queue_ptr 0
		.amdhsa_user_sgpr_kernarg_segment_ptr 1
		.amdhsa_user_sgpr_dispatch_id 0
		.amdhsa_user_sgpr_private_segment_size 0
		.amdhsa_wavefront_size32 1
		.amdhsa_uses_dynamic_stack 0
		.amdhsa_enable_private_segment 0
		.amdhsa_system_sgpr_workgroup_id_x 1
		.amdhsa_system_sgpr_workgroup_id_y 0
		.amdhsa_system_sgpr_workgroup_id_z 0
		.amdhsa_system_sgpr_workgroup_info 0
		.amdhsa_system_vgpr_workitem_id 0
		.amdhsa_next_free_vgpr 44
		.amdhsa_next_free_sgpr 40
		.amdhsa_reserve_vcc 1
		.amdhsa_float_round_mode_32 0
		.amdhsa_float_round_mode_16_64 0
		.amdhsa_float_denorm_mode_32 3
		.amdhsa_float_denorm_mode_16_64 3
		.amdhsa_dx10_clamp 1
		.amdhsa_ieee_mode 1
		.amdhsa_fp16_overflow 0
		.amdhsa_workgroup_processor_mode 1
		.amdhsa_memory_ordered 1
		.amdhsa_forward_progress 0
		.amdhsa_shared_vgpr_count 0
		.amdhsa_exception_fp_ieee_invalid_op 0
		.amdhsa_exception_fp_denorm_src 0
		.amdhsa_exception_fp_ieee_div_zero 0
		.amdhsa_exception_fp_ieee_overflow 0
		.amdhsa_exception_fp_ieee_underflow 0
		.amdhsa_exception_fp_ieee_inexact 0
		.amdhsa_exception_int_div_zero 0
	.end_amdhsa_kernel
	.section	.text._ZN2at4cuda12_GLOBAL__N_121kernelPointwiseApply2IZNS_6native9templates4cuda28bernoulli_tensor_cuda_kernelIN3c108BFloat16EfEEvRKNS_10TensorBaseESB_NS_15PhiloxCudaStateEEUliRS8_SD_SD_SD_RKfSF_SF_SF_E_S8_SE_jLi2ELi2ELi4ELi512ELi2EEEvNS0_6detail10TensorInfoIT0_T2_EENSI_IT1_SK_EESK_T_,"axG",@progbits,_ZN2at4cuda12_GLOBAL__N_121kernelPointwiseApply2IZNS_6native9templates4cuda28bernoulli_tensor_cuda_kernelIN3c108BFloat16EfEEvRKNS_10TensorBaseESB_NS_15PhiloxCudaStateEEUliRS8_SD_SD_SD_RKfSF_SF_SF_E_S8_SE_jLi2ELi2ELi4ELi512ELi2EEEvNS0_6detail10TensorInfoIT0_T2_EENSI_IT1_SK_EESK_T_,comdat
.Lfunc_end103:
	.size	_ZN2at4cuda12_GLOBAL__N_121kernelPointwiseApply2IZNS_6native9templates4cuda28bernoulli_tensor_cuda_kernelIN3c108BFloat16EfEEvRKNS_10TensorBaseESB_NS_15PhiloxCudaStateEEUliRS8_SD_SD_SD_RKfSF_SF_SF_E_S8_SE_jLi2ELi2ELi4ELi512ELi2EEEvNS0_6detail10TensorInfoIT0_T2_EENSI_IT1_SK_EESK_T_, .Lfunc_end103-_ZN2at4cuda12_GLOBAL__N_121kernelPointwiseApply2IZNS_6native9templates4cuda28bernoulli_tensor_cuda_kernelIN3c108BFloat16EfEEvRKNS_10TensorBaseESB_NS_15PhiloxCudaStateEEUliRS8_SD_SD_SD_RKfSF_SF_SF_E_S8_SE_jLi2ELi2ELi4ELi512ELi2EEEvNS0_6detail10TensorInfoIT0_T2_EENSI_IT1_SK_EESK_T_
                                        ; -- End function
	.section	.AMDGPU.csdata,"",@progbits
; Kernel info:
; codeLenInByte = 4236
; NumSgprs: 42
; NumVgprs: 44
; ScratchSize: 0
; MemoryBound: 0
; FloatMode: 240
; IeeeMode: 1
; LDSByteSize: 0 bytes/workgroup (compile time only)
; SGPRBlocks: 5
; VGPRBlocks: 5
; NumSGPRsForWavesPerEU: 42
; NumVGPRsForWavesPerEU: 44
; Occupancy: 16
; WaveLimiterHint : 1
; COMPUTE_PGM_RSRC2:SCRATCH_EN: 0
; COMPUTE_PGM_RSRC2:USER_SGPR: 15
; COMPUTE_PGM_RSRC2:TRAP_HANDLER: 0
; COMPUTE_PGM_RSRC2:TGID_X_EN: 1
; COMPUTE_PGM_RSRC2:TGID_Y_EN: 0
; COMPUTE_PGM_RSRC2:TGID_Z_EN: 0
; COMPUTE_PGM_RSRC2:TIDIG_COMP_CNT: 0
	.section	.text._ZN2at4cuda12_GLOBAL__N_121kernelPointwiseApply2IZNS_6native9templates4cuda28bernoulli_tensor_cuda_kernelIN3c108BFloat16EfEEvRKNS_10TensorBaseESB_NS_15PhiloxCudaStateEEUliRS8_SD_SD_SD_RKfSF_SF_SF_E_S8_SE_jLi2ELin1ELi4ELi512ELi2EEEvNS0_6detail10TensorInfoIT0_T2_EENSI_IT1_SK_EESK_T_,"axG",@progbits,_ZN2at4cuda12_GLOBAL__N_121kernelPointwiseApply2IZNS_6native9templates4cuda28bernoulli_tensor_cuda_kernelIN3c108BFloat16EfEEvRKNS_10TensorBaseESB_NS_15PhiloxCudaStateEEUliRS8_SD_SD_SD_RKfSF_SF_SF_E_S8_SE_jLi2ELin1ELi4ELi512ELi2EEEvNS0_6detail10TensorInfoIT0_T2_EENSI_IT1_SK_EESK_T_,comdat
	.globl	_ZN2at4cuda12_GLOBAL__N_121kernelPointwiseApply2IZNS_6native9templates4cuda28bernoulli_tensor_cuda_kernelIN3c108BFloat16EfEEvRKNS_10TensorBaseESB_NS_15PhiloxCudaStateEEUliRS8_SD_SD_SD_RKfSF_SF_SF_E_S8_SE_jLi2ELin1ELi4ELi512ELi2EEEvNS0_6detail10TensorInfoIT0_T2_EENSI_IT1_SK_EESK_T_ ; -- Begin function _ZN2at4cuda12_GLOBAL__N_121kernelPointwiseApply2IZNS_6native9templates4cuda28bernoulli_tensor_cuda_kernelIN3c108BFloat16EfEEvRKNS_10TensorBaseESB_NS_15PhiloxCudaStateEEUliRS8_SD_SD_SD_RKfSF_SF_SF_E_S8_SE_jLi2ELin1ELi4ELi512ELi2EEEvNS0_6detail10TensorInfoIT0_T2_EENSI_IT1_SK_EESK_T_
	.p2align	8
	.type	_ZN2at4cuda12_GLOBAL__N_121kernelPointwiseApply2IZNS_6native9templates4cuda28bernoulli_tensor_cuda_kernelIN3c108BFloat16EfEEvRKNS_10TensorBaseESB_NS_15PhiloxCudaStateEEUliRS8_SD_SD_SD_RKfSF_SF_SF_E_S8_SE_jLi2ELin1ELi4ELi512ELi2EEEvNS0_6detail10TensorInfoIT0_T2_EENSI_IT1_SK_EESK_T_,@function
_ZN2at4cuda12_GLOBAL__N_121kernelPointwiseApply2IZNS_6native9templates4cuda28bernoulli_tensor_cuda_kernelIN3c108BFloat16EfEEvRKNS_10TensorBaseESB_NS_15PhiloxCudaStateEEUliRS8_SD_SD_SD_RKfSF_SF_SF_E_S8_SE_jLi2ELin1ELi4ELi512ELi2EEEvNS0_6detail10TensorInfoIT0_T2_EENSI_IT1_SK_EESK_T_: ; @_ZN2at4cuda12_GLOBAL__N_121kernelPointwiseApply2IZNS_6native9templates4cuda28bernoulli_tensor_cuda_kernelIN3c108BFloat16EfEEvRKNS_10TensorBaseESB_NS_15PhiloxCudaStateEEUliRS8_SD_SD_SD_RKfSF_SF_SF_E_S8_SE_jLi2ELin1ELi4ELi512ELi2EEEvNS0_6detail10TensorInfoIT0_T2_EENSI_IT1_SK_EESK_T_
; %bb.0:
	s_clause 0x1
	s_load_b32 s2, s[0:1], 0x1e4
	s_load_b32 s18, s[0:1], 0x1b0
	s_add_u32 s4, s0, 0x1d8
	s_addc_u32 s5, s1, 0
	s_waitcnt lgkmcnt(0)
	s_and_b32 s14, s2, 0xffff
	s_mov_b32 s2, exec_lo
	v_mad_u64_u32 v[1:2], null, s15, s14, v[0:1]
	s_delay_alu instid0(VALU_DEP_1) | instskip(NEXT) | instid1(VALU_DEP_1)
	v_lshlrev_b32_e32 v27, 2, v1
	v_cmpx_gt_u32_e64 s18, v27
	s_cbranch_execz .LBB104_81
; %bb.1:
	s_clause 0x4
	s_load_b32 s19, s[0:1], 0xc
	s_load_b32 s16, s[0:1], 0x1a8
	;; [unrolled: 1-line block ×3, first 2 shown]
	s_load_b64 s[2:3], s[0:1], 0x6c
	s_load_b64 s[8:9], s[0:1], 0xd8
	s_add_u32 s17, s0, 0xd8
	s_load_b32 s15, s[4:5], 0x0
	s_load_b32 s20, s[0:1], 0x144
	s_addc_u32 s23, s1, 0
	s_load_b64 s[10:11], s[0:1], 0x0
	v_mad_u64_u32 v[2:3], null, 0xcd9e8d57, v1, 0
                                        ; implicit-def: $sgpr26
                                        ; implicit-def: $sgpr28
                                        ; implicit-def: $sgpr27
                                        ; implicit-def: $sgpr29
                                        ; implicit-def: $sgpr31
                                        ; implicit-def: $sgpr30
                                        ; implicit-def: $sgpr33
	s_delay_alu instid0(VALU_DEP_1)
	v_mov_b32_e32 v28, v3
	s_waitcnt lgkmcnt(0)
	v_cvt_f32_u32_e32 v0, s19
	s_cmp_gt_i32 s16, 1
	s_cselect_b32 s21, -1, 0
	s_bitcmp1_b32 s6, 0
	s_delay_alu instid0(VALU_DEP_1)
	v_rcp_iflag_f32_e32 v0, v0
	s_cselect_b32 s22, -1, 0
	s_sub_i32 s4, 0, s19
	s_mul_i32 s15, s15, s14
	s_add_i32 s25, s16, 1
	s_lshl_b32 s24, s15, 2
	s_waitcnt_depctr 0xfff
	v_mul_f32_e32 v0, 0x4f7ffffe, v0
	s_delay_alu instid0(VALU_DEP_1) | instskip(NEXT) | instid1(VALU_DEP_1)
	v_cvt_u32_f32_e32 v0, v0
	v_mul_lo_u32 v5, s4, v0
	s_clause 0x1
	s_load_b64 s[12:13], s[0:1], 0x1c8
	s_load_b128 s[4:7], s[0:1], 0x1b8
	s_mov_b32 s1, 0
	s_add_i32 s0, s16, -1
	s_delay_alu instid0(SALU_CYCLE_1) | instskip(NEXT) | instid1(SALU_CYCLE_1)
	s_lshl_b64 s[14:15], s[0:1], 2
	s_add_u32 s0, s14, s17
	v_mul_hi_u32 v5, v0, v5
	v_mov_b32_e32 v4, 0
	s_addc_u32 s15, s15, s23
	s_add_u32 s14, s0, 8
	s_addc_u32 s15, s15, 0
                                        ; implicit-def: $sgpr23
	s_delay_alu instid0(VALU_DEP_2)
	v_add_nc_u32_e32 v29, v0, v5
	s_branch .LBB104_3
.LBB104_2:                              ;   in Loop: Header=BB104_3 Depth=1
	s_or_b32 exec_lo, exec_lo, s16
	s_delay_alu instid0(SALU_CYCLE_1) | instskip(NEXT) | instid1(SALU_CYCLE_1)
	s_and_b32 s0, exec_lo, s0
	s_or_b32 s1, s0, s1
	s_and_not1_b32 s0, s23, exec_lo
	s_and_b32 s16, s33, exec_lo
	s_and_not1_b32 s17, s27, exec_lo
	s_and_b32 s27, s30, exec_lo
	s_or_b32 s23, s0, s16
	s_or_b32 s27, s17, s27
	s_and_not1_b32 s0, s28, exec_lo
	s_and_b32 s16, s31, exec_lo
	s_and_not1_b32 s17, s26, exec_lo
	s_and_b32 s26, s29, exec_lo
	s_or_b32 s28, s0, s16
	s_or_b32 s26, s17, s26
	s_and_not1_b32 exec_lo, exec_lo, s1
	s_cbranch_execz .LBB104_69
.LBB104_3:                              ; =>This Loop Header: Depth=1
                                        ;     Child Loop BB104_8 Depth 2
                                        ;     Child Loop BB104_15 Depth 2
	;; [unrolled: 1-line block ×4, first 2 shown]
	v_sub_nc_u32_e32 v30, s18, v27
	v_mov_b32_e32 v5, 0
	s_delay_alu instid0(VALU_DEP_2)
	v_cmp_lt_i32_e32 vcc_lo, 0, v30
	s_and_saveexec_b32 s16, vcc_lo
	s_cbranch_execz .LBB104_5
; %bb.4:                                ;   in Loop: Header=BB104_3 Depth=1
	v_mul_hi_u32 v0, v27, v29
	s_delay_alu instid0(VALU_DEP_1) | instskip(SKIP_1) | instid1(VALU_DEP_2)
	v_mul_lo_u32 v3, v0, s19
	v_add_nc_u32_e32 v5, 1, v0
	v_sub_nc_u32_e32 v3, v27, v3
	s_delay_alu instid0(VALU_DEP_1) | instskip(SKIP_1) | instid1(VALU_DEP_1)
	v_subrev_nc_u32_e32 v6, s19, v3
	v_cmp_le_u32_e64 s0, s19, v3
	v_cndmask_b32_e64 v0, v0, v5, s0
	s_delay_alu instid0(VALU_DEP_3) | instskip(NEXT) | instid1(VALU_DEP_2)
	v_cndmask_b32_e64 v3, v3, v6, s0
	v_add_nc_u32_e32 v5, 1, v0
	s_delay_alu instid0(VALU_DEP_2) | instskip(NEXT) | instid1(VALU_DEP_1)
	v_cmp_le_u32_e64 s0, s19, v3
	v_cndmask_b32_e64 v3, v0, v5, s0
	s_delay_alu instid0(VALU_DEP_1) | instskip(NEXT) | instid1(VALU_DEP_1)
	v_mul_lo_u32 v0, v3, s19
	v_sub_nc_u32_e32 v0, v27, v0
	s_delay_alu instid0(VALU_DEP_1) | instskip(NEXT) | instid1(VALU_DEP_1)
	v_mul_lo_u32 v0, v0, s3
	v_mad_u64_u32 v[5:6], null, v3, s2, v[0:1]
.LBB104_5:                              ;   in Loop: Header=BB104_3 Depth=1
	s_or_b32 exec_lo, exec_lo, s16
	v_mov_b32_e32 v3, 0
	s_and_saveexec_b32 s0, vcc_lo
	s_cbranch_execz .LBB104_10
; %bb.6:                                ;   in Loop: Header=BB104_3 Depth=1
	v_dual_mov_b32 v0, 0 :: v_dual_mov_b32 v3, v27
	s_and_not1_b32 vcc_lo, exec_lo, s21
	s_cbranch_vccnz .LBB104_9
; %bb.7:                                ;   in Loop: Header=BB104_3 Depth=1
	v_dual_mov_b32 v0, 0 :: v_dual_mov_b32 v3, v27
	s_mov_b64 s[16:17], s[14:15]
	s_mov_b32 s34, s25
	s_set_inst_prefetch_distance 0x1
	.p2align	6
.LBB104_8:                              ;   Parent Loop BB104_3 Depth=1
                                        ; =>  This Inner Loop Header: Depth=2
	s_clause 0x1
	s_load_b32 s35, s[16:17], 0x0
	s_load_b32 s36, s[16:17], 0x64
	s_add_i32 s34, s34, -1
	s_waitcnt lgkmcnt(0)
	v_cvt_f32_u32_e32 v6, s35
	s_sub_i32 s37, 0, s35
	s_add_u32 s16, s16, -4
	s_addc_u32 s17, s17, -1
	s_cmp_gt_u32 s34, 2
	v_rcp_iflag_f32_e32 v6, v6
	s_waitcnt_depctr 0xfff
	v_mul_f32_e32 v6, 0x4f7ffffe, v6
	s_delay_alu instid0(VALU_DEP_1) | instskip(NEXT) | instid1(VALU_DEP_1)
	v_cvt_u32_f32_e32 v6, v6
	v_mul_lo_u32 v7, s37, v6
	s_delay_alu instid0(VALU_DEP_1) | instskip(NEXT) | instid1(VALU_DEP_1)
	v_mul_hi_u32 v7, v6, v7
	v_dual_mov_b32 v8, v3 :: v_dual_add_nc_u32 v3, v6, v7
	s_delay_alu instid0(VALU_DEP_1) | instskip(NEXT) | instid1(VALU_DEP_1)
	v_mul_hi_u32 v3, v8, v3
	v_mul_lo_u32 v6, v3, s35
	v_add_nc_u32_e32 v7, 1, v3
	s_delay_alu instid0(VALU_DEP_2) | instskip(NEXT) | instid1(VALU_DEP_1)
	v_sub_nc_u32_e32 v6, v8, v6
	v_subrev_nc_u32_e32 v9, s35, v6
	v_cmp_le_u32_e32 vcc_lo, s35, v6
	s_delay_alu instid0(VALU_DEP_2) | instskip(NEXT) | instid1(VALU_DEP_1)
	v_dual_cndmask_b32 v3, v3, v7 :: v_dual_cndmask_b32 v6, v6, v9
	v_add_nc_u32_e32 v7, 1, v3
	s_delay_alu instid0(VALU_DEP_2) | instskip(NEXT) | instid1(VALU_DEP_2)
	v_cmp_le_u32_e32 vcc_lo, s35, v6
	v_cndmask_b32_e32 v3, v3, v7, vcc_lo
	s_delay_alu instid0(VALU_DEP_1) | instskip(NEXT) | instid1(VALU_DEP_1)
	v_mul_lo_u32 v6, v3, s35
	v_sub_nc_u32_e32 v8, v8, v6
	s_delay_alu instid0(VALU_DEP_1) | instskip(NEXT) | instid1(VALU_DEP_1)
	v_mad_u64_u32 v[6:7], null, s36, v8, v[0:1]
	v_mov_b32_e32 v0, v6
	s_cbranch_scc1 .LBB104_8
.LBB104_9:                              ;   in Loop: Header=BB104_3 Depth=1
	s_set_inst_prefetch_distance 0x2
	s_delay_alu instid0(VALU_DEP_1) | instskip(NEXT) | instid1(VALU_DEP_1)
	v_mad_u64_u32 v[6:7], null, s20, v3, v[0:1]
	v_mov_b32_e32 v3, v6
.LBB104_10:                             ;   in Loop: Header=BB104_3 Depth=1
	s_or_b32 exec_lo, exec_lo, s0
	v_or_b32_e32 v8, 1, v27
	v_cmp_lt_i32_e32 vcc_lo, 1, v30
	v_mov_b32_e32 v10, 0
	v_mov_b32_e32 v6, 0
	s_and_saveexec_b32 s16, vcc_lo
	s_cbranch_execz .LBB104_12
; %bb.11:                               ;   in Loop: Header=BB104_3 Depth=1
	v_mul_hi_u32 v0, v8, v29
	s_delay_alu instid0(VALU_DEP_1) | instskip(SKIP_1) | instid1(VALU_DEP_2)
	v_mul_lo_u32 v6, v0, s19
	v_add_nc_u32_e32 v7, 1, v0
	v_sub_nc_u32_e32 v6, v8, v6
	s_delay_alu instid0(VALU_DEP_1) | instskip(SKIP_1) | instid1(VALU_DEP_1)
	v_subrev_nc_u32_e32 v9, s19, v6
	v_cmp_le_u32_e64 s0, s19, v6
	v_cndmask_b32_e64 v0, v0, v7, s0
	s_delay_alu instid0(VALU_DEP_3) | instskip(NEXT) | instid1(VALU_DEP_2)
	v_cndmask_b32_e64 v6, v6, v9, s0
	v_add_nc_u32_e32 v7, 1, v0
	s_delay_alu instid0(VALU_DEP_2) | instskip(NEXT) | instid1(VALU_DEP_1)
	v_cmp_le_u32_e64 s0, s19, v6
	v_cndmask_b32_e64 v9, v0, v7, s0
	s_delay_alu instid0(VALU_DEP_1) | instskip(NEXT) | instid1(VALU_DEP_1)
	v_mul_lo_u32 v0, v9, s19
	v_sub_nc_u32_e32 v0, v8, v0
	s_delay_alu instid0(VALU_DEP_1) | instskip(NEXT) | instid1(VALU_DEP_1)
	v_mul_lo_u32 v0, v0, s3
	v_mad_u64_u32 v[6:7], null, v9, s2, v[0:1]
.LBB104_12:                             ;   in Loop: Header=BB104_3 Depth=1
	s_or_b32 exec_lo, exec_lo, s16
	s_and_saveexec_b32 s0, vcc_lo
	s_cbranch_execz .LBB104_17
; %bb.13:                               ;   in Loop: Header=BB104_3 Depth=1
	v_mov_b32_e32 v0, 0
	s_and_not1_b32 vcc_lo, exec_lo, s21
	s_cbranch_vccnz .LBB104_16
; %bb.14:                               ;   in Loop: Header=BB104_3 Depth=1
	v_mov_b32_e32 v0, 0
	s_mov_b64 s[16:17], s[14:15]
	s_mov_b32 s34, s25
	s_set_inst_prefetch_distance 0x1
	.p2align	6
.LBB104_15:                             ;   Parent Loop BB104_3 Depth=1
                                        ; =>  This Inner Loop Header: Depth=2
	s_clause 0x1
	s_load_b32 s35, s[16:17], 0x0
	s_load_b32 s36, s[16:17], 0x64
	s_add_i32 s34, s34, -1
	v_mov_b32_e32 v10, v8
	s_waitcnt lgkmcnt(0)
	v_cvt_f32_u32_e32 v7, s35
	s_sub_i32 s37, 0, s35
	s_add_u32 s16, s16, -4
	s_addc_u32 s17, s17, -1
	s_cmp_gt_u32 s34, 2
	v_rcp_iflag_f32_e32 v7, v7
	s_waitcnt_depctr 0xfff
	v_mul_f32_e32 v7, 0x4f7ffffe, v7
	s_delay_alu instid0(VALU_DEP_1) | instskip(NEXT) | instid1(VALU_DEP_1)
	v_cvt_u32_f32_e32 v7, v7
	v_mul_lo_u32 v9, s37, v7
	s_delay_alu instid0(VALU_DEP_1) | instskip(NEXT) | instid1(VALU_DEP_1)
	v_mul_hi_u32 v9, v7, v9
	v_add_nc_u32_e32 v7, v7, v9
	s_delay_alu instid0(VALU_DEP_1) | instskip(NEXT) | instid1(VALU_DEP_1)
	v_mul_hi_u32 v7, v10, v7
	v_mul_lo_u32 v8, v7, s35
	v_add_nc_u32_e32 v9, 1, v7
	s_delay_alu instid0(VALU_DEP_2) | instskip(NEXT) | instid1(VALU_DEP_1)
	v_sub_nc_u32_e32 v8, v10, v8
	v_subrev_nc_u32_e32 v11, s35, v8
	v_cmp_le_u32_e32 vcc_lo, s35, v8
	s_delay_alu instid0(VALU_DEP_2) | instskip(NEXT) | instid1(VALU_DEP_1)
	v_dual_cndmask_b32 v8, v8, v11 :: v_dual_cndmask_b32 v7, v7, v9
	v_cmp_le_u32_e32 vcc_lo, s35, v8
	s_delay_alu instid0(VALU_DEP_2) | instskip(NEXT) | instid1(VALU_DEP_1)
	v_add_nc_u32_e32 v9, 1, v7
	v_cndmask_b32_e32 v8, v7, v9, vcc_lo
	s_delay_alu instid0(VALU_DEP_1) | instskip(NEXT) | instid1(VALU_DEP_1)
	v_mul_lo_u32 v7, v8, s35
	v_sub_nc_u32_e32 v7, v10, v7
	s_delay_alu instid0(VALU_DEP_1) | instskip(NEXT) | instid1(VALU_DEP_1)
	v_mad_u64_u32 v[9:10], null, s36, v7, v[0:1]
	v_mov_b32_e32 v0, v9
	s_cbranch_scc1 .LBB104_15
.LBB104_16:                             ;   in Loop: Header=BB104_3 Depth=1
	s_set_inst_prefetch_distance 0x2
	s_delay_alu instid0(VALU_DEP_1)
	v_mad_u64_u32 v[10:11], null, s20, v8, v[0:1]
.LBB104_17:                             ;   in Loop: Header=BB104_3 Depth=1
	s_or_b32 exec_lo, exec_lo, s0
	v_or_b32_e32 v9, 2, v27
	v_cmp_lt_i32_e32 vcc_lo, 2, v30
	v_mov_b32_e32 v7, 0
	s_and_saveexec_b32 s16, vcc_lo
	s_cbranch_execz .LBB104_19
; %bb.18:                               ;   in Loop: Header=BB104_3 Depth=1
	v_mul_hi_u32 v0, v9, v29
	s_delay_alu instid0(VALU_DEP_1) | instskip(SKIP_1) | instid1(VALU_DEP_2)
	v_mul_lo_u32 v7, v0, s19
	v_add_nc_u32_e32 v8, 1, v0
	v_sub_nc_u32_e32 v7, v9, v7
	s_delay_alu instid0(VALU_DEP_1) | instskip(SKIP_1) | instid1(VALU_DEP_1)
	v_subrev_nc_u32_e32 v11, s19, v7
	v_cmp_le_u32_e64 s0, s19, v7
	v_cndmask_b32_e64 v0, v0, v8, s0
	s_delay_alu instid0(VALU_DEP_3) | instskip(NEXT) | instid1(VALU_DEP_2)
	v_cndmask_b32_e64 v7, v7, v11, s0
	v_add_nc_u32_e32 v8, 1, v0
	s_delay_alu instid0(VALU_DEP_2) | instskip(NEXT) | instid1(VALU_DEP_1)
	v_cmp_le_u32_e64 s0, s19, v7
	v_cndmask_b32_e64 v11, v0, v8, s0
	s_delay_alu instid0(VALU_DEP_1) | instskip(NEXT) | instid1(VALU_DEP_1)
	v_mul_lo_u32 v0, v11, s19
	v_sub_nc_u32_e32 v0, v9, v0
	s_delay_alu instid0(VALU_DEP_1) | instskip(NEXT) | instid1(VALU_DEP_1)
	v_mul_lo_u32 v0, v0, s3
	v_mad_u64_u32 v[7:8], null, v11, s2, v[0:1]
.LBB104_19:                             ;   in Loop: Header=BB104_3 Depth=1
	s_or_b32 exec_lo, exec_lo, s16
	v_mov_b32_e32 v12, 0
	v_mov_b32_e32 v13, 0
	s_and_saveexec_b32 s0, vcc_lo
	s_cbranch_execz .LBB104_24
; %bb.20:                               ;   in Loop: Header=BB104_3 Depth=1
	v_mov_b32_e32 v0, 0
	s_and_not1_b32 vcc_lo, exec_lo, s21
	s_cbranch_vccnz .LBB104_23
; %bb.21:                               ;   in Loop: Header=BB104_3 Depth=1
	v_mov_b32_e32 v0, 0
	s_mov_b64 s[16:17], s[14:15]
	s_mov_b32 s34, s25
	s_set_inst_prefetch_distance 0x1
	.p2align	6
.LBB104_22:                             ;   Parent Loop BB104_3 Depth=1
                                        ; =>  This Inner Loop Header: Depth=2
	s_clause 0x1
	s_load_b32 s35, s[16:17], 0x0
	s_load_b32 s36, s[16:17], 0x64
	v_mov_b32_e32 v12, v9
	s_add_i32 s34, s34, -1
	s_waitcnt lgkmcnt(0)
	v_cvt_f32_u32_e32 v8, s35
	s_sub_i32 s37, 0, s35
	s_add_u32 s16, s16, -4
	s_addc_u32 s17, s17, -1
	s_cmp_gt_u32 s34, 2
	v_rcp_iflag_f32_e32 v8, v8
	s_waitcnt_depctr 0xfff
	v_mul_f32_e32 v8, 0x4f7ffffe, v8
	s_delay_alu instid0(VALU_DEP_1) | instskip(NEXT) | instid1(VALU_DEP_1)
	v_cvt_u32_f32_e32 v8, v8
	v_mul_lo_u32 v11, s37, v8
	s_delay_alu instid0(VALU_DEP_1) | instskip(NEXT) | instid1(VALU_DEP_1)
	v_mul_hi_u32 v11, v8, v11
	v_add_nc_u32_e32 v8, v8, v11
	s_delay_alu instid0(VALU_DEP_1) | instskip(NEXT) | instid1(VALU_DEP_1)
	v_mul_hi_u32 v8, v12, v8
	v_mul_lo_u32 v9, v8, s35
	v_add_nc_u32_e32 v11, 1, v8
	s_delay_alu instid0(VALU_DEP_2) | instskip(NEXT) | instid1(VALU_DEP_1)
	v_sub_nc_u32_e32 v9, v12, v9
	v_subrev_nc_u32_e32 v13, s35, v9
	v_cmp_le_u32_e32 vcc_lo, s35, v9
	s_delay_alu instid0(VALU_DEP_2) | instskip(NEXT) | instid1(VALU_DEP_1)
	v_dual_cndmask_b32 v9, v9, v13 :: v_dual_cndmask_b32 v8, v8, v11
	v_cmp_le_u32_e32 vcc_lo, s35, v9
	s_delay_alu instid0(VALU_DEP_2) | instskip(NEXT) | instid1(VALU_DEP_1)
	v_add_nc_u32_e32 v11, 1, v8
	v_cndmask_b32_e32 v9, v8, v11, vcc_lo
	s_delay_alu instid0(VALU_DEP_1) | instskip(NEXT) | instid1(VALU_DEP_1)
	v_mul_lo_u32 v8, v9, s35
	v_sub_nc_u32_e32 v8, v12, v8
	s_delay_alu instid0(VALU_DEP_1) | instskip(NEXT) | instid1(VALU_DEP_1)
	v_mad_u64_u32 v[11:12], null, s36, v8, v[0:1]
	v_mov_b32_e32 v0, v11
	s_cbranch_scc1 .LBB104_22
.LBB104_23:                             ;   in Loop: Header=BB104_3 Depth=1
	s_set_inst_prefetch_distance 0x2
	s_delay_alu instid0(VALU_DEP_1)
	v_mad_u64_u32 v[12:13], null, s20, v9, v[0:1]
	v_mov_b32_e32 v13, v4
.LBB104_24:                             ;   in Loop: Header=BB104_3 Depth=1
	s_or_b32 exec_lo, exec_lo, s0
	v_mov_b32_e32 v14, 0
	v_mov_b32_e32 v15, 0
	v_or_b32_e32 v11, 3, v27
	v_cmp_lt_i32_e32 vcc_lo, 3, v30
	s_delay_alu instid0(VALU_DEP_3)
	v_dual_mov_b32 v8, v14 :: v_dual_mov_b32 v9, v15
	s_and_saveexec_b32 s16, vcc_lo
	s_cbranch_execz .LBB104_26
; %bb.25:                               ;   in Loop: Header=BB104_3 Depth=1
	v_mul_hi_u32 v0, v11, v29
	s_delay_alu instid0(VALU_DEP_1) | instskip(SKIP_1) | instid1(VALU_DEP_2)
	v_mul_lo_u32 v8, v0, s19
	v_add_nc_u32_e32 v9, 1, v0
	v_sub_nc_u32_e32 v8, v11, v8
	s_delay_alu instid0(VALU_DEP_1) | instskip(SKIP_1) | instid1(VALU_DEP_1)
	v_subrev_nc_u32_e32 v16, s19, v8
	v_cmp_le_u32_e64 s0, s19, v8
	v_cndmask_b32_e64 v0, v0, v9, s0
	s_delay_alu instid0(VALU_DEP_3) | instskip(NEXT) | instid1(VALU_DEP_2)
	v_cndmask_b32_e64 v8, v8, v16, s0
	v_add_nc_u32_e32 v9, 1, v0
	s_delay_alu instid0(VALU_DEP_2) | instskip(NEXT) | instid1(VALU_DEP_1)
	v_cmp_le_u32_e64 s0, s19, v8
	v_cndmask_b32_e64 v16, v0, v9, s0
	s_delay_alu instid0(VALU_DEP_1) | instskip(NEXT) | instid1(VALU_DEP_1)
	v_mul_lo_u32 v0, v16, s19
	v_sub_nc_u32_e32 v0, v11, v0
	s_delay_alu instid0(VALU_DEP_1) | instskip(NEXT) | instid1(VALU_DEP_1)
	v_mul_lo_u32 v0, v0, s3
	v_mad_u64_u32 v[8:9], null, v16, s2, v[0:1]
	v_mov_b32_e32 v9, v4
.LBB104_26:                             ;   in Loop: Header=BB104_3 Depth=1
	s_or_b32 exec_lo, exec_lo, s16
	s_and_saveexec_b32 s0, vcc_lo
	s_cbranch_execz .LBB104_31
; %bb.27:                               ;   in Loop: Header=BB104_3 Depth=1
	v_mov_b32_e32 v0, 0
	s_and_not1_b32 vcc_lo, exec_lo, s21
	s_cbranch_vccnz .LBB104_30
; %bb.28:                               ;   in Loop: Header=BB104_3 Depth=1
	v_mov_b32_e32 v0, 0
	s_mov_b64 s[16:17], s[14:15]
	s_mov_b32 s34, s25
	s_set_inst_prefetch_distance 0x1
	.p2align	6
.LBB104_29:                             ;   Parent Loop BB104_3 Depth=1
                                        ; =>  This Inner Loop Header: Depth=2
	s_clause 0x1
	s_load_b32 s35, s[16:17], 0x0
	s_load_b32 s36, s[16:17], 0x64
	s_add_i32 s34, s34, -1
	s_waitcnt lgkmcnt(0)
	v_cvt_f32_u32_e32 v14, s35
	s_sub_i32 s37, 0, s35
	s_add_u32 s16, s16, -4
	s_addc_u32 s17, s17, -1
	s_cmp_gt_u32 s34, 2
	v_rcp_iflag_f32_e32 v14, v14
	s_waitcnt_depctr 0xfff
	v_mul_f32_e32 v14, 0x4f7ffffe, v14
	s_delay_alu instid0(VALU_DEP_1) | instskip(NEXT) | instid1(VALU_DEP_1)
	v_cvt_u32_f32_e32 v14, v14
	v_mul_lo_u32 v15, s37, v14
	s_delay_alu instid0(VALU_DEP_1) | instskip(NEXT) | instid1(VALU_DEP_1)
	v_mul_hi_u32 v15, v14, v15
	v_dual_mov_b32 v16, v11 :: v_dual_add_nc_u32 v11, v14, v15
	s_delay_alu instid0(VALU_DEP_1) | instskip(NEXT) | instid1(VALU_DEP_1)
	v_mul_hi_u32 v11, v16, v11
	v_mul_lo_u32 v14, v11, s35
	v_add_nc_u32_e32 v15, 1, v11
	s_delay_alu instid0(VALU_DEP_2) | instskip(NEXT) | instid1(VALU_DEP_1)
	v_sub_nc_u32_e32 v14, v16, v14
	v_subrev_nc_u32_e32 v17, s35, v14
	v_cmp_le_u32_e32 vcc_lo, s35, v14
	s_delay_alu instid0(VALU_DEP_2) | instskip(NEXT) | instid1(VALU_DEP_1)
	v_dual_cndmask_b32 v11, v11, v15 :: v_dual_cndmask_b32 v14, v14, v17
	v_add_nc_u32_e32 v15, 1, v11
	s_delay_alu instid0(VALU_DEP_2) | instskip(NEXT) | instid1(VALU_DEP_2)
	v_cmp_le_u32_e32 vcc_lo, s35, v14
	v_cndmask_b32_e32 v11, v11, v15, vcc_lo
	s_delay_alu instid0(VALU_DEP_1) | instskip(NEXT) | instid1(VALU_DEP_1)
	v_mul_lo_u32 v14, v11, s35
	v_sub_nc_u32_e32 v16, v16, v14
	s_delay_alu instid0(VALU_DEP_1) | instskip(NEXT) | instid1(VALU_DEP_1)
	v_mad_u64_u32 v[14:15], null, s36, v16, v[0:1]
	v_mov_b32_e32 v0, v14
	s_cbranch_scc1 .LBB104_29
.LBB104_30:                             ;   in Loop: Header=BB104_3 Depth=1
	s_set_inst_prefetch_distance 0x2
	s_delay_alu instid0(VALU_DEP_1)
	v_mad_u64_u32 v[14:15], null, s20, v11, v[0:1]
	v_mov_b32_e32 v15, v4
.LBB104_31:                             ;   in Loop: Header=BB104_3 Depth=1
	s_or_b32 exec_lo, exec_lo, s0
	v_mov_b32_e32 v11, v4
	v_lshlrev_b64 v[16:17], 2, v[3:4]
	v_lshlrev_b64 v[12:13], 2, v[12:13]
	;; [unrolled: 1-line block ×3, first 2 shown]
	s_delay_alu instid0(VALU_DEP_4) | instskip(NEXT) | instid1(VALU_DEP_4)
	v_lshlrev_b64 v[10:11], 2, v[10:11]
	v_add_co_u32 v16, vcc_lo, s8, v16
	v_add_co_ci_u32_e32 v17, vcc_lo, s9, v17, vcc_lo
	s_delay_alu instid0(VALU_DEP_3) | instskip(NEXT) | instid1(VALU_DEP_4)
	v_add_co_u32 v10, vcc_lo, s8, v10
	v_add_co_ci_u32_e32 v11, vcc_lo, s9, v11, vcc_lo
	v_add_co_u32 v12, vcc_lo, s8, v12
	v_add_co_ci_u32_e32 v13, vcc_lo, s9, v13, vcc_lo
	;; [unrolled: 2-line block ×3, first 2 shown]
	s_clause 0x3
	global_load_b32 v0, v[16:17], off
	global_load_b32 v3, v[10:11], off
	;; [unrolled: 1-line block ×4, first 2 shown]
	s_waitcnt lgkmcnt(0)
	v_mov_b32_e32 v15, s7
	v_dual_mov_b32 v17, s5 :: v_dual_mov_b32 v16, s4
	v_mov_b32_e32 v14, s6
	s_and_not1_b32 vcc_lo, exec_lo, s22
	s_cbranch_vccnz .LBB104_33
; %bb.32:                               ;   in Loop: Header=BB104_3 Depth=1
	v_dual_mov_b32 v11, s7 :: v_dual_mov_b32 v10, s6
	v_dual_mov_b32 v13, s5 :: v_dual_mov_b32 v12, s4
	flat_load_b64 v[10:11], v[10:11]
	flat_load_b64 v[16:17], v[12:13]
	s_waitcnt vmcnt(1) lgkmcnt(1)
	v_add_co_u32 v14, vcc_lo, v10, s12
	v_add_co_ci_u32_e32 v15, vcc_lo, s13, v11, vcc_lo
.LBB104_33:                             ;   in Loop: Header=BB104_3 Depth=1
	s_delay_alu instid0(VALU_DEP_1)
	v_alignbit_b32 v13, v15, v14, 2
	v_lshrrev_b32_e32 v12, 2, v15
	s_waitcnt vmcnt(0) lgkmcnt(0)
	v_add_nc_u32_e32 v34, 0xbb67ae85, v17
	v_add_nc_u32_e32 v35, 0x76cf5d0a, v17
	;; [unrolled: 1-line block ×3, first 2 shown]
	v_add_co_u32 v15, vcc_lo, v13, 1
	s_delay_alu instid0(VALU_DEP_1) | instskip(SKIP_4) | instid1(VALU_DEP_4)
	v_cndmask_b32_e64 v10, 0, 1, vcc_lo
	v_add_co_ci_u32_e32 v24, vcc_lo, 0, v12, vcc_lo
	v_xor3_b32 v20, v28, v16, v12
	v_add_nc_u32_e32 v37, 0x32370b8f, v17
	v_add_nc_u32_e32 v38, 0xed9eba14, v17
	v_cmp_eq_u32_e32 vcc_lo, 0, v24
	v_add_nc_u32_e32 v39, 0x1715609d, v16
	v_add_nc_u32_e32 v40, 0xa9066899, v17
	s_mov_b32 s0, exec_lo
	v_dual_cndmask_b32 v18, 0, v10 :: v_dual_add_nc_u32 v33, 0x9e3779b9, v16
	v_mad_u64_u32 v[10:11], null, 0xd2511f53, v15, 0
	s_delay_alu instid0(VALU_DEP_2) | instskip(NEXT) | instid1(VALU_DEP_2)
	v_add_nc_u32_e32 v15, v18, v1
	v_xor_b32_e32 v19, v11, v17
	s_delay_alu instid0(VALU_DEP_2) | instskip(SKIP_2) | instid1(VALU_DEP_1)
	v_cmp_eq_u32_e32 vcc_lo, 0, v15
	v_mad_u64_u32 v[11:12], null, 0xd2511f53, v13, 0
	v_cndmask_b32_e32 v18, 0, v18, vcc_lo
	v_xor_b32_e32 v13, v18, v19
	v_mad_u64_u32 v[18:19], null, 0xd2511f53, v20, 0
	v_mad_u64_u32 v[20:21], null, 0xcd9e8d57, v15, 0
	s_delay_alu instid0(VALU_DEP_3) | instskip(SKIP_3) | instid1(VALU_DEP_3)
	v_mad_u64_u32 v[22:23], null, 0xcd9e8d57, v13, 0
	v_xor_b32_e32 v13, v12, v17
	v_add_nc_u32_e32 v15, 0x3c6ef372, v16
	v_xor3_b32 v25, v34, v19, v11
	v_mad_u64_u32 v[11:12], null, 0xcd9e8d57, v13, 0
	v_xor3_b32 v13, v21, v16, v24
	v_xor3_b32 v21, v33, v23, v20
	s_delay_alu instid0(VALU_DEP_4) | instskip(NEXT) | instid1(VALU_DEP_3)
	v_mad_u64_u32 v[19:20], null, 0xcd9e8d57, v25, 0
	v_mad_u64_u32 v[23:24], null, 0xd2511f53, v13, 0
	s_delay_alu instid0(VALU_DEP_3) | instskip(SKIP_1) | instid1(VALU_DEP_4)
	v_mad_u64_u32 v[25:26], null, 0xd2511f53, v21, 0
	v_xor3_b32 v13, v2, v12, v33
	v_xor3_b32 v33, v15, v20, v11
	s_delay_alu instid0(VALU_DEP_4) | instskip(NEXT) | instid1(VALU_DEP_3)
	v_xor3_b32 v10, v34, v24, v10
	v_mad_u64_u32 v[11:12], null, 0xd2511f53, v13, 0
	v_xor3_b32 v13, v35, v26, v23
	s_delay_alu instid0(VALU_DEP_4) | instskip(NEXT) | instid1(VALU_DEP_4)
	v_mad_u64_u32 v[20:21], null, 0xd2511f53, v33, 0
	v_mad_u64_u32 v[23:24], null, 0xcd9e8d57, v10, 0
	s_delay_alu instid0(VALU_DEP_3) | instskip(SKIP_4) | instid1(VALU_DEP_4)
	v_mad_u64_u32 v[33:34], null, 0xcd9e8d57, v13, 0
	v_xor3_b32 v12, v35, v12, v18
	v_add_nc_u32_e32 v26, 0x78dde6e4, v16
	v_xor3_b32 v18, v37, v21, v11
	v_xor3_b32 v15, v15, v24, v22
	v_mad_u64_u32 v[10:11], null, 0xcd9e8d57, v12, 0
	v_xor3_b32 v34, v36, v34, v23
	s_delay_alu instid0(VALU_DEP_4) | instskip(NEXT) | instid1(VALU_DEP_4)
	v_mad_u64_u32 v[12:13], null, 0xcd9e8d57, v18, 0
	v_mad_u64_u32 v[21:22], null, 0xd2511f53, v15, 0
	s_delay_alu instid0(VALU_DEP_3) | instskip(SKIP_1) | instid1(VALU_DEP_4)
	v_mad_u64_u32 v[23:24], null, 0xd2511f53, v34, 0
	v_xor3_b32 v15, v36, v11, v19
	v_xor3_b32 v13, v26, v13, v10
	s_delay_alu instid0(VALU_DEP_2) | instskip(SKIP_2) | instid1(VALU_DEP_4)
	v_mad_u64_u32 v[10:11], null, 0xd2511f53, v15, 0
	v_xor3_b32 v15, v37, v22, v25
	v_xor3_b32 v21, v38, v24, v21
	v_mad_u64_u32 v[24:25], null, 0xd2511f53, v13, 0
	s_delay_alu instid0(VALU_DEP_3) | instskip(NEXT) | instid1(VALU_DEP_3)
	v_mad_u64_u32 v[18:19], null, 0xcd9e8d57, v15, 0
	v_mad_u64_u32 v[34:35], null, 0xcd9e8d57, v21, 0
	v_xor3_b32 v13, v38, v11, v20
	s_delay_alu instid0(VALU_DEP_4) | instskip(SKIP_2) | instid1(VALU_DEP_4)
	v_xor3_b32 v21, v40, v25, v10
	v_add_nc_u32_e32 v15, 0xb54cda56, v16
	v_add_nc_u32_e32 v20, 0x646e171e, v17
	v_mad_u64_u32 v[10:11], null, 0xcd9e8d57, v13, 0
	v_xor3_b32 v13, v26, v19, v33
	v_xor3_b32 v22, v39, v35, v18
	v_mad_u64_u32 v[35:36], null, 0xcd9e8d57, v21, 0
	v_add_nc_u32_e32 v26, 0x5384540f, v16
	s_delay_alu instid0(VALU_DEP_4) | instskip(NEXT) | instid1(VALU_DEP_4)
	v_mad_u64_u32 v[18:19], null, 0xd2511f53, v13, 0
	v_mad_u64_u32 v[37:38], null, 0xd2511f53, v22, 0
	v_xor3_b32 v12, v39, v11, v12
	v_xor3_b32 v13, v15, v36, v10
	v_add_nc_u32_e32 v39, 0x1fd5c5a3, v17
	v_add_co_u32 v33, null, 0xf1bbcdc8, v16
	v_xor3_b32 v21, v40, v19, v23
	v_xor3_b32 v23, v20, v38, v18
	v_mad_u64_u32 v[10:11], null, 0xd2511f53, v12, 0
	v_mad_u64_u32 v[18:19], null, 0xd2511f53, v13, 0
	s_delay_alu instid0(VALU_DEP_4) | instskip(NEXT) | instid1(VALU_DEP_4)
	v_mad_u64_u32 v[12:13], null, 0xcd9e8d57, v21, 0
	v_mad_u64_u32 v[21:22], null, 0xcd9e8d57, v23, 0
	s_delay_alu instid0(VALU_DEP_4) | instskip(NEXT) | instid1(VALU_DEP_4)
	v_xor3_b32 v20, v20, v11, v24
	v_xor3_b32 v23, v39, v19, v10
	s_delay_alu instid0(VALU_DEP_4) | instskip(NEXT) | instid1(VALU_DEP_3)
	v_xor3_b32 v15, v15, v13, v34
	v_mad_u64_u32 v[10:11], null, 0xcd9e8d57, v20, 0
	v_xor3_b32 v22, v26, v22, v12
	s_delay_alu instid0(VALU_DEP_4) | instskip(NEXT) | instid1(VALU_DEP_4)
	v_mad_u64_u32 v[19:20], null, 0xcd9e8d57, v23, 0
	v_mad_u64_u32 v[12:13], null, 0xd2511f53, v15, 0
	s_delay_alu instid0(VALU_DEP_3)
	v_mad_u64_u32 v[24:25], null, 0xd2511f53, v22, 0
	v_add_nc_u32_e32 v34, 0xdb3d7428, v17
	v_xor3_b32 v11, v26, v11, v35
	v_xor3_b32 v15, v33, v20, v10
	v_add_nc_u32_e32 v35, 0x96a522ad, v17
	v_xor3_b32 v13, v39, v13, v37
	v_and_b32_e32 v17, 3, v14
	v_xor3_b32 v20, v34, v25, v12
	v_mad_u64_u32 v[22:23], null, 0xd2511f53, v11, 0
	v_mad_u64_u32 v[10:11], null, 0xd2511f53, v15, 0
	;; [unrolled: 1-line block ×3, first 2 shown]
	s_delay_alu instid0(VALU_DEP_4) | instskip(SKIP_1) | instid1(VALU_DEP_4)
	v_mad_u64_u32 v[12:13], null, 0xcd9e8d57, v20, 0
	v_add_nc_u32_e32 v20, 0x8ff34781, v16
                                        ; implicit-def: $vgpr15
	v_xor3_b32 v16, v11, v22, v35
	s_delay_alu instid0(VALU_DEP_2)
	v_xor3_b32 v11, v13, v25, v20
	v_cmpx_lt_i32_e32 1, v17
	s_xor_b32 s0, exec_lo, s0
	s_cbranch_execz .LBB104_39
; %bb.34:                               ;   in Loop: Header=BB104_3 Depth=1
	s_mov_b32 s16, exec_lo
                                        ; implicit-def: $vgpr15
	v_cmpx_lt_i32_e32 2, v17
	s_xor_b32 s16, exec_lo, s16
; %bb.35:                               ;   in Loop: Header=BB104_3 Depth=1
	v_xor3_b32 v13, v33, v26, v21
                                        ; implicit-def: $vgpr16
	s_delay_alu instid0(VALU_DEP_1) | instskip(NEXT) | instid1(VALU_DEP_1)
	v_mul_hi_u32 v13, 0xd2511f53, v13
	v_xor3_b32 v15, v13, v24, v35
; %bb.36:                               ;   in Loop: Header=BB104_3 Depth=1
	s_and_not1_saveexec_b32 s16, s16
; %bb.37:                               ;   in Loop: Header=BB104_3 Depth=1
	v_dual_mov_b32 v15, v12 :: v_dual_mov_b32 v12, v11
	v_dual_mov_b32 v11, v10 :: v_dual_mov_b32 v10, v16
; %bb.38:                               ;   in Loop: Header=BB104_3 Depth=1
	s_or_b32 exec_lo, exec_lo, s16
                                        ; implicit-def: $vgpr18_vgpr19
                                        ; implicit-def: $vgpr17
                                        ; implicit-def: $vgpr16
                                        ; implicit-def: $vgpr34
                                        ; implicit-def: $vgpr22_vgpr23
                                        ; implicit-def: $vgpr19_vgpr20
                                        ; implicit-def: $vgpr20
.LBB104_39:                             ;   in Loop: Header=BB104_3 Depth=1
	s_and_not1_saveexec_b32 s0, s0
	s_cbranch_execz .LBB104_43
; %bb.40:                               ;   in Loop: Header=BB104_3 Depth=1
	v_xor3_b32 v12, v34, v23, v18
	v_cmp_eq_u32_e32 vcc_lo, 1, v17
	v_mov_b32_e32 v15, v10
	s_delay_alu instid0(VALU_DEP_3) | instskip(SKIP_1) | instid1(VALU_DEP_2)
	v_mad_u64_u32 v[13:14], null, 0xcd9e8d57, v12, 0
	v_mov_b32_e32 v12, v16
	v_xor3_b32 v17, v14, v19, v20
	s_delay_alu instid0(VALU_DEP_3)
	v_mov_b32_e32 v14, v13
	s_and_saveexec_b32 s16, vcc_lo
; %bb.41:                               ;   in Loop: Header=BB104_3 Depth=1
	v_dual_mov_b32 v15, v11 :: v_dual_mov_b32 v12, v10
	v_dual_mov_b32 v14, v16 :: v_dual_mov_b32 v17, v13
; %bb.42:                               ;   in Loop: Header=BB104_3 Depth=1
	s_or_b32 exec_lo, exec_lo, s16
	s_delay_alu instid0(VALU_DEP_1)
	v_dual_mov_b32 v10, v17 :: v_dual_mov_b32 v11, v14
.LBB104_43:                             ;   in Loop: Header=BB104_3 Depth=1
	s_or_b32 exec_lo, exec_lo, s0
	v_min_i32_e32 v13, 4, v30
	s_mov_b32 s16, 0
	s_mov_b32 s38, 0
	;; [unrolled: 1-line block ×3, first 2 shown]
                                        ; implicit-def: $sgpr34
                                        ; implicit-def: $sgpr35
                                        ; implicit-def: $sgpr36
	s_mov_b32 s0, exec_lo
	v_cmpx_lt_i32_e32 2, v13
	s_xor_b32 s37, exec_lo, s0
	s_cbranch_execz .LBB104_55
; %bb.44:                               ;   in Loop: Header=BB104_3 Depth=1
	s_mov_b32 s0, -1
	s_mov_b32 s39, 0
	s_mov_b32 s35, exec_lo
                                        ; implicit-def: $sgpr17
                                        ; implicit-def: $sgpr34
	v_cmpx_lt_i32_e32 3, v13
	s_cbranch_execz .LBB104_50
; %bb.45:                               ;   in Loop: Header=BB104_3 Depth=1
	s_mov_b32 s0, 0
	s_mov_b32 s39, -1
	s_mov_b32 s36, exec_lo
                                        ; implicit-def: $sgpr17
                                        ; implicit-def: $sgpr34
	v_cmpx_eq_u32_e32 4, v13
	s_cbranch_execz .LBB104_49
; %bb.46:                               ;   in Loop: Header=BB104_3 Depth=1
	v_cmp_le_f32_e32 vcc_lo, 0, v32
	v_cmp_ge_f32_e64 s0, 1.0, v32
	s_mov_b32 s17, 0
	s_delay_alu instid0(VALU_DEP_1)
	s_and_b32 s39, vcc_lo, s0
	s_mov_b32 s0, 0
	s_and_saveexec_b32 s34, s39
	s_cbranch_execz .LBB104_48
; %bb.47:                               ;   in Loop: Header=BB104_3 Depth=1
	v_cvt_f32_u32_e32 v14, v15
	v_lshlrev_b64 v[8:9], 1, v[8:9]
	s_mov_b32 s0, exec_lo
	s_delay_alu instid0(VALU_DEP_2) | instskip(NEXT) | instid1(VALU_DEP_2)
	v_fmaak_f32 v14, 0x2f800000, v14, 0x2f800000
	v_add_co_u32 v8, vcc_lo, s10, v8
	s_delay_alu instid0(VALU_DEP_3) | instskip(NEXT) | instid1(VALU_DEP_3)
	v_add_co_ci_u32_e32 v9, vcc_lo, s11, v9, vcc_lo
	v_cmp_le_f32_e32 vcc_lo, v14, v32
	v_cndmask_b32_e64 v14, 0, 1.0, vcc_lo
	global_store_d16_hi_b16 v[8:9], v14, off
.LBB104_48:                             ;   in Loop: Header=BB104_3 Depth=1
	s_or_b32 exec_lo, exec_lo, s34
	s_mov_b32 s34, -1
	s_xor_b32 s39, exec_lo, -1
	s_and_b32 s0, s0, exec_lo
.LBB104_49:                             ;   in Loop: Header=BB104_3 Depth=1
	s_or_b32 exec_lo, exec_lo, s36
	s_delay_alu instid0(SALU_CYCLE_1)
	s_and_b32 s39, s39, exec_lo
	s_or_not1_b32 s0, s0, exec_lo
.LBB104_50:                             ;   in Loop: Header=BB104_3 Depth=1
	s_or_b32 exec_lo, exec_lo, s35
	s_mov_b32 s36, s17
	s_and_saveexec_b32 s35, s0
	s_cbranch_execz .LBB104_54
; %bb.51:                               ;   in Loop: Header=BB104_3 Depth=1
	v_cmp_le_f32_e32 vcc_lo, 0, v31
	v_cmp_ge_f32_e64 s0, 1.0, v31
	s_delay_alu instid0(VALU_DEP_1) | instskip(SKIP_2) | instid1(SALU_CYCLE_1)
	s_and_b32 s36, vcc_lo, s0
	s_mov_b32 s0, 0
	s_and_saveexec_b32 s38, s36
	s_xor_b32 s36, exec_lo, s38
	s_cbranch_execz .LBB104_53
; %bb.52:                               ;   in Loop: Header=BB104_3 Depth=1
	v_cvt_f32_u32_e32 v9, v12
	v_mov_b32_e32 v8, v4
	s_mov_b32 s0, exec_lo
	s_delay_alu instid0(VALU_DEP_2) | instskip(NEXT) | instid1(VALU_DEP_2)
	v_fmaak_f32 v9, 0x2f800000, v9, 0x2f800000
	v_lshlrev_b64 v[7:8], 1, v[7:8]
	s_delay_alu instid0(VALU_DEP_1) | instskip(NEXT) | instid1(VALU_DEP_2)
	v_add_co_u32 v7, vcc_lo, s10, v7
	v_add_co_ci_u32_e32 v8, vcc_lo, s11, v8, vcc_lo
	s_delay_alu instid0(VALU_DEP_4)
	v_cmp_le_f32_e32 vcc_lo, v9, v31
	v_cndmask_b32_e64 v9, 0, 1.0, vcc_lo
	global_store_d16_hi_b16 v[7:8], v9, off
.LBB104_53:                             ;   in Loop: Header=BB104_3 Depth=1
	s_or_b32 exec_lo, exec_lo, s36
	s_delay_alu instid0(SALU_CYCLE_1)
	s_and_not1_b32 s36, s17, exec_lo
	s_or_b32 s17, s17, exec_lo
	s_and_not1_b32 s34, s34, exec_lo
	s_and_b32 s38, s0, exec_lo
.LBB104_54:                             ;   in Loop: Header=BB104_3 Depth=1
	s_or_b32 exec_lo, exec_lo, s35
	s_delay_alu instid0(SALU_CYCLE_1)
	s_and_b32 s36, s36, exec_lo
	s_and_b32 s35, s17, exec_lo
	;; [unrolled: 1-line block ×5, first 2 shown]
.LBB104_55:                             ;   in Loop: Header=BB104_3 Depth=1
	s_and_not1_saveexec_b32 s0, s37
; %bb.56:                               ;   in Loop: Header=BB104_3 Depth=1
	v_cmp_lt_i32_e32 vcc_lo, 1, v13
	s_and_not1_b32 s37, s38, exec_lo
	s_mov_b32 s16, exec_lo
	s_and_not1_b32 s36, s36, exec_lo
	s_and_not1_b32 s35, s35, exec_lo
	s_and_b32 s38, vcc_lo, exec_lo
	s_and_not1_b32 s34, s34, exec_lo
	s_or_b32 s38, s37, s38
; %bb.57:                               ;   in Loop: Header=BB104_3 Depth=1
	s_or_b32 exec_lo, exec_lo, s0
	s_mov_b32 s0, 0
	s_mov_b32 s37, s36
	s_and_saveexec_b32 s39, s38
	s_cbranch_execnz .LBB104_60
; %bb.58:                               ;   in Loop: Header=BB104_3 Depth=1
	s_or_b32 exec_lo, exec_lo, s39
	s_and_saveexec_b32 s38, s16
	s_cbranch_execnz .LBB104_63
.LBB104_59:                             ;   in Loop: Header=BB104_3 Depth=1
	s_or_b32 exec_lo, exec_lo, s38
	s_and_saveexec_b32 s16, s0
	s_cbranch_execnz .LBB104_64
	s_branch .LBB104_67
.LBB104_60:                             ;   in Loop: Header=BB104_3 Depth=1
	v_cmp_le_f32_e32 vcc_lo, 0, v3
	v_cmp_ge_f32_e64 s0, 1.0, v3
	s_delay_alu instid0(VALU_DEP_1) | instskip(SKIP_2) | instid1(SALU_CYCLE_1)
	s_and_b32 s37, vcc_lo, s0
	s_mov_b32 s0, 0
	s_and_saveexec_b32 s38, s37
	s_xor_b32 s37, exec_lo, s38
	s_cbranch_execz .LBB104_62
; %bb.61:                               ;   in Loop: Header=BB104_3 Depth=1
	v_cvt_f32_u32_e32 v8, v11
	v_mov_b32_e32 v7, v4
	s_mov_b32 s0, exec_lo
	s_delay_alu instid0(VALU_DEP_2) | instskip(NEXT) | instid1(VALU_DEP_2)
	v_fmaak_f32 v8, 0x2f800000, v8, 0x2f800000
	v_lshlrev_b64 v[6:7], 1, v[6:7]
	s_delay_alu instid0(VALU_DEP_1) | instskip(NEXT) | instid1(VALU_DEP_2)
	v_add_co_u32 v6, vcc_lo, s10, v6
	v_add_co_ci_u32_e32 v7, vcc_lo, s11, v7, vcc_lo
	s_delay_alu instid0(VALU_DEP_4)
	v_cmp_le_f32_e32 vcc_lo, v8, v3
	v_cndmask_b32_e64 v3, 0, 1.0, vcc_lo
	global_store_d16_hi_b16 v[6:7], v3, off
.LBB104_62:                             ;   in Loop: Header=BB104_3 Depth=1
	s_or_b32 exec_lo, exec_lo, s37
	s_delay_alu instid0(SALU_CYCLE_1)
	s_and_not1_b32 s37, s36, exec_lo
	s_or_b32 s36, s36, exec_lo
	s_and_not1_b32 s35, s35, exec_lo
	s_and_not1_b32 s34, s34, exec_lo
	s_and_b32 s0, s0, exec_lo
	s_and_not1_b32 s16, s16, exec_lo
	s_or_b32 exec_lo, exec_lo, s39
	s_and_saveexec_b32 s38, s16
	s_cbranch_execz .LBB104_59
.LBB104_63:                             ;   in Loop: Header=BB104_3 Depth=1
	v_cmp_eq_u32_e32 vcc_lo, 1, v13
	s_and_not1_b32 s0, s0, exec_lo
	s_and_not1_b32 s37, s37, exec_lo
	;; [unrolled: 1-line block ×4, first 2 shown]
	s_and_b32 s16, vcc_lo, exec_lo
	s_and_not1_b32 s34, s34, exec_lo
	s_or_b32 s17, s17, exec_lo
	s_or_b32 s0, s0, s16
	s_or_b32 exec_lo, exec_lo, s38
	s_and_saveexec_b32 s16, s0
	s_cbranch_execz .LBB104_67
.LBB104_64:                             ;   in Loop: Header=BB104_3 Depth=1
	v_cmp_le_f32_e32 vcc_lo, 0, v0
	v_cmp_ge_f32_e64 s0, 1.0, v0
	s_delay_alu instid0(VALU_DEP_1)
	s_and_b32 s39, vcc_lo, s0
	s_mov_b32 s0, 0
	s_and_saveexec_b32 s38, s39
	s_cbranch_execz .LBB104_66
; %bb.65:                               ;   in Loop: Header=BB104_3 Depth=1
	v_cvt_f32_u32_e32 v3, v10
	v_mov_b32_e32 v6, v4
	s_mov_b32 s0, exec_lo
	s_delay_alu instid0(VALU_DEP_2) | instskip(NEXT) | instid1(VALU_DEP_2)
	v_fmaak_f32 v3, 0x2f800000, v3, 0x2f800000
	v_lshlrev_b64 v[5:6], 1, v[5:6]
	s_delay_alu instid0(VALU_DEP_1) | instskip(NEXT) | instid1(VALU_DEP_2)
	v_add_co_u32 v5, vcc_lo, s10, v5
	v_add_co_ci_u32_e32 v6, vcc_lo, s11, v6, vcc_lo
	s_delay_alu instid0(VALU_DEP_4)
	v_cmp_le_f32_e32 vcc_lo, v3, v0
	v_cndmask_b32_e64 v0, 0, 1.0, vcc_lo
	global_store_d16_hi_b16 v[5:6], v0, off
.LBB104_66:                             ;   in Loop: Header=BB104_3 Depth=1
	s_or_b32 exec_lo, exec_lo, s38
	s_delay_alu instid0(SALU_CYCLE_1)
	s_and_not1_b32 s17, s17, exec_lo
	s_and_b32 s0, s0, exec_lo
	s_or_b32 s37, s37, exec_lo
	s_and_not1_b32 s36, s36, exec_lo
	s_and_not1_b32 s35, s35, exec_lo
	;; [unrolled: 1-line block ×3, first 2 shown]
	s_or_b32 s17, s17, s0
.LBB104_67:                             ;   in Loop: Header=BB104_3 Depth=1
	s_or_b32 exec_lo, exec_lo, s16
	s_delay_alu instid0(SALU_CYCLE_1)
	s_and_not1_b32 s16, s33, exec_lo
	s_and_b32 s33, s37, exec_lo
	s_and_not1_b32 s30, s30, exec_lo
	s_and_b32 s36, s36, exec_lo
	s_or_b32 s33, s16, s33
	s_and_not1_b32 s16, s31, exec_lo
	s_and_b32 s31, s35, exec_lo
	s_and_not1_b32 s29, s29, exec_lo
	s_and_b32 s34, s34, exec_lo
	s_mov_b32 s0, -1
	s_or_b32 s30, s30, s36
	s_or_b32 s31, s16, s31
	;; [unrolled: 1-line block ×3, first 2 shown]
	s_and_saveexec_b32 s16, s17
	s_cbranch_execz .LBB104_2
; %bb.68:                               ;   in Loop: Header=BB104_3 Depth=1
	v_add_nc_u32_e32 v27, s24, v27
	s_and_not1_b32 s33, s33, exec_lo
	s_and_not1_b32 s30, s30, exec_lo
	;; [unrolled: 1-line block ×4, first 2 shown]
	v_cmp_le_u32_e32 vcc_lo, s18, v27
	s_or_not1_b32 s0, vcc_lo, exec_lo
	s_branch .LBB104_2
.LBB104_69:
	s_or_b32 exec_lo, exec_lo, s1
	s_xor_b32 s3, s27, -1
	s_xor_b32 s4, s28, -1
	;; [unrolled: 1-line block ×3, first 2 shown]
	s_mov_b32 s1, 0
	s_and_saveexec_b32 s2, s0
	s_delay_alu instid0(SALU_CYCLE_1)
	s_xor_b32 s0, exec_lo, s2
	s_cbranch_execz .LBB104_78
; %bb.70:
	s_mov_b32 s2, 0
	s_and_saveexec_b32 s1, s4
	s_delay_alu instid0(SALU_CYCLE_1)
	s_xor_b32 s1, exec_lo, s1
	s_cbranch_execz .LBB104_76
; %bb.71:
	s_and_saveexec_b32 s4, s3
	s_delay_alu instid0(SALU_CYCLE_1)
	s_xor_b32 s3, exec_lo, s4
	s_cbranch_execz .LBB104_74
; %bb.72:
	s_and_saveexec_b32 s4, s23
	s_delay_alu instid0(SALU_CYCLE_1)
	s_xor_b32 s4, exec_lo, s4
	s_cbranch_execnz .LBB104_92
.LBB104_73:
	s_or_b32 exec_lo, exec_lo, s4
	s_delay_alu instid0(SALU_CYCLE_1)
	s_and_b32 s2, s2, exec_lo
.LBB104_74:
	s_and_not1_saveexec_b32 s3, s3
	s_cbranch_execnz .LBB104_88
.LBB104_75:
	s_or_b32 exec_lo, exec_lo, s3
	s_delay_alu instid0(SALU_CYCLE_1)
	s_and_b32 s2, s2, exec_lo
.LBB104_76:
	s_and_not1_saveexec_b32 s1, s1
	s_cbranch_execnz .LBB104_84
.LBB104_77:
	s_or_b32 exec_lo, exec_lo, s1
	s_delay_alu instid0(SALU_CYCLE_1)
	s_and_b32 s1, s2, exec_lo
.LBB104_78:
	s_and_not1_saveexec_b32 s0, s0
	s_cbranch_execnz .LBB104_82
; %bb.79:
	s_or_b32 exec_lo, exec_lo, s0
	s_delay_alu instid0(SALU_CYCLE_1)
	s_and_b32 exec_lo, exec_lo, s1
.LBB104_80:
	; divergent unreachable
.LBB104_81:
	s_nop 0
	s_sendmsg sendmsg(MSG_DEALLOC_VGPRS)
	s_endpgm
.LBB104_82:
	s_cbranch_execnz .LBB104_86
; %bb.83:
	s_or_b32 s1, s1, exec_lo
	s_or_b32 exec_lo, exec_lo, s0
	s_delay_alu instid0(SALU_CYCLE_1)
	s_and_b32 exec_lo, exec_lo, s1
	s_cbranch_execnz .LBB104_80
	s_branch .LBB104_81
.LBB104_84:
	s_cbranch_execnz .LBB104_90
; %bb.85:
	s_or_b32 s2, s2, exec_lo
	s_branch .LBB104_77
.LBB104_86:
	s_trap 2
	s_sendmsg_rtn_b32 s0, sendmsg(MSG_RTN_GET_DOORBELL)
	s_mov_b32 ttmp2, m0
	s_waitcnt lgkmcnt(0)
	s_and_b32 s0, s0, 0x3ff
	s_delay_alu instid0(SALU_CYCLE_1) | instskip(NEXT) | instid1(SALU_CYCLE_1)
	s_bitset1_b32 s0, 10
	s_mov_b32 m0, s0
	s_sendmsg sendmsg(MSG_INTERRUPT)
	s_mov_b32 m0, ttmp2
.LBB104_87:                             ; =>This Inner Loop Header: Depth=1
	s_sethalt 5
	s_branch .LBB104_87
.LBB104_88:
	s_cbranch_execnz .LBB104_94
; %bb.89:
	s_or_b32 s2, s2, exec_lo
	s_branch .LBB104_75
.LBB104_90:
	s_trap 2
	s_sendmsg_rtn_b32 s0, sendmsg(MSG_RTN_GET_DOORBELL)
	s_mov_b32 ttmp2, m0
	s_waitcnt lgkmcnt(0)
	s_and_b32 s0, s0, 0x3ff
	s_delay_alu instid0(SALU_CYCLE_1) | instskip(NEXT) | instid1(SALU_CYCLE_1)
	s_bitset1_b32 s0, 10
	s_mov_b32 m0, s0
	s_sendmsg sendmsg(MSG_INTERRUPT)
	s_mov_b32 m0, ttmp2
.LBB104_91:                             ; =>This Inner Loop Header: Depth=1
	s_sethalt 5
	s_branch .LBB104_91
.LBB104_92:
	s_cbranch_execnz .LBB104_96
; %bb.93:
	s_mov_b32 s2, exec_lo
	s_branch .LBB104_73
.LBB104_94:
	s_trap 2
	s_sendmsg_rtn_b32 s0, sendmsg(MSG_RTN_GET_DOORBELL)
	s_mov_b32 ttmp2, m0
	s_waitcnt lgkmcnt(0)
	s_and_b32 s0, s0, 0x3ff
	s_delay_alu instid0(SALU_CYCLE_1) | instskip(NEXT) | instid1(SALU_CYCLE_1)
	s_bitset1_b32 s0, 10
	s_mov_b32 m0, s0
	s_sendmsg sendmsg(MSG_INTERRUPT)
	s_mov_b32 m0, ttmp2
.LBB104_95:                             ; =>This Inner Loop Header: Depth=1
	s_sethalt 5
	s_branch .LBB104_95
.LBB104_96:
	s_trap 2
	s_sendmsg_rtn_b32 s0, sendmsg(MSG_RTN_GET_DOORBELL)
	s_mov_b32 ttmp2, m0
	s_waitcnt lgkmcnt(0)
	s_and_b32 s0, s0, 0x3ff
	s_delay_alu instid0(SALU_CYCLE_1) | instskip(NEXT) | instid1(SALU_CYCLE_1)
	s_bitset1_b32 s0, 10
	s_mov_b32 m0, s0
	s_sendmsg sendmsg(MSG_INTERRUPT)
	s_mov_b32 m0, ttmp2
.LBB104_97:                             ; =>This Inner Loop Header: Depth=1
	s_sethalt 5
	s_branch .LBB104_97
	.section	.rodata,"a",@progbits
	.p2align	6, 0x0
	.amdhsa_kernel _ZN2at4cuda12_GLOBAL__N_121kernelPointwiseApply2IZNS_6native9templates4cuda28bernoulli_tensor_cuda_kernelIN3c108BFloat16EfEEvRKNS_10TensorBaseESB_NS_15PhiloxCudaStateEEUliRS8_SD_SD_SD_RKfSF_SF_SF_E_S8_SE_jLi2ELin1ELi4ELi512ELi2EEEvNS0_6detail10TensorInfoIT0_T2_EENSI_IT1_SK_EESK_T_
		.amdhsa_group_segment_fixed_size 0
		.amdhsa_private_segment_fixed_size 0
		.amdhsa_kernarg_size 728
		.amdhsa_user_sgpr_count 15
		.amdhsa_user_sgpr_dispatch_ptr 0
		.amdhsa_user_sgpr_queue_ptr 0
		.amdhsa_user_sgpr_kernarg_segment_ptr 1
		.amdhsa_user_sgpr_dispatch_id 0
		.amdhsa_user_sgpr_private_segment_size 0
		.amdhsa_wavefront_size32 1
		.amdhsa_uses_dynamic_stack 0
		.amdhsa_enable_private_segment 0
		.amdhsa_system_sgpr_workgroup_id_x 1
		.amdhsa_system_sgpr_workgroup_id_y 0
		.amdhsa_system_sgpr_workgroup_id_z 0
		.amdhsa_system_sgpr_workgroup_info 0
		.amdhsa_system_vgpr_workitem_id 0
		.amdhsa_next_free_vgpr 41
		.amdhsa_next_free_sgpr 40
		.amdhsa_reserve_vcc 1
		.amdhsa_float_round_mode_32 0
		.amdhsa_float_round_mode_16_64 0
		.amdhsa_float_denorm_mode_32 3
		.amdhsa_float_denorm_mode_16_64 3
		.amdhsa_dx10_clamp 1
		.amdhsa_ieee_mode 1
		.amdhsa_fp16_overflow 0
		.amdhsa_workgroup_processor_mode 1
		.amdhsa_memory_ordered 1
		.amdhsa_forward_progress 0
		.amdhsa_shared_vgpr_count 0
		.amdhsa_exception_fp_ieee_invalid_op 0
		.amdhsa_exception_fp_denorm_src 0
		.amdhsa_exception_fp_ieee_div_zero 0
		.amdhsa_exception_fp_ieee_overflow 0
		.amdhsa_exception_fp_ieee_underflow 0
		.amdhsa_exception_fp_ieee_inexact 0
		.amdhsa_exception_int_div_zero 0
	.end_amdhsa_kernel
	.section	.text._ZN2at4cuda12_GLOBAL__N_121kernelPointwiseApply2IZNS_6native9templates4cuda28bernoulli_tensor_cuda_kernelIN3c108BFloat16EfEEvRKNS_10TensorBaseESB_NS_15PhiloxCudaStateEEUliRS8_SD_SD_SD_RKfSF_SF_SF_E_S8_SE_jLi2ELin1ELi4ELi512ELi2EEEvNS0_6detail10TensorInfoIT0_T2_EENSI_IT1_SK_EESK_T_,"axG",@progbits,_ZN2at4cuda12_GLOBAL__N_121kernelPointwiseApply2IZNS_6native9templates4cuda28bernoulli_tensor_cuda_kernelIN3c108BFloat16EfEEvRKNS_10TensorBaseESB_NS_15PhiloxCudaStateEEUliRS8_SD_SD_SD_RKfSF_SF_SF_E_S8_SE_jLi2ELin1ELi4ELi512ELi2EEEvNS0_6detail10TensorInfoIT0_T2_EENSI_IT1_SK_EESK_T_,comdat
.Lfunc_end104:
	.size	_ZN2at4cuda12_GLOBAL__N_121kernelPointwiseApply2IZNS_6native9templates4cuda28bernoulli_tensor_cuda_kernelIN3c108BFloat16EfEEvRKNS_10TensorBaseESB_NS_15PhiloxCudaStateEEUliRS8_SD_SD_SD_RKfSF_SF_SF_E_S8_SE_jLi2ELin1ELi4ELi512ELi2EEEvNS0_6detail10TensorInfoIT0_T2_EENSI_IT1_SK_EESK_T_, .Lfunc_end104-_ZN2at4cuda12_GLOBAL__N_121kernelPointwiseApply2IZNS_6native9templates4cuda28bernoulli_tensor_cuda_kernelIN3c108BFloat16EfEEvRKNS_10TensorBaseESB_NS_15PhiloxCudaStateEEUliRS8_SD_SD_SD_RKfSF_SF_SF_E_S8_SE_jLi2ELin1ELi4ELi512ELi2EEEvNS0_6detail10TensorInfoIT0_T2_EENSI_IT1_SK_EESK_T_
                                        ; -- End function
	.section	.AMDGPU.csdata,"",@progbits
; Kernel info:
; codeLenInByte = 4856
; NumSgprs: 42
; NumVgprs: 41
; ScratchSize: 0
; MemoryBound: 0
; FloatMode: 240
; IeeeMode: 1
; LDSByteSize: 0 bytes/workgroup (compile time only)
; SGPRBlocks: 5
; VGPRBlocks: 5
; NumSGPRsForWavesPerEU: 42
; NumVGPRsForWavesPerEU: 41
; Occupancy: 16
; WaveLimiterHint : 1
; COMPUTE_PGM_RSRC2:SCRATCH_EN: 0
; COMPUTE_PGM_RSRC2:USER_SGPR: 15
; COMPUTE_PGM_RSRC2:TRAP_HANDLER: 0
; COMPUTE_PGM_RSRC2:TGID_X_EN: 1
; COMPUTE_PGM_RSRC2:TGID_Y_EN: 0
; COMPUTE_PGM_RSRC2:TGID_Z_EN: 0
; COMPUTE_PGM_RSRC2:TIDIG_COMP_CNT: 0
	.section	.text._ZN2at4cuda12_GLOBAL__N_121kernelPointwiseApply2IZNS_6native9templates4cuda28bernoulli_tensor_cuda_kernelIN3c108BFloat16EfEEvRKNS_10TensorBaseESB_NS_15PhiloxCudaStateEEUliRS8_SD_SD_SD_RKfSF_SF_SF_E_S8_SE_jLin1ELi1ELi4ELi512ELi2EEEvNS0_6detail10TensorInfoIT0_T2_EENSI_IT1_SK_EESK_T_,"axG",@progbits,_ZN2at4cuda12_GLOBAL__N_121kernelPointwiseApply2IZNS_6native9templates4cuda28bernoulli_tensor_cuda_kernelIN3c108BFloat16EfEEvRKNS_10TensorBaseESB_NS_15PhiloxCudaStateEEUliRS8_SD_SD_SD_RKfSF_SF_SF_E_S8_SE_jLin1ELi1ELi4ELi512ELi2EEEvNS0_6detail10TensorInfoIT0_T2_EENSI_IT1_SK_EESK_T_,comdat
	.globl	_ZN2at4cuda12_GLOBAL__N_121kernelPointwiseApply2IZNS_6native9templates4cuda28bernoulli_tensor_cuda_kernelIN3c108BFloat16EfEEvRKNS_10TensorBaseESB_NS_15PhiloxCudaStateEEUliRS8_SD_SD_SD_RKfSF_SF_SF_E_S8_SE_jLin1ELi1ELi4ELi512ELi2EEEvNS0_6detail10TensorInfoIT0_T2_EENSI_IT1_SK_EESK_T_ ; -- Begin function _ZN2at4cuda12_GLOBAL__N_121kernelPointwiseApply2IZNS_6native9templates4cuda28bernoulli_tensor_cuda_kernelIN3c108BFloat16EfEEvRKNS_10TensorBaseESB_NS_15PhiloxCudaStateEEUliRS8_SD_SD_SD_RKfSF_SF_SF_E_S8_SE_jLin1ELi1ELi4ELi512ELi2EEEvNS0_6detail10TensorInfoIT0_T2_EENSI_IT1_SK_EESK_T_
	.p2align	8
	.type	_ZN2at4cuda12_GLOBAL__N_121kernelPointwiseApply2IZNS_6native9templates4cuda28bernoulli_tensor_cuda_kernelIN3c108BFloat16EfEEvRKNS_10TensorBaseESB_NS_15PhiloxCudaStateEEUliRS8_SD_SD_SD_RKfSF_SF_SF_E_S8_SE_jLin1ELi1ELi4ELi512ELi2EEEvNS0_6detail10TensorInfoIT0_T2_EENSI_IT1_SK_EESK_T_,@function
_ZN2at4cuda12_GLOBAL__N_121kernelPointwiseApply2IZNS_6native9templates4cuda28bernoulli_tensor_cuda_kernelIN3c108BFloat16EfEEvRKNS_10TensorBaseESB_NS_15PhiloxCudaStateEEUliRS8_SD_SD_SD_RKfSF_SF_SF_E_S8_SE_jLin1ELi1ELi4ELi512ELi2EEEvNS0_6detail10TensorInfoIT0_T2_EENSI_IT1_SK_EESK_T_: ; @_ZN2at4cuda12_GLOBAL__N_121kernelPointwiseApply2IZNS_6native9templates4cuda28bernoulli_tensor_cuda_kernelIN3c108BFloat16EfEEvRKNS_10TensorBaseESB_NS_15PhiloxCudaStateEEUliRS8_SD_SD_SD_RKfSF_SF_SF_E_S8_SE_jLin1ELi1ELi4ELi512ELi2EEEvNS0_6detail10TensorInfoIT0_T2_EENSI_IT1_SK_EESK_T_
; %bb.0:
	s_clause 0x1
	s_load_b32 s4, s[0:1], 0x1e4
	s_load_b32 s20, s[0:1], 0x1b0
	s_add_u32 s2, s0, 0x1d8
	s_addc_u32 s3, s1, 0
	s_waitcnt lgkmcnt(0)
	s_and_b32 s14, s4, 0xffff
	s_mov_b32 s4, exec_lo
	v_mad_u64_u32 v[1:2], null, s15, s14, v[0:1]
	s_delay_alu instid0(VALU_DEP_1) | instskip(NEXT) | instid1(VALU_DEP_1)
	v_lshlrev_b32_e32 v29, 2, v1
	v_cmpx_gt_u32_e64 s20, v29
	s_cbranch_execz .LBB105_73
; %bb.1:
	s_load_b32 s16, s[0:1], 0xd0
	s_load_b32 s2, s[2:3], 0x0
	s_clause 0x6
	s_load_b32 s3, s[0:1], 0x1d0
	s_load_b64 s[8:9], s[0:1], 0xd8
	s_load_b64 s[10:11], s[0:1], 0x1c8
	s_load_b32 s21, s[0:1], 0x144
	s_load_b128 s[4:7], s[0:1], 0x1b8
	s_load_b32 s22, s[0:1], 0x6c
	s_load_b64 s[12:13], s[0:1], 0x0
	v_mad_u64_u32 v[2:3], null, 0xcd9e8d57, v1, 0
	s_mov_b32 s15, 0
	v_mov_b32_e32 v4, 0
                                        ; implicit-def: $sgpr27
                                        ; implicit-def: $sgpr29
                                        ; implicit-def: $sgpr28
                                        ; implicit-def: $sgpr30
                                        ; implicit-def: $sgpr33
                                        ; implicit-def: $sgpr31
                                        ; implicit-def: $sgpr34
	s_delay_alu instid0(VALU_DEP_2)
	v_mov_b32_e32 v30, v3
	s_waitcnt lgkmcnt(0)
	s_cmp_gt_i32 s16, 1
	s_mul_i32 s2, s2, s14
	s_cselect_b32 s23, -1, 0
	s_bitcmp1_b32 s3, 0
	s_cselect_b32 s24, -1, 0
	s_add_i32 s14, s16, -1
	s_lshl_b32 s25, s2, 2
	s_lshl_b64 s[2:3], s[14:15], 2
	s_add_i32 s26, s16, 1
	s_add_u32 s0, s2, s0
	s_addc_u32 s1, s3, s1
	s_add_u32 s16, s0, 8
	s_addc_u32 s17, s1, 0
                                        ; implicit-def: $sgpr14
	s_branch .LBB105_3
.LBB105_2:                              ;   in Loop: Header=BB105_3 Depth=1
	s_or_b32 exec_lo, exec_lo, s1
	s_delay_alu instid0(SALU_CYCLE_1) | instskip(NEXT) | instid1(SALU_CYCLE_1)
	s_and_b32 s0, exec_lo, s0
	s_or_b32 s15, s0, s15
	s_and_not1_b32 s0, s14, exec_lo
	s_and_b32 s1, s34, exec_lo
	s_and_not1_b32 s2, s28, exec_lo
	s_and_b32 s3, s31, exec_lo
	s_or_b32 s14, s0, s1
	s_or_b32 s28, s2, s3
	s_and_not1_b32 s0, s29, exec_lo
	s_and_b32 s1, s33, exec_lo
	s_and_not1_b32 s2, s27, exec_lo
	s_and_b32 s3, s30, exec_lo
	s_or_b32 s29, s0, s1
	s_or_b32 s27, s2, s3
	s_and_not1_b32 exec_lo, exec_lo, s15
	s_cbranch_execz .LBB105_61
.LBB105_3:                              ; =>This Loop Header: Depth=1
                                        ;     Child Loop BB105_6 Depth 2
                                        ;     Child Loop BB105_11 Depth 2
                                        ;     Child Loop BB105_16 Depth 2
                                        ;     Child Loop BB105_21 Depth 2
	v_sub_nc_u32_e32 v31, s20, v29
	v_mov_b32_e32 v5, 0
	s_delay_alu instid0(VALU_DEP_2) | instskip(NEXT) | instid1(VALU_DEP_1)
	v_cmp_lt_i32_e64 s0, 0, v31
	s_and_saveexec_b32 s1, s0
	s_cbranch_execz .LBB105_8
; %bb.4:                                ;   in Loop: Header=BB105_3 Depth=1
	v_dual_mov_b32 v0, 0 :: v_dual_mov_b32 v3, v29
	s_and_not1_b32 vcc_lo, exec_lo, s23
	s_cbranch_vccnz .LBB105_7
; %bb.5:                                ;   in Loop: Header=BB105_3 Depth=1
	v_dual_mov_b32 v0, 0 :: v_dual_mov_b32 v3, v29
	s_mov_b64 s[2:3], s[16:17]
	s_mov_b32 s18, s26
	s_set_inst_prefetch_distance 0x1
	.p2align	6
.LBB105_6:                              ;   Parent Loop BB105_3 Depth=1
                                        ; =>  This Inner Loop Header: Depth=2
	s_clause 0x1
	s_load_b32 s19, s[2:3], 0x0
	s_load_b32 s35, s[2:3], 0x64
	v_mov_b32_e32 v7, v3
	s_add_i32 s18, s18, -1
	s_waitcnt lgkmcnt(0)
	v_cvt_f32_u32_e32 v5, s19
	s_sub_i32 s36, 0, s19
	s_add_u32 s2, s2, -4
	s_addc_u32 s3, s3, -1
	s_cmp_gt_u32 s18, 2
	v_rcp_iflag_f32_e32 v5, v5
	s_waitcnt_depctr 0xfff
	v_mul_f32_e32 v5, 0x4f7ffffe, v5
	s_delay_alu instid0(VALU_DEP_1) | instskip(NEXT) | instid1(VALU_DEP_1)
	v_cvt_u32_f32_e32 v5, v5
	v_mul_lo_u32 v6, s36, v5
	s_delay_alu instid0(VALU_DEP_1) | instskip(NEXT) | instid1(VALU_DEP_1)
	v_mul_hi_u32 v6, v5, v6
	v_add_nc_u32_e32 v3, v5, v6
	s_delay_alu instid0(VALU_DEP_1) | instskip(NEXT) | instid1(VALU_DEP_1)
	v_mul_hi_u32 v3, v7, v3
	v_add_nc_u32_e32 v6, 1, v3
	v_mul_lo_u32 v5, v3, s19
	s_delay_alu instid0(VALU_DEP_1) | instskip(NEXT) | instid1(VALU_DEP_1)
	v_sub_nc_u32_e32 v5, v7, v5
	v_subrev_nc_u32_e32 v8, s19, v5
	v_cmp_le_u32_e32 vcc_lo, s19, v5
	v_cndmask_b32_e32 v3, v3, v6, vcc_lo
	s_delay_alu instid0(VALU_DEP_1) | instskip(NEXT) | instid1(VALU_DEP_1)
	v_dual_cndmask_b32 v5, v5, v8 :: v_dual_add_nc_u32 v6, 1, v3
	v_cmp_le_u32_e32 vcc_lo, s19, v5
	s_delay_alu instid0(VALU_DEP_2) | instskip(NEXT) | instid1(VALU_DEP_1)
	v_cndmask_b32_e32 v3, v3, v6, vcc_lo
	v_mul_lo_u32 v5, v3, s19
	s_delay_alu instid0(VALU_DEP_1) | instskip(NEXT) | instid1(VALU_DEP_1)
	v_sub_nc_u32_e32 v7, v7, v5
	v_mad_u64_u32 v[5:6], null, s35, v7, v[0:1]
	s_delay_alu instid0(VALU_DEP_1)
	v_mov_b32_e32 v0, v5
	s_cbranch_scc1 .LBB105_6
.LBB105_7:                              ;   in Loop: Header=BB105_3 Depth=1
	s_set_inst_prefetch_distance 0x2
	s_delay_alu instid0(VALU_DEP_1)
	v_mad_u64_u32 v[5:6], null, s22, v3, v[0:1]
.LBB105_8:                              ;   in Loop: Header=BB105_3 Depth=1
	s_or_b32 exec_lo, exec_lo, s1
	v_mov_b32_e32 v6, 0
	v_mov_b32_e32 v7, 0
	v_cmp_lt_i32_e64 s1, 1, v31
	s_delay_alu instid0(VALU_DEP_1)
	s_and_saveexec_b32 s18, s1
	s_cbranch_execz .LBB105_13
; %bb.9:                                ;   in Loop: Header=BB105_3 Depth=1
	v_or_b32_e32 v3, 1, v29
	v_mov_b32_e32 v0, 0
	s_and_not1_b32 vcc_lo, exec_lo, s23
	s_cbranch_vccnz .LBB105_12
; %bb.10:                               ;   in Loop: Header=BB105_3 Depth=1
	v_mov_b32_e32 v0, 0
	s_mov_b64 s[2:3], s[16:17]
	s_mov_b32 s19, s26
	s_set_inst_prefetch_distance 0x1
	.p2align	6
.LBB105_11:                             ;   Parent Loop BB105_3 Depth=1
                                        ; =>  This Inner Loop Header: Depth=2
	s_clause 0x1
	s_load_b32 s35, s[2:3], 0x0
	s_load_b32 s36, s[2:3], 0x64
	s_add_i32 s19, s19, -1
	s_waitcnt lgkmcnt(0)
	v_cvt_f32_u32_e32 v6, s35
	s_sub_i32 s37, 0, s35
	s_add_u32 s2, s2, -4
	s_addc_u32 s3, s3, -1
	s_cmp_gt_u32 s19, 2
	v_rcp_iflag_f32_e32 v6, v6
	s_waitcnt_depctr 0xfff
	v_mul_f32_e32 v6, 0x4f7ffffe, v6
	s_delay_alu instid0(VALU_DEP_1) | instskip(NEXT) | instid1(VALU_DEP_1)
	v_cvt_u32_f32_e32 v6, v6
	v_mul_lo_u32 v7, s37, v6
	s_delay_alu instid0(VALU_DEP_1) | instskip(NEXT) | instid1(VALU_DEP_1)
	v_mul_hi_u32 v7, v6, v7
	v_dual_mov_b32 v8, v3 :: v_dual_add_nc_u32 v3, v6, v7
	s_delay_alu instid0(VALU_DEP_1) | instskip(NEXT) | instid1(VALU_DEP_1)
	v_mul_hi_u32 v3, v8, v3
	v_mul_lo_u32 v6, v3, s35
	v_add_nc_u32_e32 v7, 1, v3
	s_delay_alu instid0(VALU_DEP_2) | instskip(NEXT) | instid1(VALU_DEP_1)
	v_sub_nc_u32_e32 v6, v8, v6
	v_subrev_nc_u32_e32 v9, s35, v6
	v_cmp_le_u32_e32 vcc_lo, s35, v6
	s_delay_alu instid0(VALU_DEP_2) | instskip(NEXT) | instid1(VALU_DEP_1)
	v_dual_cndmask_b32 v3, v3, v7 :: v_dual_cndmask_b32 v6, v6, v9
	v_add_nc_u32_e32 v7, 1, v3
	s_delay_alu instid0(VALU_DEP_2) | instskip(NEXT) | instid1(VALU_DEP_2)
	v_cmp_le_u32_e32 vcc_lo, s35, v6
	v_cndmask_b32_e32 v3, v3, v7, vcc_lo
	s_delay_alu instid0(VALU_DEP_1) | instskip(NEXT) | instid1(VALU_DEP_1)
	v_mul_lo_u32 v6, v3, s35
	v_sub_nc_u32_e32 v8, v8, v6
	s_delay_alu instid0(VALU_DEP_1) | instskip(NEXT) | instid1(VALU_DEP_1)
	v_mad_u64_u32 v[6:7], null, s36, v8, v[0:1]
	v_mov_b32_e32 v0, v6
	s_cbranch_scc1 .LBB105_11
.LBB105_12:                             ;   in Loop: Header=BB105_3 Depth=1
	s_set_inst_prefetch_distance 0x2
	s_delay_alu instid0(VALU_DEP_1)
	v_mad_u64_u32 v[6:7], null, s22, v3, v[0:1]
	v_mov_b32_e32 v7, v4
.LBB105_13:                             ;   in Loop: Header=BB105_3 Depth=1
	s_or_b32 exec_lo, exec_lo, s18
	v_mov_b32_e32 v8, 0
	v_mov_b32_e32 v9, 0
	v_cmp_lt_i32_e64 s2, 2, v31
	s_delay_alu instid0(VALU_DEP_1)
	s_and_saveexec_b32 s3, s2
	s_cbranch_execz .LBB105_18
; %bb.14:                               ;   in Loop: Header=BB105_3 Depth=1
	v_or_b32_e32 v3, 2, v29
	v_mov_b32_e32 v0, 0
	s_and_not1_b32 vcc_lo, exec_lo, s23
	s_cbranch_vccnz .LBB105_17
; %bb.15:                               ;   in Loop: Header=BB105_3 Depth=1
	v_mov_b32_e32 v0, 0
	s_mov_b64 s[18:19], s[16:17]
	s_mov_b32 s35, s26
	s_set_inst_prefetch_distance 0x1
	.p2align	6
.LBB105_16:                             ;   Parent Loop BB105_3 Depth=1
                                        ; =>  This Inner Loop Header: Depth=2
	s_clause 0x1
	s_load_b32 s36, s[18:19], 0x0
	s_load_b32 s37, s[18:19], 0x64
	s_add_i32 s35, s35, -1
	s_waitcnt lgkmcnt(0)
	v_cvt_f32_u32_e32 v8, s36
	s_sub_i32 s38, 0, s36
	s_add_u32 s18, s18, -4
	s_addc_u32 s19, s19, -1
	s_cmp_gt_u32 s35, 2
	v_rcp_iflag_f32_e32 v8, v8
	s_waitcnt_depctr 0xfff
	v_mul_f32_e32 v8, 0x4f7ffffe, v8
	s_delay_alu instid0(VALU_DEP_1) | instskip(NEXT) | instid1(VALU_DEP_1)
	v_cvt_u32_f32_e32 v8, v8
	v_mul_lo_u32 v9, s38, v8
	s_delay_alu instid0(VALU_DEP_1) | instskip(NEXT) | instid1(VALU_DEP_1)
	v_mul_hi_u32 v9, v8, v9
	v_dual_mov_b32 v10, v3 :: v_dual_add_nc_u32 v3, v8, v9
	s_delay_alu instid0(VALU_DEP_1) | instskip(NEXT) | instid1(VALU_DEP_1)
	v_mul_hi_u32 v3, v10, v3
	v_mul_lo_u32 v8, v3, s36
	v_add_nc_u32_e32 v9, 1, v3
	s_delay_alu instid0(VALU_DEP_2) | instskip(NEXT) | instid1(VALU_DEP_1)
	v_sub_nc_u32_e32 v8, v10, v8
	v_subrev_nc_u32_e32 v11, s36, v8
	v_cmp_le_u32_e32 vcc_lo, s36, v8
	s_delay_alu instid0(VALU_DEP_2) | instskip(NEXT) | instid1(VALU_DEP_1)
	v_dual_cndmask_b32 v3, v3, v9 :: v_dual_cndmask_b32 v8, v8, v11
	v_add_nc_u32_e32 v9, 1, v3
	s_delay_alu instid0(VALU_DEP_2) | instskip(NEXT) | instid1(VALU_DEP_2)
	v_cmp_le_u32_e32 vcc_lo, s36, v8
	v_cndmask_b32_e32 v3, v3, v9, vcc_lo
	s_delay_alu instid0(VALU_DEP_1) | instskip(NEXT) | instid1(VALU_DEP_1)
	v_mul_lo_u32 v8, v3, s36
	v_sub_nc_u32_e32 v10, v10, v8
	s_delay_alu instid0(VALU_DEP_1) | instskip(NEXT) | instid1(VALU_DEP_1)
	v_mad_u64_u32 v[8:9], null, s37, v10, v[0:1]
	v_mov_b32_e32 v0, v8
	s_cbranch_scc1 .LBB105_16
.LBB105_17:                             ;   in Loop: Header=BB105_3 Depth=1
	s_set_inst_prefetch_distance 0x2
	s_delay_alu instid0(VALU_DEP_1)
	v_mad_u64_u32 v[8:9], null, s22, v3, v[0:1]
	v_mov_b32_e32 v9, v4
.LBB105_18:                             ;   in Loop: Header=BB105_3 Depth=1
	s_or_b32 exec_lo, exec_lo, s3
	v_mov_b32_e32 v12, 0
	v_mov_b32_e32 v13, 0
	v_cmp_lt_i32_e64 s3, 3, v31
	s_delay_alu instid0(VALU_DEP_1)
	s_and_saveexec_b32 s35, s3
	s_cbranch_execz .LBB105_23
; %bb.19:                               ;   in Loop: Header=BB105_3 Depth=1
	v_or_b32_e32 v3, 3, v29
	v_mov_b32_e32 v0, 0
	s_and_not1_b32 vcc_lo, exec_lo, s23
	s_cbranch_vccnz .LBB105_22
; %bb.20:                               ;   in Loop: Header=BB105_3 Depth=1
	v_mov_b32_e32 v0, 0
	s_mov_b64 s[18:19], s[16:17]
	s_mov_b32 s36, s26
	s_set_inst_prefetch_distance 0x1
	.p2align	6
.LBB105_21:                             ;   Parent Loop BB105_3 Depth=1
                                        ; =>  This Inner Loop Header: Depth=2
	s_clause 0x1
	s_load_b32 s37, s[18:19], 0x0
	s_load_b32 s38, s[18:19], 0x64
	s_add_i32 s36, s36, -1
	s_waitcnt lgkmcnt(0)
	v_cvt_f32_u32_e32 v10, s37
	s_sub_i32 s39, 0, s37
	s_add_u32 s18, s18, -4
	s_addc_u32 s19, s19, -1
	s_cmp_gt_u32 s36, 2
	v_rcp_iflag_f32_e32 v10, v10
	s_waitcnt_depctr 0xfff
	v_mul_f32_e32 v10, 0x4f7ffffe, v10
	s_delay_alu instid0(VALU_DEP_1) | instskip(NEXT) | instid1(VALU_DEP_1)
	v_cvt_u32_f32_e32 v10, v10
	v_mul_lo_u32 v11, s39, v10
	s_delay_alu instid0(VALU_DEP_1) | instskip(NEXT) | instid1(VALU_DEP_1)
	v_mul_hi_u32 v11, v10, v11
	v_dual_mov_b32 v12, v3 :: v_dual_add_nc_u32 v3, v10, v11
	s_delay_alu instid0(VALU_DEP_1) | instskip(NEXT) | instid1(VALU_DEP_1)
	v_mul_hi_u32 v3, v12, v3
	v_mul_lo_u32 v10, v3, s37
	v_add_nc_u32_e32 v11, 1, v3
	s_delay_alu instid0(VALU_DEP_2) | instskip(NEXT) | instid1(VALU_DEP_1)
	v_sub_nc_u32_e32 v10, v12, v10
	v_subrev_nc_u32_e32 v13, s37, v10
	v_cmp_le_u32_e32 vcc_lo, s37, v10
	s_delay_alu instid0(VALU_DEP_2) | instskip(NEXT) | instid1(VALU_DEP_1)
	v_dual_cndmask_b32 v3, v3, v11 :: v_dual_cndmask_b32 v10, v10, v13
	v_add_nc_u32_e32 v11, 1, v3
	s_delay_alu instid0(VALU_DEP_2) | instskip(NEXT) | instid1(VALU_DEP_2)
	v_cmp_le_u32_e32 vcc_lo, s37, v10
	v_cndmask_b32_e32 v3, v3, v11, vcc_lo
	s_delay_alu instid0(VALU_DEP_1) | instskip(NEXT) | instid1(VALU_DEP_1)
	v_mul_lo_u32 v10, v3, s37
	v_sub_nc_u32_e32 v12, v12, v10
	s_delay_alu instid0(VALU_DEP_1) | instskip(NEXT) | instid1(VALU_DEP_1)
	v_mad_u64_u32 v[10:11], null, s38, v12, v[0:1]
	v_mov_b32_e32 v0, v10
	s_cbranch_scc1 .LBB105_21
.LBB105_22:                             ;   in Loop: Header=BB105_3 Depth=1
	s_set_inst_prefetch_distance 0x2
	s_delay_alu instid0(VALU_DEP_1)
	v_mad_u64_u32 v[12:13], null, s22, v3, v[0:1]
	v_mov_b32_e32 v13, v4
.LBB105_23:                             ;   in Loop: Header=BB105_3 Depth=1
	s_or_b32 exec_lo, exec_lo, s35
	v_mul_lo_u32 v0, v29, s21
	s_delay_alu instid0(VALU_DEP_1) | instskip(SKIP_1) | instid1(VALU_DEP_2)
	v_add_nc_u32_e32 v14, s21, v0
	v_cndmask_b32_e64 v3, 0, v0, s0
	v_add_nc_u32_e32 v0, s21, v14
	s_delay_alu instid0(VALU_DEP_2) | instskip(SKIP_1) | instid1(VALU_DEP_3)
	v_lshlrev_b64 v[10:11], 2, v[3:4]
	v_cndmask_b32_e64 v3, 0, v14, s1
	v_add_nc_u32_e32 v18, s21, v0
	s_delay_alu instid0(VALU_DEP_2) | instskip(SKIP_3) | instid1(VALU_DEP_3)
	v_lshlrev_b64 v[14:15], 2, v[3:4]
	v_cndmask_b32_e64 v3, 0, v0, s2
	v_add_co_u32 v10, vcc_lo, s8, v10
	v_add_co_ci_u32_e32 v11, vcc_lo, s9, v11, vcc_lo
	v_lshlrev_b64 v[16:17], 2, v[3:4]
	v_cndmask_b32_e64 v3, 0, v18, s3
	v_add_co_u32 v14, vcc_lo, s8, v14
	v_add_co_ci_u32_e32 v15, vcc_lo, s9, v15, vcc_lo
	s_delay_alu instid0(VALU_DEP_3) | instskip(SKIP_2) | instid1(VALU_DEP_3)
	v_lshlrev_b64 v[18:19], 2, v[3:4]
	v_add_co_u32 v16, vcc_lo, s8, v16
	v_add_co_ci_u32_e32 v17, vcc_lo, s9, v17, vcc_lo
	v_add_co_u32 v18, vcc_lo, s8, v18
	s_delay_alu instid0(VALU_DEP_4)
	v_add_co_ci_u32_e32 v19, vcc_lo, s9, v19, vcc_lo
	s_clause 0x3
	global_load_b32 v0, v[10:11], off
	global_load_b32 v3, v[14:15], off
	;; [unrolled: 1-line block ×4, first 2 shown]
	v_mov_b32_e32 v19, s5
	v_dual_mov_b32 v17, s7 :: v_dual_mov_b32 v16, s6
	v_mov_b32_e32 v18, s4
	s_and_not1_b32 vcc_lo, exec_lo, s24
	s_cbranch_vccnz .LBB105_25
; %bb.24:                               ;   in Loop: Header=BB105_3 Depth=1
	v_dual_mov_b32 v11, s7 :: v_dual_mov_b32 v10, s6
	v_dual_mov_b32 v15, s5 :: v_dual_mov_b32 v14, s4
	flat_load_b64 v[10:11], v[10:11]
	flat_load_b64 v[18:19], v[14:15]
	s_waitcnt vmcnt(1) lgkmcnt(1)
	v_add_co_u32 v16, vcc_lo, v10, s10
	v_add_co_ci_u32_e32 v17, vcc_lo, s11, v11, vcc_lo
.LBB105_25:                             ;   in Loop: Header=BB105_3 Depth=1
	s_delay_alu instid0(VALU_DEP_1)
	v_alignbit_b32 v20, v17, v16, 2
	v_lshrrev_b32_e32 v14, 2, v17
	s_waitcnt vmcnt(0) lgkmcnt(0)
	v_add_nc_u32_e32 v35, 0xbb67ae85, v19
	v_add_nc_u32_e32 v36, 0x3c6ef372, v18
	;; [unrolled: 1-line block ×3, first 2 shown]
	v_add_co_u32 v15, vcc_lo, v20, 1
	s_delay_alu instid0(VALU_DEP_1) | instskip(SKIP_4) | instid1(VALU_DEP_4)
	v_cndmask_b32_e64 v10, 0, 1, vcc_lo
	v_add_co_ci_u32_e32 v17, vcc_lo, 0, v14, vcc_lo
	v_xor3_b32 v22, v30, v18, v14
	v_add_nc_u32_e32 v39, 0xed9eba14, v19
	v_add_nc_u32_e32 v40, 0x1fd5c5a3, v19
	v_cmp_eq_u32_e32 vcc_lo, 0, v17
	s_mov_b32 s0, exec_lo
	v_dual_cndmask_b32 v21, 0, v10 :: v_dual_add_nc_u32 v38, 0x32370b8f, v19
	v_mad_u64_u32 v[10:11], null, 0xd2511f53, v15, 0
	v_mad_u64_u32 v[14:15], null, 0xd2511f53, v20, 0
	s_delay_alu instid0(VALU_DEP_3) | instskip(NEXT) | instid1(VALU_DEP_3)
	v_add_nc_u32_e32 v24, v21, v1
	v_xor_b32_e32 v11, v11, v19
	s_delay_alu instid0(VALU_DEP_2) | instskip(SKIP_1) | instid1(VALU_DEP_1)
	v_cmp_eq_u32_e32 vcc_lo, 0, v24
	v_dual_cndmask_b32 v21, 0, v21 :: v_dual_add_nc_u32 v34, 0x9e3779b9, v18
	v_xor_b32_e32 v11, v21, v11
	v_mad_u64_u32 v[20:21], null, 0xd2511f53, v22, 0
	v_mad_u64_u32 v[22:23], null, 0xcd9e8d57, v24, 0
	s_delay_alu instid0(VALU_DEP_3) | instskip(SKIP_1) | instid1(VALU_DEP_4)
	v_mad_u64_u32 v[24:25], null, 0xcd9e8d57, v11, 0
	v_xor_b32_e32 v11, v15, v19
	v_xor3_b32 v26, v35, v21, v14
	s_delay_alu instid0(VALU_DEP_2) | instskip(SKIP_2) | instid1(VALU_DEP_4)
	v_mad_u64_u32 v[14:15], null, 0xcd9e8d57, v11, 0
	v_xor3_b32 v11, v23, v18, v17
	v_xor3_b32 v17, v34, v25, v22
	v_mad_u64_u32 v[21:22], null, 0xcd9e8d57, v26, 0
	s_delay_alu instid0(VALU_DEP_3) | instskip(NEXT) | instid1(VALU_DEP_3)
	v_mad_u64_u32 v[25:26], null, 0xd2511f53, v11, 0
	v_mad_u64_u32 v[27:28], null, 0xd2511f53, v17, 0
	v_xor3_b32 v11, v2, v15, v34
	s_delay_alu instid0(VALU_DEP_4) | instskip(SKIP_2) | instid1(VALU_DEP_4)
	v_xor3_b32 v22, v36, v22, v14
	v_add_nc_u32_e32 v17, 0xdaa66d2b, v18
	v_xor3_b32 v26, v35, v26, v10
	v_mad_u64_u32 v[14:15], null, 0xd2511f53, v11, 0
	v_xor3_b32 v28, v37, v28, v25
	v_mad_u64_u32 v[10:11], null, 0xd2511f53, v22, 0
	s_delay_alu instid0(VALU_DEP_4) | instskip(NEXT) | instid1(VALU_DEP_3)
	v_mad_u64_u32 v[22:23], null, 0xcd9e8d57, v26, 0
	v_mad_u64_u32 v[25:26], null, 0xcd9e8d57, v28, 0
	v_xor3_b32 v20, v37, v15, v20
	v_add_nc_u32_e32 v28, 0x78dde6e4, v18
	v_xor3_b32 v11, v38, v11, v14
	s_delay_alu instid0(VALU_DEP_3) | instskip(SKIP_2) | instid1(VALU_DEP_4)
	v_mad_u64_u32 v[14:15], null, 0xcd9e8d57, v20, 0
	v_xor3_b32 v20, v36, v23, v24
	v_xor3_b32 v24, v17, v26, v22
	v_mad_u64_u32 v[22:23], null, 0xcd9e8d57, v11, 0
	s_delay_alu instid0(VALU_DEP_3) | instskip(NEXT) | instid1(VALU_DEP_3)
	v_mad_u64_u32 v[34:35], null, 0xd2511f53, v20, 0
	v_mad_u64_u32 v[36:37], null, 0xd2511f53, v24, 0
	v_xor3_b32 v11, v17, v15, v21
	s_delay_alu instid0(VALU_DEP_4) | instskip(SKIP_2) | instid1(VALU_DEP_4)
	v_xor3_b32 v20, v28, v23, v14
	v_add_nc_u32_e32 v17, 0x1715609d, v18
	v_add_nc_u32_e32 v24, 0xa9066899, v19
	v_mad_u64_u32 v[14:15], null, 0xd2511f53, v11, 0
	v_xor3_b32 v11, v38, v35, v27
	v_xor3_b32 v23, v39, v37, v34
	v_mad_u64_u32 v[26:27], null, 0xd2511f53, v20, 0
	v_add_nc_u32_e32 v35, 0xb54cda56, v18
	s_delay_alu instid0(VALU_DEP_4) | instskip(NEXT) | instid1(VALU_DEP_4)
	v_mad_u64_u32 v[20:21], null, 0xcd9e8d57, v11, 0
	v_mad_u64_u32 v[37:38], null, 0xcd9e8d57, v23, 0
	v_xor3_b32 v15, v39, v15, v10
	v_xor3_b32 v23, v24, v27, v14
	v_add_nc_u32_e32 v34, 0x646e171e, v19
	v_xor3_b32 v25, v28, v21, v25
	s_delay_alu instid0(VALU_DEP_4) | instskip(SKIP_2) | instid1(VALU_DEP_4)
	v_mad_u64_u32 v[10:11], null, 0xcd9e8d57, v15, 0
	v_xor3_b32 v27, v17, v38, v20
	v_mad_u64_u32 v[14:15], null, 0xcd9e8d57, v23, 0
	v_mad_u64_u32 v[20:21], null, 0xd2511f53, v25, 0
	s_delay_alu instid0(VALU_DEP_3) | instskip(SKIP_3) | instid1(VALU_DEP_3)
	v_mad_u64_u32 v[38:39], null, 0xd2511f53, v27, 0
	v_xor3_b32 v17, v17, v11, v22
	v_add_nc_u32_e32 v25, 0x5384540f, v18
	v_xor3_b32 v15, v35, v15, v10
	v_mad_u64_u32 v[10:11], null, 0xd2511f53, v17, 0
	v_xor3_b32 v17, v24, v21, v36
	v_xor3_b32 v22, v34, v39, v20
	s_delay_alu instid0(VALU_DEP_4) | instskip(NEXT) | instid1(VALU_DEP_3)
	v_mad_u64_u32 v[20:21], null, 0xd2511f53, v15, 0
	v_mad_u64_u32 v[27:28], null, 0xcd9e8d57, v17, 0
	s_delay_alu instid0(VALU_DEP_3) | instskip(SKIP_1) | instid1(VALU_DEP_4)
	v_mad_u64_u32 v[23:24], null, 0xcd9e8d57, v22, 0
	v_xor3_b32 v15, v34, v11, v26
	v_xor3_b32 v17, v40, v21, v10
	v_add_co_u32 v34, null, 0xf1bbcdc8, v18
	s_delay_alu instid0(VALU_DEP_3) | instskip(SKIP_4) | instid1(VALU_DEP_4)
	v_mad_u64_u32 v[10:11], null, 0xcd9e8d57, v15, 0
	v_xor3_b32 v15, v35, v28, v37
	v_xor3_b32 v24, v25, v24, v27
	v_mad_u64_u32 v[21:22], null, 0xcd9e8d57, v17, 0
	v_add_nc_u32_e32 v35, 0xdb3d7428, v19
	v_mad_u64_u32 v[36:37], null, 0xd2511f53, v15, 0
	s_delay_alu instid0(VALU_DEP_4) | instskip(SKIP_4) | instid1(VALU_DEP_4)
	v_mad_u64_u32 v[26:27], null, 0xd2511f53, v24, 0
	v_xor3_b32 v11, v25, v11, v14
	v_xor3_b32 v14, v34, v22, v10
	v_add_nc_u32_e32 v22, 0x8ff34781, v18
	v_xor3_b32 v15, v40, v37, v38
	v_mad_u64_u32 v[24:25], null, 0xd2511f53, v11, 0
	v_xor3_b32 v17, v35, v27, v36
	v_mad_u64_u32 v[10:11], null, 0xd2511f53, v14, 0
	s_delay_alu instid0(VALU_DEP_4) | instskip(NEXT) | instid1(VALU_DEP_3)
	v_mad_u64_u32 v[27:28], null, 0xcd9e8d57, v15, 0
	v_mad_u64_u32 v[14:15], null, 0xcd9e8d57, v17, 0
	v_add_nc_u32_e32 v36, 0x96a522ad, v19
	v_and_b32_e32 v19, 3, v16
                                        ; implicit-def: $vgpr17
	s_delay_alu instid0(VALU_DEP_2) | instskip(NEXT) | instid1(VALU_DEP_4)
	v_xor3_b32 v18, v11, v24, v36
	v_xor3_b32 v11, v15, v27, v22
	s_delay_alu instid0(VALU_DEP_3)
	v_cmpx_lt_i32_e32 1, v19
	s_xor_b32 s0, exec_lo, s0
	s_cbranch_execz .LBB105_31
; %bb.26:                               ;   in Loop: Header=BB105_3 Depth=1
	s_mov_b32 s1, exec_lo
                                        ; implicit-def: $vgpr17
	v_cmpx_lt_i32_e32 2, v19
	s_xor_b32 s1, exec_lo, s1
; %bb.27:                               ;   in Loop: Header=BB105_3 Depth=1
	v_xor3_b32 v15, v34, v28, v23
                                        ; implicit-def: $vgpr18
	s_delay_alu instid0(VALU_DEP_1) | instskip(NEXT) | instid1(VALU_DEP_1)
	v_mul_hi_u32 v15, 0xd2511f53, v15
	v_xor3_b32 v17, v15, v26, v36
; %bb.28:                               ;   in Loop: Header=BB105_3 Depth=1
	s_and_not1_saveexec_b32 s1, s1
; %bb.29:                               ;   in Loop: Header=BB105_3 Depth=1
	v_dual_mov_b32 v17, v14 :: v_dual_mov_b32 v14, v11
	v_mov_b32_e32 v11, v10
	v_mov_b32_e32 v10, v18
; %bb.30:                               ;   in Loop: Header=BB105_3 Depth=1
	s_or_b32 exec_lo, exec_lo, s1
                                        ; implicit-def: $vgpr20_vgpr21
                                        ; implicit-def: $vgpr19
                                        ; implicit-def: $vgpr18
                                        ; implicit-def: $vgpr35
                                        ; implicit-def: $vgpr24_vgpr25
                                        ; implicit-def: $vgpr21_vgpr22
                                        ; implicit-def: $vgpr22
.LBB105_31:                             ;   in Loop: Header=BB105_3 Depth=1
	s_and_not1_saveexec_b32 s0, s0
	s_cbranch_execz .LBB105_35
; %bb.32:                               ;   in Loop: Header=BB105_3 Depth=1
	v_xor3_b32 v14, v35, v25, v20
	v_cmp_eq_u32_e32 vcc_lo, 1, v19
	s_delay_alu instid0(VALU_DEP_2) | instskip(SKIP_2) | instid1(VALU_DEP_3)
	v_mad_u64_u32 v[15:16], null, 0xcd9e8d57, v14, 0
	v_mov_b32_e32 v17, v10
	v_mov_b32_e32 v14, v18
	v_xor3_b32 v19, v16, v21, v22
	s_delay_alu instid0(VALU_DEP_4)
	v_mov_b32_e32 v16, v15
	s_and_saveexec_b32 s1, vcc_lo
; %bb.33:                               ;   in Loop: Header=BB105_3 Depth=1
	v_dual_mov_b32 v17, v11 :: v_dual_mov_b32 v14, v10
	v_dual_mov_b32 v16, v18 :: v_dual_mov_b32 v19, v15
; %bb.34:                               ;   in Loop: Header=BB105_3 Depth=1
	s_or_b32 exec_lo, exec_lo, s1
	s_delay_alu instid0(VALU_DEP_1)
	v_dual_mov_b32 v10, v19 :: v_dual_mov_b32 v11, v16
.LBB105_35:                             ;   in Loop: Header=BB105_3 Depth=1
	s_or_b32 exec_lo, exec_lo, s0
	v_min_i32_e32 v15, 4, v31
	s_mov_b32 s1, 0
	s_mov_b32 s36, 0
	;; [unrolled: 1-line block ×3, first 2 shown]
                                        ; implicit-def: $sgpr3
                                        ; implicit-def: $sgpr18
                                        ; implicit-def: $sgpr19
	s_mov_b32 s0, exec_lo
	v_cmpx_lt_i32_e32 2, v15
	s_xor_b32 s35, exec_lo, s0
	s_cbranch_execz .LBB105_47
; %bb.36:                               ;   in Loop: Header=BB105_3 Depth=1
	s_mov_b32 s0, -1
	s_mov_b32 s37, 0
	s_mov_b32 s18, exec_lo
                                        ; implicit-def: $sgpr2
                                        ; implicit-def: $sgpr3
	v_cmpx_lt_i32_e32 3, v15
	s_cbranch_execz .LBB105_42
; %bb.37:                               ;   in Loop: Header=BB105_3 Depth=1
	s_mov_b32 s0, 0
	s_mov_b32 s37, -1
	s_mov_b32 s19, exec_lo
                                        ; implicit-def: $sgpr2
                                        ; implicit-def: $sgpr3
	v_cmpx_eq_u32_e32 4, v15
	s_cbranch_execz .LBB105_41
; %bb.38:                               ;   in Loop: Header=BB105_3 Depth=1
	v_cmp_le_f32_e32 vcc_lo, 0, v33
	v_cmp_ge_f32_e64 s0, 1.0, v33
	s_mov_b32 s2, 0
	s_delay_alu instid0(VALU_DEP_1)
	s_and_b32 s37, vcc_lo, s0
	s_mov_b32 s0, 0
	s_and_saveexec_b32 s3, s37
	s_cbranch_execz .LBB105_40
; %bb.39:                               ;   in Loop: Header=BB105_3 Depth=1
	v_cvt_f32_u32_e32 v16, v17
	v_lshlrev_b64 v[12:13], 1, v[12:13]
	s_mov_b32 s0, exec_lo
	s_delay_alu instid0(VALU_DEP_2) | instskip(NEXT) | instid1(VALU_DEP_2)
	v_fmaak_f32 v16, 0x2f800000, v16, 0x2f800000
	v_add_co_u32 v12, vcc_lo, s12, v12
	s_delay_alu instid0(VALU_DEP_3) | instskip(NEXT) | instid1(VALU_DEP_3)
	v_add_co_ci_u32_e32 v13, vcc_lo, s13, v13, vcc_lo
	v_cmp_le_f32_e32 vcc_lo, v16, v33
	v_cndmask_b32_e64 v16, 0, 1.0, vcc_lo
	global_store_d16_hi_b16 v[12:13], v16, off
.LBB105_40:                             ;   in Loop: Header=BB105_3 Depth=1
	s_or_b32 exec_lo, exec_lo, s3
	s_mov_b32 s3, -1
	s_xor_b32 s37, exec_lo, -1
	s_and_b32 s0, s0, exec_lo
.LBB105_41:                             ;   in Loop: Header=BB105_3 Depth=1
	s_or_b32 exec_lo, exec_lo, s19
	s_delay_alu instid0(SALU_CYCLE_1)
	s_and_b32 s37, s37, exec_lo
	s_or_not1_b32 s0, s0, exec_lo
.LBB105_42:                             ;   in Loop: Header=BB105_3 Depth=1
	s_or_b32 exec_lo, exec_lo, s18
	s_mov_b32 s19, s2
	s_and_saveexec_b32 s18, s0
	s_cbranch_execz .LBB105_46
; %bb.43:                               ;   in Loop: Header=BB105_3 Depth=1
	v_cmp_le_f32_e32 vcc_lo, 0, v32
	v_cmp_ge_f32_e64 s0, 1.0, v32
	s_delay_alu instid0(VALU_DEP_1) | instskip(SKIP_2) | instid1(SALU_CYCLE_1)
	s_and_b32 s19, vcc_lo, s0
	s_mov_b32 s0, 0
	s_and_saveexec_b32 s36, s19
	s_xor_b32 s19, exec_lo, s36
	s_cbranch_execz .LBB105_45
; %bb.44:                               ;   in Loop: Header=BB105_3 Depth=1
	v_cvt_f32_u32_e32 v12, v14
	v_lshlrev_b64 v[8:9], 1, v[8:9]
	s_mov_b32 s0, exec_lo
	s_delay_alu instid0(VALU_DEP_2) | instskip(NEXT) | instid1(VALU_DEP_2)
	v_fmaak_f32 v12, 0x2f800000, v12, 0x2f800000
	v_add_co_u32 v8, vcc_lo, s12, v8
	s_delay_alu instid0(VALU_DEP_3) | instskip(NEXT) | instid1(VALU_DEP_3)
	v_add_co_ci_u32_e32 v9, vcc_lo, s13, v9, vcc_lo
	v_cmp_le_f32_e32 vcc_lo, v12, v32
	v_cndmask_b32_e64 v12, 0, 1.0, vcc_lo
	global_store_d16_hi_b16 v[8:9], v12, off
.LBB105_45:                             ;   in Loop: Header=BB105_3 Depth=1
	s_or_b32 exec_lo, exec_lo, s19
	s_delay_alu instid0(SALU_CYCLE_1)
	s_and_not1_b32 s19, s2, exec_lo
	s_or_b32 s2, s2, exec_lo
	s_and_not1_b32 s3, s3, exec_lo
	s_and_b32 s36, s0, exec_lo
.LBB105_46:                             ;   in Loop: Header=BB105_3 Depth=1
	s_or_b32 exec_lo, exec_lo, s18
	s_delay_alu instid0(SALU_CYCLE_1)
	s_and_b32 s19, s19, exec_lo
	s_and_b32 s18, s2, exec_lo
	;; [unrolled: 1-line block ×5, first 2 shown]
.LBB105_47:                             ;   in Loop: Header=BB105_3 Depth=1
	s_and_not1_saveexec_b32 s0, s35
; %bb.48:                               ;   in Loop: Header=BB105_3 Depth=1
	v_cmp_lt_i32_e32 vcc_lo, 1, v15
	s_and_not1_b32 s35, s36, exec_lo
	s_mov_b32 s1, exec_lo
	s_and_not1_b32 s19, s19, exec_lo
	s_and_not1_b32 s18, s18, exec_lo
	s_and_b32 s36, vcc_lo, exec_lo
	s_and_not1_b32 s3, s3, exec_lo
	s_or_b32 s36, s35, s36
; %bb.49:                               ;   in Loop: Header=BB105_3 Depth=1
	s_or_b32 exec_lo, exec_lo, s0
	s_mov_b32 s0, 0
	s_mov_b32 s35, s19
	s_and_saveexec_b32 s37, s36
	s_cbranch_execnz .LBB105_52
; %bb.50:                               ;   in Loop: Header=BB105_3 Depth=1
	s_or_b32 exec_lo, exec_lo, s37
	s_and_saveexec_b32 s36, s1
	s_cbranch_execnz .LBB105_55
.LBB105_51:                             ;   in Loop: Header=BB105_3 Depth=1
	s_or_b32 exec_lo, exec_lo, s36
	s_and_saveexec_b32 s1, s0
	s_cbranch_execnz .LBB105_56
	s_branch .LBB105_59
.LBB105_52:                             ;   in Loop: Header=BB105_3 Depth=1
	v_cmp_le_f32_e32 vcc_lo, 0, v3
	v_cmp_ge_f32_e64 s0, 1.0, v3
	s_delay_alu instid0(VALU_DEP_1) | instskip(SKIP_2) | instid1(SALU_CYCLE_1)
	s_and_b32 s35, vcc_lo, s0
	s_mov_b32 s0, 0
	s_and_saveexec_b32 s36, s35
	s_xor_b32 s35, exec_lo, s36
	s_cbranch_execz .LBB105_54
; %bb.53:                               ;   in Loop: Header=BB105_3 Depth=1
	v_cvt_f32_u32_e32 v8, v11
	v_lshlrev_b64 v[6:7], 1, v[6:7]
	s_mov_b32 s0, exec_lo
	s_delay_alu instid0(VALU_DEP_2) | instskip(NEXT) | instid1(VALU_DEP_2)
	v_fmaak_f32 v8, 0x2f800000, v8, 0x2f800000
	v_add_co_u32 v6, vcc_lo, s12, v6
	s_delay_alu instid0(VALU_DEP_3) | instskip(NEXT) | instid1(VALU_DEP_3)
	v_add_co_ci_u32_e32 v7, vcc_lo, s13, v7, vcc_lo
	v_cmp_le_f32_e32 vcc_lo, v8, v3
	v_cndmask_b32_e64 v3, 0, 1.0, vcc_lo
	global_store_d16_hi_b16 v[6:7], v3, off
.LBB105_54:                             ;   in Loop: Header=BB105_3 Depth=1
	s_or_b32 exec_lo, exec_lo, s35
	s_delay_alu instid0(SALU_CYCLE_1)
	s_and_not1_b32 s35, s19, exec_lo
	s_or_b32 s19, s19, exec_lo
	s_and_not1_b32 s18, s18, exec_lo
	s_and_not1_b32 s3, s3, exec_lo
	s_and_b32 s0, s0, exec_lo
	s_and_not1_b32 s1, s1, exec_lo
	s_or_b32 exec_lo, exec_lo, s37
	s_and_saveexec_b32 s36, s1
	s_cbranch_execz .LBB105_51
.LBB105_55:                             ;   in Loop: Header=BB105_3 Depth=1
	v_cmp_eq_u32_e32 vcc_lo, 1, v15
	s_and_not1_b32 s0, s0, exec_lo
	s_and_not1_b32 s35, s35, exec_lo
	;; [unrolled: 1-line block ×4, first 2 shown]
	s_and_b32 s1, vcc_lo, exec_lo
	s_and_not1_b32 s3, s3, exec_lo
	s_or_b32 s2, s2, exec_lo
	s_or_b32 s0, s0, s1
	s_or_b32 exec_lo, exec_lo, s36
	s_and_saveexec_b32 s1, s0
	s_cbranch_execz .LBB105_59
.LBB105_56:                             ;   in Loop: Header=BB105_3 Depth=1
	v_cmp_le_f32_e32 vcc_lo, 0, v0
	v_cmp_ge_f32_e64 s0, 1.0, v0
	s_delay_alu instid0(VALU_DEP_1)
	s_and_b32 s37, vcc_lo, s0
	s_mov_b32 s0, 0
	s_and_saveexec_b32 s36, s37
	s_cbranch_execz .LBB105_58
; %bb.57:                               ;   in Loop: Header=BB105_3 Depth=1
	v_cvt_f32_u32_e32 v3, v10
	v_mov_b32_e32 v6, v4
	s_mov_b32 s0, exec_lo
	s_delay_alu instid0(VALU_DEP_2) | instskip(NEXT) | instid1(VALU_DEP_2)
	v_fmaak_f32 v3, 0x2f800000, v3, 0x2f800000
	v_lshlrev_b64 v[5:6], 1, v[5:6]
	s_delay_alu instid0(VALU_DEP_1) | instskip(NEXT) | instid1(VALU_DEP_2)
	v_add_co_u32 v5, vcc_lo, s12, v5
	v_add_co_ci_u32_e32 v6, vcc_lo, s13, v6, vcc_lo
	s_delay_alu instid0(VALU_DEP_4)
	v_cmp_le_f32_e32 vcc_lo, v3, v0
	v_cndmask_b32_e64 v0, 0, 1.0, vcc_lo
	global_store_d16_hi_b16 v[5:6], v0, off
.LBB105_58:                             ;   in Loop: Header=BB105_3 Depth=1
	s_or_b32 exec_lo, exec_lo, s36
	s_delay_alu instid0(SALU_CYCLE_1)
	s_and_not1_b32 s2, s2, exec_lo
	s_and_b32 s0, s0, exec_lo
	s_or_b32 s35, s35, exec_lo
	s_and_not1_b32 s19, s19, exec_lo
	s_and_not1_b32 s18, s18, exec_lo
	s_and_not1_b32 s3, s3, exec_lo
	s_or_b32 s2, s2, s0
.LBB105_59:                             ;   in Loop: Header=BB105_3 Depth=1
	s_or_b32 exec_lo, exec_lo, s1
	s_delay_alu instid0(SALU_CYCLE_1)
	s_and_not1_b32 s1, s34, exec_lo
	s_and_b32 s34, s35, exec_lo
	s_and_not1_b32 s31, s31, exec_lo
	s_and_b32 s19, s19, exec_lo
	s_or_b32 s34, s1, s34
	s_or_b32 s31, s31, s19
	s_and_not1_b32 s1, s33, exec_lo
	s_and_b32 s18, s18, exec_lo
	s_and_not1_b32 s19, s30, exec_lo
	s_and_b32 s3, s3, exec_lo
	s_mov_b32 s0, -1
	s_or_b32 s33, s1, s18
	s_or_b32 s30, s19, s3
	s_and_saveexec_b32 s1, s2
	s_cbranch_execz .LBB105_2
; %bb.60:                               ;   in Loop: Header=BB105_3 Depth=1
	v_add_nc_u32_e32 v29, s25, v29
	s_and_not1_b32 s34, s34, exec_lo
	s_and_not1_b32 s31, s31, exec_lo
	s_and_not1_b32 s33, s33, exec_lo
	s_and_not1_b32 s30, s30, exec_lo
	v_cmp_le_u32_e32 vcc_lo, s20, v29
	s_or_not1_b32 s0, vcc_lo, exec_lo
	s_branch .LBB105_2
.LBB105_61:
	s_or_b32 exec_lo, exec_lo, s15
	s_xor_b32 s3, s28, -1
	s_xor_b32 s4, s29, -1
	;; [unrolled: 1-line block ×3, first 2 shown]
	s_mov_b32 s1, 0
	s_and_saveexec_b32 s2, s0
	s_delay_alu instid0(SALU_CYCLE_1)
	s_xor_b32 s0, exec_lo, s2
	s_cbranch_execz .LBB105_70
; %bb.62:
	s_mov_b32 s2, 0
	s_and_saveexec_b32 s1, s4
	s_delay_alu instid0(SALU_CYCLE_1)
	s_xor_b32 s1, exec_lo, s1
	s_cbranch_execz .LBB105_68
; %bb.63:
	s_and_saveexec_b32 s4, s3
	s_delay_alu instid0(SALU_CYCLE_1)
	s_xor_b32 s3, exec_lo, s4
	s_cbranch_execz .LBB105_66
; %bb.64:
	s_and_saveexec_b32 s4, s14
	s_delay_alu instid0(SALU_CYCLE_1)
	s_xor_b32 s4, exec_lo, s4
	s_cbranch_execnz .LBB105_84
.LBB105_65:
	s_or_b32 exec_lo, exec_lo, s4
	s_delay_alu instid0(SALU_CYCLE_1)
	s_and_b32 s2, s2, exec_lo
.LBB105_66:
	s_and_not1_saveexec_b32 s3, s3
	s_cbranch_execnz .LBB105_80
.LBB105_67:
	s_or_b32 exec_lo, exec_lo, s3
	s_delay_alu instid0(SALU_CYCLE_1)
	s_and_b32 s2, s2, exec_lo
.LBB105_68:
	s_and_not1_saveexec_b32 s1, s1
	s_cbranch_execnz .LBB105_76
.LBB105_69:
	s_or_b32 exec_lo, exec_lo, s1
	s_delay_alu instid0(SALU_CYCLE_1)
	s_and_b32 s1, s2, exec_lo
.LBB105_70:
	s_and_not1_saveexec_b32 s0, s0
	s_cbranch_execnz .LBB105_74
; %bb.71:
	s_or_b32 exec_lo, exec_lo, s0
	s_delay_alu instid0(SALU_CYCLE_1)
	s_and_b32 exec_lo, exec_lo, s1
.LBB105_72:
	; divergent unreachable
.LBB105_73:
	s_nop 0
	s_sendmsg sendmsg(MSG_DEALLOC_VGPRS)
	s_endpgm
.LBB105_74:
	s_cbranch_execnz .LBB105_78
; %bb.75:
	s_or_b32 s1, s1, exec_lo
	s_or_b32 exec_lo, exec_lo, s0
	s_delay_alu instid0(SALU_CYCLE_1)
	s_and_b32 exec_lo, exec_lo, s1
	s_cbranch_execnz .LBB105_72
	s_branch .LBB105_73
.LBB105_76:
	s_cbranch_execnz .LBB105_82
; %bb.77:
	s_or_b32 s2, s2, exec_lo
	s_branch .LBB105_69
.LBB105_78:
	s_trap 2
	s_sendmsg_rtn_b32 s0, sendmsg(MSG_RTN_GET_DOORBELL)
	s_mov_b32 ttmp2, m0
	s_waitcnt lgkmcnt(0)
	s_and_b32 s0, s0, 0x3ff
	s_delay_alu instid0(SALU_CYCLE_1) | instskip(NEXT) | instid1(SALU_CYCLE_1)
	s_bitset1_b32 s0, 10
	s_mov_b32 m0, s0
	s_sendmsg sendmsg(MSG_INTERRUPT)
	s_mov_b32 m0, ttmp2
.LBB105_79:                             ; =>This Inner Loop Header: Depth=1
	s_sethalt 5
	s_branch .LBB105_79
.LBB105_80:
	s_cbranch_execnz .LBB105_86
; %bb.81:
	s_or_b32 s2, s2, exec_lo
	s_branch .LBB105_67
.LBB105_82:
	s_trap 2
	s_sendmsg_rtn_b32 s0, sendmsg(MSG_RTN_GET_DOORBELL)
	s_mov_b32 ttmp2, m0
	s_waitcnt lgkmcnt(0)
	s_and_b32 s0, s0, 0x3ff
	s_delay_alu instid0(SALU_CYCLE_1) | instskip(NEXT) | instid1(SALU_CYCLE_1)
	s_bitset1_b32 s0, 10
	s_mov_b32 m0, s0
	s_sendmsg sendmsg(MSG_INTERRUPT)
	s_mov_b32 m0, ttmp2
.LBB105_83:                             ; =>This Inner Loop Header: Depth=1
	s_sethalt 5
	s_branch .LBB105_83
.LBB105_84:
	s_cbranch_execnz .LBB105_88
; %bb.85:
	s_mov_b32 s2, exec_lo
	s_branch .LBB105_65
.LBB105_86:
	s_trap 2
	s_sendmsg_rtn_b32 s0, sendmsg(MSG_RTN_GET_DOORBELL)
	s_mov_b32 ttmp2, m0
	s_waitcnt lgkmcnt(0)
	s_and_b32 s0, s0, 0x3ff
	s_delay_alu instid0(SALU_CYCLE_1) | instskip(NEXT) | instid1(SALU_CYCLE_1)
	s_bitset1_b32 s0, 10
	s_mov_b32 m0, s0
	s_sendmsg sendmsg(MSG_INTERRUPT)
	s_mov_b32 m0, ttmp2
.LBB105_87:                             ; =>This Inner Loop Header: Depth=1
	s_sethalt 5
	s_branch .LBB105_87
.LBB105_88:
	s_trap 2
	s_sendmsg_rtn_b32 s0, sendmsg(MSG_RTN_GET_DOORBELL)
	s_mov_b32 ttmp2, m0
	s_waitcnt lgkmcnt(0)
	s_and_b32 s0, s0, 0x3ff
	s_delay_alu instid0(SALU_CYCLE_1) | instskip(NEXT) | instid1(SALU_CYCLE_1)
	s_bitset1_b32 s0, 10
	s_mov_b32 m0, s0
	s_sendmsg sendmsg(MSG_INTERRUPT)
	s_mov_b32 m0, ttmp2
.LBB105_89:                             ; =>This Inner Loop Header: Depth=1
	s_sethalt 5
	s_branch .LBB105_89
	.section	.rodata,"a",@progbits
	.p2align	6, 0x0
	.amdhsa_kernel _ZN2at4cuda12_GLOBAL__N_121kernelPointwiseApply2IZNS_6native9templates4cuda28bernoulli_tensor_cuda_kernelIN3c108BFloat16EfEEvRKNS_10TensorBaseESB_NS_15PhiloxCudaStateEEUliRS8_SD_SD_SD_RKfSF_SF_SF_E_S8_SE_jLin1ELi1ELi4ELi512ELi2EEEvNS0_6detail10TensorInfoIT0_T2_EENSI_IT1_SK_EESK_T_
		.amdhsa_group_segment_fixed_size 0
		.amdhsa_private_segment_fixed_size 0
		.amdhsa_kernarg_size 728
		.amdhsa_user_sgpr_count 15
		.amdhsa_user_sgpr_dispatch_ptr 0
		.amdhsa_user_sgpr_queue_ptr 0
		.amdhsa_user_sgpr_kernarg_segment_ptr 1
		.amdhsa_user_sgpr_dispatch_id 0
		.amdhsa_user_sgpr_private_segment_size 0
		.amdhsa_wavefront_size32 1
		.amdhsa_uses_dynamic_stack 0
		.amdhsa_enable_private_segment 0
		.amdhsa_system_sgpr_workgroup_id_x 1
		.amdhsa_system_sgpr_workgroup_id_y 0
		.amdhsa_system_sgpr_workgroup_id_z 0
		.amdhsa_system_sgpr_workgroup_info 0
		.amdhsa_system_vgpr_workitem_id 0
		.amdhsa_next_free_vgpr 41
		.amdhsa_next_free_sgpr 40
		.amdhsa_reserve_vcc 1
		.amdhsa_float_round_mode_32 0
		.amdhsa_float_round_mode_16_64 0
		.amdhsa_float_denorm_mode_32 3
		.amdhsa_float_denorm_mode_16_64 3
		.amdhsa_dx10_clamp 1
		.amdhsa_ieee_mode 1
		.amdhsa_fp16_overflow 0
		.amdhsa_workgroup_processor_mode 1
		.amdhsa_memory_ordered 1
		.amdhsa_forward_progress 0
		.amdhsa_shared_vgpr_count 0
		.amdhsa_exception_fp_ieee_invalid_op 0
		.amdhsa_exception_fp_denorm_src 0
		.amdhsa_exception_fp_ieee_div_zero 0
		.amdhsa_exception_fp_ieee_overflow 0
		.amdhsa_exception_fp_ieee_underflow 0
		.amdhsa_exception_fp_ieee_inexact 0
		.amdhsa_exception_int_div_zero 0
	.end_amdhsa_kernel
	.section	.text._ZN2at4cuda12_GLOBAL__N_121kernelPointwiseApply2IZNS_6native9templates4cuda28bernoulli_tensor_cuda_kernelIN3c108BFloat16EfEEvRKNS_10TensorBaseESB_NS_15PhiloxCudaStateEEUliRS8_SD_SD_SD_RKfSF_SF_SF_E_S8_SE_jLin1ELi1ELi4ELi512ELi2EEEvNS0_6detail10TensorInfoIT0_T2_EENSI_IT1_SK_EESK_T_,"axG",@progbits,_ZN2at4cuda12_GLOBAL__N_121kernelPointwiseApply2IZNS_6native9templates4cuda28bernoulli_tensor_cuda_kernelIN3c108BFloat16EfEEvRKNS_10TensorBaseESB_NS_15PhiloxCudaStateEEUliRS8_SD_SD_SD_RKfSF_SF_SF_E_S8_SE_jLin1ELi1ELi4ELi512ELi2EEEvNS0_6detail10TensorInfoIT0_T2_EENSI_IT1_SK_EESK_T_,comdat
.Lfunc_end105:
	.size	_ZN2at4cuda12_GLOBAL__N_121kernelPointwiseApply2IZNS_6native9templates4cuda28bernoulli_tensor_cuda_kernelIN3c108BFloat16EfEEvRKNS_10TensorBaseESB_NS_15PhiloxCudaStateEEUliRS8_SD_SD_SD_RKfSF_SF_SF_E_S8_SE_jLin1ELi1ELi4ELi512ELi2EEEvNS0_6detail10TensorInfoIT0_T2_EENSI_IT1_SK_EESK_T_, .Lfunc_end105-_ZN2at4cuda12_GLOBAL__N_121kernelPointwiseApply2IZNS_6native9templates4cuda28bernoulli_tensor_cuda_kernelIN3c108BFloat16EfEEvRKNS_10TensorBaseESB_NS_15PhiloxCudaStateEEUliRS8_SD_SD_SD_RKfSF_SF_SF_E_S8_SE_jLin1ELi1ELi4ELi512ELi2EEEvNS0_6detail10TensorInfoIT0_T2_EENSI_IT1_SK_EESK_T_
                                        ; -- End function
	.section	.AMDGPU.csdata,"",@progbits
; Kernel info:
; codeLenInByte = 4264
; NumSgprs: 42
; NumVgprs: 41
; ScratchSize: 0
; MemoryBound: 0
; FloatMode: 240
; IeeeMode: 1
; LDSByteSize: 0 bytes/workgroup (compile time only)
; SGPRBlocks: 5
; VGPRBlocks: 5
; NumSGPRsForWavesPerEU: 42
; NumVGPRsForWavesPerEU: 41
; Occupancy: 16
; WaveLimiterHint : 1
; COMPUTE_PGM_RSRC2:SCRATCH_EN: 0
; COMPUTE_PGM_RSRC2:USER_SGPR: 15
; COMPUTE_PGM_RSRC2:TRAP_HANDLER: 0
; COMPUTE_PGM_RSRC2:TGID_X_EN: 1
; COMPUTE_PGM_RSRC2:TGID_Y_EN: 0
; COMPUTE_PGM_RSRC2:TGID_Z_EN: 0
; COMPUTE_PGM_RSRC2:TIDIG_COMP_CNT: 0
	.section	.text._ZN2at4cuda12_GLOBAL__N_121kernelPointwiseApply2IZNS_6native9templates4cuda28bernoulli_tensor_cuda_kernelIN3c108BFloat16EfEEvRKNS_10TensorBaseESB_NS_15PhiloxCudaStateEEUliRS8_SD_SD_SD_RKfSF_SF_SF_E_S8_SE_jLin1ELi2ELi4ELi512ELi2EEEvNS0_6detail10TensorInfoIT0_T2_EENSI_IT1_SK_EESK_T_,"axG",@progbits,_ZN2at4cuda12_GLOBAL__N_121kernelPointwiseApply2IZNS_6native9templates4cuda28bernoulli_tensor_cuda_kernelIN3c108BFloat16EfEEvRKNS_10TensorBaseESB_NS_15PhiloxCudaStateEEUliRS8_SD_SD_SD_RKfSF_SF_SF_E_S8_SE_jLin1ELi2ELi4ELi512ELi2EEEvNS0_6detail10TensorInfoIT0_T2_EENSI_IT1_SK_EESK_T_,comdat
	.globl	_ZN2at4cuda12_GLOBAL__N_121kernelPointwiseApply2IZNS_6native9templates4cuda28bernoulli_tensor_cuda_kernelIN3c108BFloat16EfEEvRKNS_10TensorBaseESB_NS_15PhiloxCudaStateEEUliRS8_SD_SD_SD_RKfSF_SF_SF_E_S8_SE_jLin1ELi2ELi4ELi512ELi2EEEvNS0_6detail10TensorInfoIT0_T2_EENSI_IT1_SK_EESK_T_ ; -- Begin function _ZN2at4cuda12_GLOBAL__N_121kernelPointwiseApply2IZNS_6native9templates4cuda28bernoulli_tensor_cuda_kernelIN3c108BFloat16EfEEvRKNS_10TensorBaseESB_NS_15PhiloxCudaStateEEUliRS8_SD_SD_SD_RKfSF_SF_SF_E_S8_SE_jLin1ELi2ELi4ELi512ELi2EEEvNS0_6detail10TensorInfoIT0_T2_EENSI_IT1_SK_EESK_T_
	.p2align	8
	.type	_ZN2at4cuda12_GLOBAL__N_121kernelPointwiseApply2IZNS_6native9templates4cuda28bernoulli_tensor_cuda_kernelIN3c108BFloat16EfEEvRKNS_10TensorBaseESB_NS_15PhiloxCudaStateEEUliRS8_SD_SD_SD_RKfSF_SF_SF_E_S8_SE_jLin1ELi2ELi4ELi512ELi2EEEvNS0_6detail10TensorInfoIT0_T2_EENSI_IT1_SK_EESK_T_,@function
_ZN2at4cuda12_GLOBAL__N_121kernelPointwiseApply2IZNS_6native9templates4cuda28bernoulli_tensor_cuda_kernelIN3c108BFloat16EfEEvRKNS_10TensorBaseESB_NS_15PhiloxCudaStateEEUliRS8_SD_SD_SD_RKfSF_SF_SF_E_S8_SE_jLin1ELi2ELi4ELi512ELi2EEEvNS0_6detail10TensorInfoIT0_T2_EENSI_IT1_SK_EESK_T_: ; @_ZN2at4cuda12_GLOBAL__N_121kernelPointwiseApply2IZNS_6native9templates4cuda28bernoulli_tensor_cuda_kernelIN3c108BFloat16EfEEvRKNS_10TensorBaseESB_NS_15PhiloxCudaStateEEUliRS8_SD_SD_SD_RKfSF_SF_SF_E_S8_SE_jLin1ELi2ELi4ELi512ELi2EEEvNS0_6detail10TensorInfoIT0_T2_EENSI_IT1_SK_EESK_T_
; %bb.0:
	s_clause 0x1
	s_load_b32 s2, s[0:1], 0x1e4
	s_load_b32 s20, s[0:1], 0x1b0
	s_add_u32 s4, s0, 0x1d8
	s_addc_u32 s5, s1, 0
	s_waitcnt lgkmcnt(0)
	s_and_b32 s12, s2, 0xffff
	s_mov_b32 s2, exec_lo
	v_mad_u64_u32 v[1:2], null, s15, s12, v[0:1]
	s_delay_alu instid0(VALU_DEP_1) | instskip(NEXT) | instid1(VALU_DEP_1)
	v_lshlrev_b32_e32 v28, 2, v1
	v_cmpx_gt_u32_e64 s20, v28
	s_cbranch_execz .LBB106_81
; %bb.1:
	s_clause 0x3
	s_load_b32 s21, s[0:1], 0xe4
	s_load_b32 s18, s[0:1], 0xd0
	s_load_b64 s[2:3], s[0:1], 0x144
	s_load_b32 s6, s[0:1], 0x1d0
	v_mad_u64_u32 v[2:3], null, 0xcd9e8d57, v1, 0
	s_load_b32 s16, s[4:5], 0x0
	s_clause 0x2
	s_load_b32 s22, s[0:1], 0x6c
	s_load_b64 s[8:9], s[0:1], 0xd8
	s_load_b64 s[14:15], s[0:1], 0x0
	v_mov_b32_e32 v4, 0
                                        ; implicit-def: $sgpr26
                                        ; implicit-def: $sgpr28
                                        ; implicit-def: $sgpr27
                                        ; implicit-def: $sgpr29
                                        ; implicit-def: $sgpr31
                                        ; implicit-def: $sgpr30
                                        ; implicit-def: $sgpr33
	s_delay_alu instid0(VALU_DEP_2)
	v_mov_b32_e32 v29, v3
	s_waitcnt lgkmcnt(0)
	v_cvt_f32_u32_e32 v0, s21
	s_cmp_gt_i32 s18, 1
	s_cselect_b32 s23, -1, 0
	s_bitcmp1_b32 s6, 0
	s_delay_alu instid0(VALU_DEP_1)
	v_rcp_iflag_f32_e32 v0, v0
	s_cselect_b32 s24, -1, 0
	s_sub_i32 s13, 0, s21
	s_clause 0x1
	s_load_b64 s[10:11], s[0:1], 0x1c8
	s_load_b128 s[4:7], s[0:1], 0x1b8
	s_mul_i32 s16, s16, s12
	s_add_i32 s12, s18, -1
	s_lshl_b32 s25, s16, 2
	s_waitcnt_depctr 0xfff
	v_mul_f32_e32 v0, 0x4f7ffffe, v0
	s_delay_alu instid0(VALU_DEP_1) | instskip(NEXT) | instid1(VALU_DEP_1)
	v_cvt_u32_f32_e32 v0, v0
	v_mul_lo_u32 v5, s13, v0
	s_mov_b32 s13, 0
	s_delay_alu instid0(SALU_CYCLE_1) | instskip(SKIP_4) | instid1(VALU_DEP_1)
	s_lshl_b64 s[16:17], s[12:13], 2
	s_add_i32 s12, s18, 1
	s_add_u32 s0, s16, s0
	s_addc_u32 s1, s17, s1
	s_add_u32 s16, s0, 8
	v_mul_hi_u32 v5, v0, v5
	s_addc_u32 s17, s1, 0
                                        ; implicit-def: $sgpr1
	s_delay_alu instid0(VALU_DEP_1)
	v_add_nc_u32_e32 v30, v0, v5
	s_branch .LBB106_3
.LBB106_2:                              ;   in Loop: Header=BB106_3 Depth=1
	s_or_b32 exec_lo, exec_lo, s18
	s_delay_alu instid0(SALU_CYCLE_1) | instskip(NEXT) | instid1(SALU_CYCLE_1)
	s_and_b32 s0, exec_lo, s0
	s_or_b32 s13, s0, s13
	s_and_not1_b32 s0, s1, exec_lo
	s_and_b32 s1, s33, exec_lo
	s_and_not1_b32 s18, s27, exec_lo
	s_and_b32 s19, s30, exec_lo
	s_or_b32 s1, s0, s1
	s_or_b32 s27, s18, s19
	s_and_not1_b32 s0, s28, exec_lo
	s_and_b32 s18, s31, exec_lo
	s_and_not1_b32 s19, s26, exec_lo
	s_and_b32 s26, s29, exec_lo
	s_or_b32 s28, s0, s18
	s_or_b32 s26, s19, s26
	s_and_not1_b32 exec_lo, exec_lo, s13
	s_cbranch_execz .LBB106_69
.LBB106_3:                              ; =>This Loop Header: Depth=1
                                        ;     Child Loop BB106_6 Depth 2
                                        ;     Child Loop BB106_13 Depth 2
                                        ;     Child Loop BB106_20 Depth 2
                                        ;     Child Loop BB106_27 Depth 2
	v_sub_nc_u32_e32 v31, s20, v28
	v_mov_b32_e32 v5, 0
	s_delay_alu instid0(VALU_DEP_2) | instskip(NEXT) | instid1(VALU_DEP_1)
	v_cmp_lt_i32_e64 s0, 0, v31
	s_and_saveexec_b32 s34, s0
	s_cbranch_execz .LBB106_8
; %bb.4:                                ;   in Loop: Header=BB106_3 Depth=1
	v_dual_mov_b32 v0, 0 :: v_dual_mov_b32 v3, v28
	s_and_not1_b32 vcc_lo, exec_lo, s23
	s_cbranch_vccnz .LBB106_7
; %bb.5:                                ;   in Loop: Header=BB106_3 Depth=1
	v_dual_mov_b32 v0, 0 :: v_dual_mov_b32 v3, v28
	s_mov_b64 s[18:19], s[16:17]
	s_mov_b32 s35, s12
	s_set_inst_prefetch_distance 0x1
	.p2align	6
.LBB106_6:                              ;   Parent Loop BB106_3 Depth=1
                                        ; =>  This Inner Loop Header: Depth=2
	s_clause 0x1
	s_load_b32 s36, s[18:19], 0x0
	s_load_b32 s37, s[18:19], 0x64
	v_mov_b32_e32 v7, v3
	s_add_i32 s35, s35, -1
	s_waitcnt lgkmcnt(0)
	v_cvt_f32_u32_e32 v5, s36
	s_sub_i32 s38, 0, s36
	s_add_u32 s18, s18, -4
	s_addc_u32 s19, s19, -1
	s_cmp_gt_u32 s35, 2
	v_rcp_iflag_f32_e32 v5, v5
	s_waitcnt_depctr 0xfff
	v_mul_f32_e32 v5, 0x4f7ffffe, v5
	s_delay_alu instid0(VALU_DEP_1) | instskip(NEXT) | instid1(VALU_DEP_1)
	v_cvt_u32_f32_e32 v5, v5
	v_mul_lo_u32 v6, s38, v5
	s_delay_alu instid0(VALU_DEP_1) | instskip(NEXT) | instid1(VALU_DEP_1)
	v_mul_hi_u32 v6, v5, v6
	v_add_nc_u32_e32 v3, v5, v6
	s_delay_alu instid0(VALU_DEP_1) | instskip(NEXT) | instid1(VALU_DEP_1)
	v_mul_hi_u32 v3, v7, v3
	v_add_nc_u32_e32 v6, 1, v3
	v_mul_lo_u32 v5, v3, s36
	s_delay_alu instid0(VALU_DEP_1) | instskip(NEXT) | instid1(VALU_DEP_1)
	v_sub_nc_u32_e32 v5, v7, v5
	v_subrev_nc_u32_e32 v8, s36, v5
	v_cmp_le_u32_e32 vcc_lo, s36, v5
	v_cndmask_b32_e32 v3, v3, v6, vcc_lo
	s_delay_alu instid0(VALU_DEP_1) | instskip(NEXT) | instid1(VALU_DEP_1)
	v_dual_cndmask_b32 v5, v5, v8 :: v_dual_add_nc_u32 v6, 1, v3
	v_cmp_le_u32_e32 vcc_lo, s36, v5
	s_delay_alu instid0(VALU_DEP_2) | instskip(NEXT) | instid1(VALU_DEP_1)
	v_cndmask_b32_e32 v3, v3, v6, vcc_lo
	v_mul_lo_u32 v5, v3, s36
	s_delay_alu instid0(VALU_DEP_1) | instskip(NEXT) | instid1(VALU_DEP_1)
	v_sub_nc_u32_e32 v7, v7, v5
	v_mad_u64_u32 v[5:6], null, s37, v7, v[0:1]
	s_delay_alu instid0(VALU_DEP_1)
	v_mov_b32_e32 v0, v5
	s_cbranch_scc1 .LBB106_6
.LBB106_7:                              ;   in Loop: Header=BB106_3 Depth=1
	s_set_inst_prefetch_distance 0x2
	s_delay_alu instid0(VALU_DEP_1)
	v_mad_u64_u32 v[5:6], null, s22, v3, v[0:1]
.LBB106_8:                              ;   in Loop: Header=BB106_3 Depth=1
	s_or_b32 exec_lo, exec_lo, s34
	v_dual_mov_b32 v6, 0 :: v_dual_mov_b32 v3, 0
	s_and_saveexec_b32 s18, s0
	s_cbranch_execz .LBB106_10
; %bb.9:                                ;   in Loop: Header=BB106_3 Depth=1
	v_mul_hi_u32 v0, v28, v30
	s_delay_alu instid0(VALU_DEP_1) | instskip(SKIP_1) | instid1(VALU_DEP_2)
	v_mul_lo_u32 v3, v0, s21
	v_add_nc_u32_e32 v7, 1, v0
	v_sub_nc_u32_e32 v3, v28, v3
	s_delay_alu instid0(VALU_DEP_1) | instskip(SKIP_1) | instid1(VALU_DEP_2)
	v_subrev_nc_u32_e32 v8, s21, v3
	v_cmp_le_u32_e32 vcc_lo, s21, v3
	v_dual_cndmask_b32 v0, v0, v7 :: v_dual_cndmask_b32 v3, v3, v8
	s_delay_alu instid0(VALU_DEP_1) | instskip(NEXT) | instid1(VALU_DEP_2)
	v_add_nc_u32_e32 v7, 1, v0
	v_cmp_le_u32_e32 vcc_lo, s21, v3
	s_delay_alu instid0(VALU_DEP_2) | instskip(NEXT) | instid1(VALU_DEP_1)
	v_cndmask_b32_e32 v3, v0, v7, vcc_lo
	v_mul_lo_u32 v0, v3, s21
	s_delay_alu instid0(VALU_DEP_1) | instskip(NEXT) | instid1(VALU_DEP_1)
	v_sub_nc_u32_e32 v0, v28, v0
	v_mul_lo_u32 v0, v0, s3
	s_delay_alu instid0(VALU_DEP_1) | instskip(NEXT) | instid1(VALU_DEP_1)
	v_mad_u64_u32 v[7:8], null, v3, s2, v[0:1]
	v_mov_b32_e32 v3, v7
.LBB106_10:                             ;   in Loop: Header=BB106_3 Depth=1
	s_or_b32 exec_lo, exec_lo, s18
	v_or_b32_e32 v8, 1, v28
	v_cmp_lt_i32_e64 s0, 1, v31
	s_delay_alu instid0(VALU_DEP_1)
	s_and_saveexec_b32 s34, s0
	s_cbranch_execz .LBB106_15
; %bb.11:                               ;   in Loop: Header=BB106_3 Depth=1
	s_delay_alu instid0(VALU_DEP_2)
	v_dual_mov_b32 v0, 0 :: v_dual_mov_b32 v9, v8
	s_and_not1_b32 vcc_lo, exec_lo, s23
	s_cbranch_vccnz .LBB106_14
; %bb.12:                               ;   in Loop: Header=BB106_3 Depth=1
	v_dual_mov_b32 v0, 0 :: v_dual_mov_b32 v9, v8
	s_mov_b64 s[18:19], s[16:17]
	s_mov_b32 s35, s12
	s_set_inst_prefetch_distance 0x1
	.p2align	6
.LBB106_13:                             ;   Parent Loop BB106_3 Depth=1
                                        ; =>  This Inner Loop Header: Depth=2
	s_clause 0x1
	s_load_b32 s36, s[18:19], 0x0
	s_load_b32 s37, s[18:19], 0x64
	v_mov_b32_e32 v10, v9
	s_add_i32 s35, s35, -1
	s_waitcnt lgkmcnt(0)
	v_cvt_f32_u32_e32 v6, s36
	s_sub_i32 s38, 0, s36
	s_add_u32 s18, s18, -4
	s_addc_u32 s19, s19, -1
	s_cmp_gt_u32 s35, 2
	v_rcp_iflag_f32_e32 v6, v6
	s_waitcnt_depctr 0xfff
	v_mul_f32_e32 v6, 0x4f7ffffe, v6
	s_delay_alu instid0(VALU_DEP_1) | instskip(NEXT) | instid1(VALU_DEP_1)
	v_cvt_u32_f32_e32 v6, v6
	v_mul_lo_u32 v7, s38, v6
	s_delay_alu instid0(VALU_DEP_1) | instskip(NEXT) | instid1(VALU_DEP_1)
	v_mul_hi_u32 v7, v6, v7
	v_add_nc_u32_e32 v6, v6, v7
	s_delay_alu instid0(VALU_DEP_1) | instskip(NEXT) | instid1(VALU_DEP_1)
	v_mul_hi_u32 v6, v10, v6
	v_mul_lo_u32 v7, v6, s36
	v_add_nc_u32_e32 v9, 1, v6
	s_delay_alu instid0(VALU_DEP_2) | instskip(NEXT) | instid1(VALU_DEP_1)
	v_sub_nc_u32_e32 v7, v10, v7
	v_subrev_nc_u32_e32 v11, s36, v7
	v_cmp_le_u32_e32 vcc_lo, s36, v7
	s_delay_alu instid0(VALU_DEP_2) | instskip(NEXT) | instid1(VALU_DEP_1)
	v_dual_cndmask_b32 v7, v7, v11 :: v_dual_cndmask_b32 v6, v6, v9
	v_cmp_le_u32_e32 vcc_lo, s36, v7
	s_delay_alu instid0(VALU_DEP_2) | instskip(NEXT) | instid1(VALU_DEP_1)
	v_add_nc_u32_e32 v9, 1, v6
	v_cndmask_b32_e32 v9, v6, v9, vcc_lo
	s_delay_alu instid0(VALU_DEP_1) | instskip(NEXT) | instid1(VALU_DEP_1)
	v_mul_lo_u32 v6, v9, s36
	v_sub_nc_u32_e32 v10, v10, v6
	s_delay_alu instid0(VALU_DEP_1) | instskip(NEXT) | instid1(VALU_DEP_1)
	v_mad_u64_u32 v[6:7], null, s37, v10, v[0:1]
	v_mov_b32_e32 v0, v6
	s_cbranch_scc1 .LBB106_13
.LBB106_14:                             ;   in Loop: Header=BB106_3 Depth=1
	s_set_inst_prefetch_distance 0x2
	s_delay_alu instid0(VALU_DEP_1)
	v_mad_u64_u32 v[6:7], null, s22, v9, v[0:1]
.LBB106_15:                             ;   in Loop: Header=BB106_3 Depth=1
	s_or_b32 exec_lo, exec_lo, s34
	v_mov_b32_e32 v11, 0
	s_and_saveexec_b32 s18, s0
	s_cbranch_execz .LBB106_17
; %bb.16:                               ;   in Loop: Header=BB106_3 Depth=1
	v_mul_hi_u32 v0, v8, v30
	s_delay_alu instid0(VALU_DEP_1) | instskip(SKIP_1) | instid1(VALU_DEP_2)
	v_mul_lo_u32 v7, v0, s21
	v_add_nc_u32_e32 v9, 1, v0
	v_sub_nc_u32_e32 v7, v8, v7
	s_delay_alu instid0(VALU_DEP_1) | instskip(SKIP_1) | instid1(VALU_DEP_2)
	v_subrev_nc_u32_e32 v10, s21, v7
	v_cmp_le_u32_e32 vcc_lo, s21, v7
	v_dual_cndmask_b32 v0, v0, v9 :: v_dual_cndmask_b32 v7, v7, v10
	s_delay_alu instid0(VALU_DEP_1) | instskip(NEXT) | instid1(VALU_DEP_2)
	v_add_nc_u32_e32 v9, 1, v0
	v_cmp_le_u32_e32 vcc_lo, s21, v7
	s_delay_alu instid0(VALU_DEP_2) | instskip(NEXT) | instid1(VALU_DEP_1)
	v_cndmask_b32_e32 v7, v0, v9, vcc_lo
	v_mul_lo_u32 v0, v7, s21
	s_delay_alu instid0(VALU_DEP_1) | instskip(NEXT) | instid1(VALU_DEP_1)
	v_sub_nc_u32_e32 v0, v8, v0
	v_mul_lo_u32 v0, v0, s3
	s_delay_alu instid0(VALU_DEP_1)
	v_mad_u64_u32 v[11:12], null, v7, s2, v[0:1]
.LBB106_17:                             ;   in Loop: Header=BB106_3 Depth=1
	s_or_b32 exec_lo, exec_lo, s18
	v_mov_b32_e32 v7, 0
	v_or_b32_e32 v12, 2, v28
	v_mov_b32_e32 v8, 0
	v_cmp_lt_i32_e64 s0, 2, v31
	s_delay_alu instid0(VALU_DEP_1)
	s_and_saveexec_b32 s34, s0
	s_cbranch_execz .LBB106_22
; %bb.18:                               ;   in Loop: Header=BB106_3 Depth=1
	v_dual_mov_b32 v0, 0 :: v_dual_mov_b32 v9, v12
	s_and_not1_b32 vcc_lo, exec_lo, s23
	s_cbranch_vccnz .LBB106_21
; %bb.19:                               ;   in Loop: Header=BB106_3 Depth=1
	v_dual_mov_b32 v0, 0 :: v_dual_mov_b32 v9, v12
	s_mov_b64 s[18:19], s[16:17]
	s_mov_b32 s35, s12
	s_set_inst_prefetch_distance 0x1
	.p2align	6
.LBB106_20:                             ;   Parent Loop BB106_3 Depth=1
                                        ; =>  This Inner Loop Header: Depth=2
	s_clause 0x1
	s_load_b32 s36, s[18:19], 0x0
	s_load_b32 s37, s[18:19], 0x64
	s_add_i32 s35, s35, -1
	v_mov_b32_e32 v10, v9
	s_waitcnt lgkmcnt(0)
	v_cvt_f32_u32_e32 v7, s36
	s_sub_i32 s38, 0, s36
	s_add_u32 s18, s18, -4
	s_addc_u32 s19, s19, -1
	s_cmp_gt_u32 s35, 2
	v_rcp_iflag_f32_e32 v7, v7
	s_waitcnt_depctr 0xfff
	v_mul_f32_e32 v7, 0x4f7ffffe, v7
	s_delay_alu instid0(VALU_DEP_1) | instskip(NEXT) | instid1(VALU_DEP_1)
	v_cvt_u32_f32_e32 v7, v7
	v_mul_lo_u32 v8, s38, v7
	s_delay_alu instid0(VALU_DEP_1) | instskip(NEXT) | instid1(VALU_DEP_1)
	v_mul_hi_u32 v8, v7, v8
	v_add_nc_u32_e32 v7, v7, v8
	s_delay_alu instid0(VALU_DEP_1) | instskip(NEXT) | instid1(VALU_DEP_1)
	v_mul_hi_u32 v7, v10, v7
	v_mul_lo_u32 v8, v7, s36
	v_add_nc_u32_e32 v9, 1, v7
	s_delay_alu instid0(VALU_DEP_2) | instskip(NEXT) | instid1(VALU_DEP_1)
	v_sub_nc_u32_e32 v8, v10, v8
	v_subrev_nc_u32_e32 v13, s36, v8
	v_cmp_le_u32_e32 vcc_lo, s36, v8
	s_delay_alu instid0(VALU_DEP_4) | instskip(NEXT) | instid1(VALU_DEP_1)
	v_cndmask_b32_e32 v7, v7, v9, vcc_lo
	v_dual_cndmask_b32 v8, v8, v13 :: v_dual_add_nc_u32 v9, 1, v7
	s_delay_alu instid0(VALU_DEP_1) | instskip(NEXT) | instid1(VALU_DEP_2)
	v_cmp_le_u32_e32 vcc_lo, s36, v8
	v_cndmask_b32_e32 v9, v7, v9, vcc_lo
	s_delay_alu instid0(VALU_DEP_1) | instskip(NEXT) | instid1(VALU_DEP_1)
	v_mul_lo_u32 v7, v9, s36
	v_sub_nc_u32_e32 v10, v10, v7
	s_delay_alu instid0(VALU_DEP_1) | instskip(NEXT) | instid1(VALU_DEP_1)
	v_mad_u64_u32 v[7:8], null, s37, v10, v[0:1]
	v_mov_b32_e32 v0, v7
	s_cbranch_scc1 .LBB106_20
.LBB106_21:                             ;   in Loop: Header=BB106_3 Depth=1
	s_set_inst_prefetch_distance 0x2
	s_delay_alu instid0(VALU_DEP_1)
	v_mad_u64_u32 v[7:8], null, s22, v9, v[0:1]
	v_mov_b32_e32 v8, v4
.LBB106_22:                             ;   in Loop: Header=BB106_3 Depth=1
	s_or_b32 exec_lo, exec_lo, s34
	v_mov_b32_e32 v9, 0
	v_mov_b32_e32 v10, 0
	s_delay_alu instid0(VALU_DEP_1)
	v_dual_mov_b32 v14, v10 :: v_dual_mov_b32 v13, v9
	s_and_saveexec_b32 s18, s0
	s_cbranch_execz .LBB106_24
; %bb.23:                               ;   in Loop: Header=BB106_3 Depth=1
	v_mul_hi_u32 v0, v12, v30
	s_delay_alu instid0(VALU_DEP_1) | instskip(NEXT) | instid1(VALU_DEP_1)
	v_mul_lo_u32 v13, v0, s21
	v_sub_nc_u32_e32 v13, v12, v13
	s_delay_alu instid0(VALU_DEP_1) | instskip(SKIP_1) | instid1(VALU_DEP_2)
	v_subrev_nc_u32_e32 v15, s21, v13
	v_cmp_le_u32_e32 vcc_lo, s21, v13
	v_dual_cndmask_b32 v13, v13, v15 :: v_dual_add_nc_u32 v14, 1, v0
	s_delay_alu instid0(VALU_DEP_1) | instskip(NEXT) | instid1(VALU_DEP_2)
	v_cndmask_b32_e32 v0, v0, v14, vcc_lo
	v_cmp_le_u32_e32 vcc_lo, s21, v13
	s_delay_alu instid0(VALU_DEP_2) | instskip(NEXT) | instid1(VALU_DEP_1)
	v_add_nc_u32_e32 v14, 1, v0
	v_cndmask_b32_e32 v15, v0, v14, vcc_lo
	s_delay_alu instid0(VALU_DEP_1) | instskip(NEXT) | instid1(VALU_DEP_1)
	v_mul_lo_u32 v0, v15, s21
	v_sub_nc_u32_e32 v0, v12, v0
	s_delay_alu instid0(VALU_DEP_1) | instskip(NEXT) | instid1(VALU_DEP_1)
	v_mul_lo_u32 v0, v0, s3
	v_mad_u64_u32 v[13:14], null, v15, s2, v[0:1]
	v_mov_b32_e32 v14, v4
.LBB106_24:                             ;   in Loop: Header=BB106_3 Depth=1
	s_or_b32 exec_lo, exec_lo, s18
	v_or_b32_e32 v12, 3, v28
	v_cmp_lt_i32_e64 s0, 3, v31
	s_delay_alu instid0(VALU_DEP_1)
	s_and_saveexec_b32 s34, s0
	s_cbranch_execz .LBB106_29
; %bb.25:                               ;   in Loop: Header=BB106_3 Depth=1
	s_delay_alu instid0(VALU_DEP_2)
	v_dual_mov_b32 v0, 0 :: v_dual_mov_b32 v15, v12
	s_and_not1_b32 vcc_lo, exec_lo, s23
	s_cbranch_vccnz .LBB106_28
; %bb.26:                               ;   in Loop: Header=BB106_3 Depth=1
	v_dual_mov_b32 v0, 0 :: v_dual_mov_b32 v15, v12
	s_mov_b64 s[18:19], s[16:17]
	s_mov_b32 s35, s12
	s_set_inst_prefetch_distance 0x1
	.p2align	6
.LBB106_27:                             ;   Parent Loop BB106_3 Depth=1
                                        ; =>  This Inner Loop Header: Depth=2
	s_clause 0x1
	s_load_b32 s36, s[18:19], 0x0
	s_load_b32 s37, s[18:19], 0x64
	s_add_i32 s35, s35, -1
	v_mov_b32_e32 v16, v15
	s_waitcnt lgkmcnt(0)
	v_cvt_f32_u32_e32 v9, s36
	s_sub_i32 s38, 0, s36
	s_add_u32 s18, s18, -4
	s_addc_u32 s19, s19, -1
	s_cmp_gt_u32 s35, 2
	v_rcp_iflag_f32_e32 v9, v9
	s_waitcnt_depctr 0xfff
	v_mul_f32_e32 v9, 0x4f7ffffe, v9
	s_delay_alu instid0(VALU_DEP_1) | instskip(NEXT) | instid1(VALU_DEP_1)
	v_cvt_u32_f32_e32 v9, v9
	v_mul_lo_u32 v10, s38, v9
	s_delay_alu instid0(VALU_DEP_1) | instskip(NEXT) | instid1(VALU_DEP_1)
	v_mul_hi_u32 v10, v9, v10
	v_add_nc_u32_e32 v9, v9, v10
	s_delay_alu instid0(VALU_DEP_1) | instskip(NEXT) | instid1(VALU_DEP_1)
	v_mul_hi_u32 v9, v16, v9
	v_mul_lo_u32 v10, v9, s36
	v_add_nc_u32_e32 v15, 1, v9
	s_delay_alu instid0(VALU_DEP_2) | instskip(NEXT) | instid1(VALU_DEP_1)
	v_sub_nc_u32_e32 v10, v16, v10
	v_subrev_nc_u32_e32 v17, s36, v10
	v_cmp_le_u32_e32 vcc_lo, s36, v10
	s_delay_alu instid0(VALU_DEP_2) | instskip(NEXT) | instid1(VALU_DEP_1)
	v_dual_cndmask_b32 v9, v9, v15 :: v_dual_cndmask_b32 v10, v10, v17
	v_add_nc_u32_e32 v15, 1, v9
	s_delay_alu instid0(VALU_DEP_2) | instskip(NEXT) | instid1(VALU_DEP_2)
	v_cmp_le_u32_e32 vcc_lo, s36, v10
	v_cndmask_b32_e32 v15, v9, v15, vcc_lo
	s_delay_alu instid0(VALU_DEP_1) | instskip(NEXT) | instid1(VALU_DEP_1)
	v_mul_lo_u32 v9, v15, s36
	v_sub_nc_u32_e32 v16, v16, v9
	s_delay_alu instid0(VALU_DEP_1) | instskip(NEXT) | instid1(VALU_DEP_1)
	v_mad_u64_u32 v[9:10], null, s37, v16, v[0:1]
	v_mov_b32_e32 v0, v9
	s_cbranch_scc1 .LBB106_27
.LBB106_28:                             ;   in Loop: Header=BB106_3 Depth=1
	s_set_inst_prefetch_distance 0x2
	s_delay_alu instid0(VALU_DEP_1)
	v_mad_u64_u32 v[9:10], null, s22, v15, v[0:1]
	v_mov_b32_e32 v10, v4
.LBB106_29:                             ;   in Loop: Header=BB106_3 Depth=1
	s_or_b32 exec_lo, exec_lo, s34
	v_mov_b32_e32 v15, 0
	v_mov_b32_e32 v16, 0
	s_and_saveexec_b32 s18, s0
	s_cbranch_execz .LBB106_31
; %bb.30:                               ;   in Loop: Header=BB106_3 Depth=1
	v_mul_hi_u32 v0, v12, v30
	s_delay_alu instid0(VALU_DEP_1) | instskip(NEXT) | instid1(VALU_DEP_1)
	v_mul_lo_u32 v15, v0, s21
	v_sub_nc_u32_e32 v15, v12, v15
	s_delay_alu instid0(VALU_DEP_1) | instskip(SKIP_1) | instid1(VALU_DEP_2)
	v_subrev_nc_u32_e32 v17, s21, v15
	v_cmp_le_u32_e32 vcc_lo, s21, v15
	v_dual_cndmask_b32 v15, v15, v17 :: v_dual_add_nc_u32 v16, 1, v0
	s_delay_alu instid0(VALU_DEP_1) | instskip(NEXT) | instid1(VALU_DEP_2)
	v_cndmask_b32_e32 v0, v0, v16, vcc_lo
	v_cmp_le_u32_e32 vcc_lo, s21, v15
	s_delay_alu instid0(VALU_DEP_2) | instskip(NEXT) | instid1(VALU_DEP_1)
	v_add_nc_u32_e32 v16, 1, v0
	v_cndmask_b32_e32 v17, v0, v16, vcc_lo
	s_delay_alu instid0(VALU_DEP_1) | instskip(NEXT) | instid1(VALU_DEP_1)
	v_mul_lo_u32 v0, v17, s21
	v_sub_nc_u32_e32 v0, v12, v0
	s_delay_alu instid0(VALU_DEP_1) | instskip(NEXT) | instid1(VALU_DEP_1)
	v_mul_lo_u32 v0, v0, s3
	v_mad_u64_u32 v[15:16], null, v17, s2, v[0:1]
	v_mov_b32_e32 v16, v4
.LBB106_31:                             ;   in Loop: Header=BB106_3 Depth=1
	s_or_b32 exec_lo, exec_lo, s18
	v_mov_b32_e32 v12, v4
	v_lshlrev_b64 v[17:18], 2, v[3:4]
	v_lshlrev_b64 v[13:14], 2, v[13:14]
	;; [unrolled: 1-line block ×3, first 2 shown]
	s_delay_alu instid0(VALU_DEP_4) | instskip(NEXT) | instid1(VALU_DEP_4)
	v_lshlrev_b64 v[11:12], 2, v[11:12]
	v_add_co_u32 v17, vcc_lo, s8, v17
	v_add_co_ci_u32_e32 v18, vcc_lo, s9, v18, vcc_lo
	s_delay_alu instid0(VALU_DEP_3) | instskip(NEXT) | instid1(VALU_DEP_4)
	v_add_co_u32 v11, vcc_lo, s8, v11
	v_add_co_ci_u32_e32 v12, vcc_lo, s9, v12, vcc_lo
	v_add_co_u32 v13, vcc_lo, s8, v13
	v_add_co_ci_u32_e32 v14, vcc_lo, s9, v14, vcc_lo
	;; [unrolled: 2-line block ×3, first 2 shown]
	s_clause 0x3
	global_load_b32 v0, v[17:18], off
	global_load_b32 v3, v[11:12], off
	;; [unrolled: 1-line block ×4, first 2 shown]
	s_waitcnt lgkmcnt(0)
	v_mov_b32_e32 v16, s7
	v_dual_mov_b32 v18, s5 :: v_dual_mov_b32 v17, s4
	v_mov_b32_e32 v15, s6
	s_and_not1_b32 vcc_lo, exec_lo, s24
	s_cbranch_vccnz .LBB106_33
; %bb.32:                               ;   in Loop: Header=BB106_3 Depth=1
	v_dual_mov_b32 v12, s7 :: v_dual_mov_b32 v11, s6
	v_dual_mov_b32 v14, s5 :: v_dual_mov_b32 v13, s4
	flat_load_b64 v[11:12], v[11:12]
	flat_load_b64 v[17:18], v[13:14]
	s_waitcnt vmcnt(1) lgkmcnt(1)
	v_add_co_u32 v15, vcc_lo, v11, s10
	v_add_co_ci_u32_e32 v16, vcc_lo, s11, v12, vcc_lo
.LBB106_33:                             ;   in Loop: Header=BB106_3 Depth=1
	s_delay_alu instid0(VALU_DEP_1)
	v_alignbit_b32 v14, v16, v15, 2
	v_lshrrev_b32_e32 v13, 2, v16
	s_waitcnt vmcnt(0) lgkmcnt(0)
	v_add_nc_u32_e32 v35, 0xbb67ae85, v18
	v_add_nc_u32_e32 v36, 0x76cf5d0a, v18
	;; [unrolled: 1-line block ×3, first 2 shown]
	v_add_co_u32 v16, vcc_lo, v14, 1
	s_delay_alu instid0(VALU_DEP_1) | instskip(SKIP_4) | instid1(VALU_DEP_4)
	v_cndmask_b32_e64 v11, 0, 1, vcc_lo
	v_add_co_ci_u32_e32 v25, vcc_lo, 0, v13, vcc_lo
	v_xor3_b32 v21, v29, v17, v13
	v_add_nc_u32_e32 v38, 0x32370b8f, v18
	v_add_nc_u32_e32 v39, 0xed9eba14, v18
	v_cmp_eq_u32_e32 vcc_lo, 0, v25
	v_add_nc_u32_e32 v40, 0x1715609d, v17
	v_add_nc_u32_e32 v41, 0xa9066899, v18
	s_mov_b32 s0, exec_lo
	v_dual_cndmask_b32 v19, 0, v11 :: v_dual_add_nc_u32 v34, 0x9e3779b9, v17
	v_mad_u64_u32 v[11:12], null, 0xd2511f53, v16, 0
	s_delay_alu instid0(VALU_DEP_2) | instskip(NEXT) | instid1(VALU_DEP_2)
	v_add_nc_u32_e32 v16, v19, v1
	v_xor_b32_e32 v20, v12, v18
	s_delay_alu instid0(VALU_DEP_2) | instskip(SKIP_2) | instid1(VALU_DEP_1)
	v_cmp_eq_u32_e32 vcc_lo, 0, v16
	v_mad_u64_u32 v[12:13], null, 0xd2511f53, v14, 0
	v_cndmask_b32_e32 v19, 0, v19, vcc_lo
	v_xor_b32_e32 v14, v19, v20
	v_mad_u64_u32 v[19:20], null, 0xd2511f53, v21, 0
	v_mad_u64_u32 v[21:22], null, 0xcd9e8d57, v16, 0
	s_delay_alu instid0(VALU_DEP_3) | instskip(SKIP_3) | instid1(VALU_DEP_3)
	v_mad_u64_u32 v[23:24], null, 0xcd9e8d57, v14, 0
	v_xor_b32_e32 v14, v13, v18
	v_add_nc_u32_e32 v16, 0x3c6ef372, v17
	v_xor3_b32 v26, v35, v20, v12
	v_mad_u64_u32 v[12:13], null, 0xcd9e8d57, v14, 0
	v_xor3_b32 v14, v22, v17, v25
	v_xor3_b32 v22, v34, v24, v21
	s_delay_alu instid0(VALU_DEP_4) | instskip(NEXT) | instid1(VALU_DEP_3)
	v_mad_u64_u32 v[20:21], null, 0xcd9e8d57, v26, 0
	v_mad_u64_u32 v[24:25], null, 0xd2511f53, v14, 0
	s_delay_alu instid0(VALU_DEP_3) | instskip(SKIP_1) | instid1(VALU_DEP_4)
	v_mad_u64_u32 v[26:27], null, 0xd2511f53, v22, 0
	v_xor3_b32 v14, v2, v13, v34
	v_xor3_b32 v34, v16, v21, v12
	s_delay_alu instid0(VALU_DEP_4) | instskip(NEXT) | instid1(VALU_DEP_3)
	v_xor3_b32 v11, v35, v25, v11
	v_mad_u64_u32 v[12:13], null, 0xd2511f53, v14, 0
	v_xor3_b32 v14, v36, v27, v24
	s_delay_alu instid0(VALU_DEP_4) | instskip(NEXT) | instid1(VALU_DEP_4)
	v_mad_u64_u32 v[21:22], null, 0xd2511f53, v34, 0
	v_mad_u64_u32 v[24:25], null, 0xcd9e8d57, v11, 0
	s_delay_alu instid0(VALU_DEP_3) | instskip(SKIP_4) | instid1(VALU_DEP_4)
	v_mad_u64_u32 v[34:35], null, 0xcd9e8d57, v14, 0
	v_xor3_b32 v13, v36, v13, v19
	v_add_nc_u32_e32 v27, 0x78dde6e4, v17
	v_xor3_b32 v19, v38, v22, v12
	v_xor3_b32 v16, v16, v25, v23
	v_mad_u64_u32 v[11:12], null, 0xcd9e8d57, v13, 0
	v_xor3_b32 v35, v37, v35, v24
	s_delay_alu instid0(VALU_DEP_4) | instskip(NEXT) | instid1(VALU_DEP_4)
	v_mad_u64_u32 v[13:14], null, 0xcd9e8d57, v19, 0
	v_mad_u64_u32 v[22:23], null, 0xd2511f53, v16, 0
	s_delay_alu instid0(VALU_DEP_3) | instskip(SKIP_1) | instid1(VALU_DEP_4)
	v_mad_u64_u32 v[24:25], null, 0xd2511f53, v35, 0
	v_xor3_b32 v16, v37, v12, v20
	v_xor3_b32 v14, v27, v14, v11
	s_delay_alu instid0(VALU_DEP_2) | instskip(SKIP_2) | instid1(VALU_DEP_4)
	v_mad_u64_u32 v[11:12], null, 0xd2511f53, v16, 0
	v_xor3_b32 v16, v38, v23, v26
	v_xor3_b32 v22, v39, v25, v22
	v_mad_u64_u32 v[25:26], null, 0xd2511f53, v14, 0
	s_delay_alu instid0(VALU_DEP_3) | instskip(NEXT) | instid1(VALU_DEP_3)
	v_mad_u64_u32 v[19:20], null, 0xcd9e8d57, v16, 0
	v_mad_u64_u32 v[35:36], null, 0xcd9e8d57, v22, 0
	v_xor3_b32 v14, v39, v12, v21
	s_delay_alu instid0(VALU_DEP_4) | instskip(SKIP_2) | instid1(VALU_DEP_4)
	v_xor3_b32 v22, v41, v26, v11
	v_add_nc_u32_e32 v16, 0xb54cda56, v17
	v_add_nc_u32_e32 v21, 0x646e171e, v18
	v_mad_u64_u32 v[11:12], null, 0xcd9e8d57, v14, 0
	v_xor3_b32 v14, v27, v20, v34
	v_xor3_b32 v23, v40, v36, v19
	v_mad_u64_u32 v[36:37], null, 0xcd9e8d57, v22, 0
	v_add_nc_u32_e32 v27, 0x5384540f, v17
	s_delay_alu instid0(VALU_DEP_4) | instskip(NEXT) | instid1(VALU_DEP_4)
	v_mad_u64_u32 v[19:20], null, 0xd2511f53, v14, 0
	v_mad_u64_u32 v[38:39], null, 0xd2511f53, v23, 0
	v_xor3_b32 v13, v40, v12, v13
	v_xor3_b32 v14, v16, v37, v11
	v_add_nc_u32_e32 v40, 0x1fd5c5a3, v18
	v_add_co_u32 v34, null, 0xf1bbcdc8, v17
	v_xor3_b32 v22, v41, v20, v24
	v_xor3_b32 v24, v21, v39, v19
	v_mad_u64_u32 v[11:12], null, 0xd2511f53, v13, 0
	v_mad_u64_u32 v[19:20], null, 0xd2511f53, v14, 0
	s_delay_alu instid0(VALU_DEP_4) | instskip(NEXT) | instid1(VALU_DEP_4)
	v_mad_u64_u32 v[13:14], null, 0xcd9e8d57, v22, 0
	v_mad_u64_u32 v[22:23], null, 0xcd9e8d57, v24, 0
	s_delay_alu instid0(VALU_DEP_4) | instskip(NEXT) | instid1(VALU_DEP_4)
	v_xor3_b32 v21, v21, v12, v25
	v_xor3_b32 v24, v40, v20, v11
	s_delay_alu instid0(VALU_DEP_4) | instskip(NEXT) | instid1(VALU_DEP_3)
	v_xor3_b32 v16, v16, v14, v35
	v_mad_u64_u32 v[11:12], null, 0xcd9e8d57, v21, 0
	v_xor3_b32 v23, v27, v23, v13
	s_delay_alu instid0(VALU_DEP_4) | instskip(NEXT) | instid1(VALU_DEP_4)
	v_mad_u64_u32 v[20:21], null, 0xcd9e8d57, v24, 0
	v_mad_u64_u32 v[13:14], null, 0xd2511f53, v16, 0
	s_delay_alu instid0(VALU_DEP_3)
	v_mad_u64_u32 v[25:26], null, 0xd2511f53, v23, 0
	v_add_nc_u32_e32 v35, 0xdb3d7428, v18
	v_xor3_b32 v12, v27, v12, v36
	v_xor3_b32 v16, v34, v21, v11
	v_add_nc_u32_e32 v36, 0x96a522ad, v18
	v_xor3_b32 v14, v40, v14, v38
	v_and_b32_e32 v18, 3, v15
	v_xor3_b32 v21, v35, v26, v13
	v_mad_u64_u32 v[23:24], null, 0xd2511f53, v12, 0
	v_mad_u64_u32 v[11:12], null, 0xd2511f53, v16, 0
	v_mad_u64_u32 v[26:27], null, 0xcd9e8d57, v14, 0
	s_delay_alu instid0(VALU_DEP_4) | instskip(SKIP_1) | instid1(VALU_DEP_4)
	v_mad_u64_u32 v[13:14], null, 0xcd9e8d57, v21, 0
	v_add_nc_u32_e32 v21, 0x8ff34781, v17
                                        ; implicit-def: $vgpr16
	v_xor3_b32 v17, v12, v23, v36
	s_delay_alu instid0(VALU_DEP_2)
	v_xor3_b32 v12, v14, v26, v21
	v_cmpx_lt_i32_e32 1, v18
	s_xor_b32 s0, exec_lo, s0
	s_cbranch_execz .LBB106_39
; %bb.34:                               ;   in Loop: Header=BB106_3 Depth=1
	s_mov_b32 s18, exec_lo
                                        ; implicit-def: $vgpr16
	v_cmpx_lt_i32_e32 2, v18
	s_xor_b32 s18, exec_lo, s18
; %bb.35:                               ;   in Loop: Header=BB106_3 Depth=1
	v_xor3_b32 v14, v34, v27, v22
                                        ; implicit-def: $vgpr17
	s_delay_alu instid0(VALU_DEP_1) | instskip(NEXT) | instid1(VALU_DEP_1)
	v_mul_hi_u32 v14, 0xd2511f53, v14
	v_xor3_b32 v16, v14, v25, v36
; %bb.36:                               ;   in Loop: Header=BB106_3 Depth=1
	s_and_not1_saveexec_b32 s18, s18
; %bb.37:                               ;   in Loop: Header=BB106_3 Depth=1
	v_dual_mov_b32 v16, v13 :: v_dual_mov_b32 v13, v12
	v_dual_mov_b32 v12, v11 :: v_dual_mov_b32 v11, v17
; %bb.38:                               ;   in Loop: Header=BB106_3 Depth=1
	s_or_b32 exec_lo, exec_lo, s18
                                        ; implicit-def: $vgpr19_vgpr20
                                        ; implicit-def: $vgpr18
                                        ; implicit-def: $vgpr17
                                        ; implicit-def: $vgpr35
                                        ; implicit-def: $vgpr23_vgpr24
                                        ; implicit-def: $vgpr20_vgpr21
                                        ; implicit-def: $vgpr21
.LBB106_39:                             ;   in Loop: Header=BB106_3 Depth=1
	s_and_not1_saveexec_b32 s0, s0
	s_cbranch_execz .LBB106_43
; %bb.40:                               ;   in Loop: Header=BB106_3 Depth=1
	v_xor3_b32 v13, v35, v24, v19
	v_cmp_eq_u32_e32 vcc_lo, 1, v18
	v_mov_b32_e32 v16, v11
	s_delay_alu instid0(VALU_DEP_3) | instskip(SKIP_1) | instid1(VALU_DEP_2)
	v_mad_u64_u32 v[14:15], null, 0xcd9e8d57, v13, 0
	v_mov_b32_e32 v13, v17
	v_xor3_b32 v18, v15, v20, v21
	s_delay_alu instid0(VALU_DEP_3)
	v_mov_b32_e32 v15, v14
	s_and_saveexec_b32 s18, vcc_lo
; %bb.41:                               ;   in Loop: Header=BB106_3 Depth=1
	v_dual_mov_b32 v16, v12 :: v_dual_mov_b32 v13, v11
	v_dual_mov_b32 v15, v17 :: v_dual_mov_b32 v18, v14
; %bb.42:                               ;   in Loop: Header=BB106_3 Depth=1
	s_or_b32 exec_lo, exec_lo, s18
	s_delay_alu instid0(VALU_DEP_1)
	v_dual_mov_b32 v11, v18 :: v_dual_mov_b32 v12, v15
.LBB106_43:                             ;   in Loop: Header=BB106_3 Depth=1
	s_or_b32 exec_lo, exec_lo, s0
	v_min_i32_e32 v14, 4, v31
	s_mov_b32 s18, 0
	s_mov_b32 s38, 0
	;; [unrolled: 1-line block ×3, first 2 shown]
                                        ; implicit-def: $sgpr34
                                        ; implicit-def: $sgpr35
                                        ; implicit-def: $sgpr36
	s_mov_b32 s0, exec_lo
	v_cmpx_lt_i32_e32 2, v14
	s_xor_b32 s37, exec_lo, s0
	s_cbranch_execz .LBB106_55
; %bb.44:                               ;   in Loop: Header=BB106_3 Depth=1
	s_mov_b32 s0, -1
	s_mov_b32 s39, 0
	s_mov_b32 s35, exec_lo
                                        ; implicit-def: $sgpr19
                                        ; implicit-def: $sgpr34
	v_cmpx_lt_i32_e32 3, v14
	s_cbranch_execz .LBB106_50
; %bb.45:                               ;   in Loop: Header=BB106_3 Depth=1
	s_mov_b32 s0, 0
	s_mov_b32 s39, -1
	s_mov_b32 s36, exec_lo
                                        ; implicit-def: $sgpr19
                                        ; implicit-def: $sgpr34
	v_cmpx_eq_u32_e32 4, v14
	s_cbranch_execz .LBB106_49
; %bb.46:                               ;   in Loop: Header=BB106_3 Depth=1
	v_cmp_le_f32_e32 vcc_lo, 0, v33
	v_cmp_ge_f32_e64 s0, 1.0, v33
	s_mov_b32 s19, 0
	s_delay_alu instid0(VALU_DEP_1)
	s_and_b32 s39, vcc_lo, s0
	s_mov_b32 s0, 0
	s_and_saveexec_b32 s34, s39
	s_cbranch_execz .LBB106_48
; %bb.47:                               ;   in Loop: Header=BB106_3 Depth=1
	v_cvt_f32_u32_e32 v15, v16
	v_lshlrev_b64 v[9:10], 1, v[9:10]
	s_mov_b32 s0, exec_lo
	s_delay_alu instid0(VALU_DEP_2) | instskip(NEXT) | instid1(VALU_DEP_2)
	v_fmaak_f32 v15, 0x2f800000, v15, 0x2f800000
	v_add_co_u32 v9, vcc_lo, s14, v9
	s_delay_alu instid0(VALU_DEP_3) | instskip(NEXT) | instid1(VALU_DEP_3)
	v_add_co_ci_u32_e32 v10, vcc_lo, s15, v10, vcc_lo
	v_cmp_le_f32_e32 vcc_lo, v15, v33
	v_cndmask_b32_e64 v15, 0, 1.0, vcc_lo
	global_store_d16_hi_b16 v[9:10], v15, off
.LBB106_48:                             ;   in Loop: Header=BB106_3 Depth=1
	s_or_b32 exec_lo, exec_lo, s34
	s_mov_b32 s34, -1
	s_xor_b32 s39, exec_lo, -1
	s_and_b32 s0, s0, exec_lo
.LBB106_49:                             ;   in Loop: Header=BB106_3 Depth=1
	s_or_b32 exec_lo, exec_lo, s36
	s_delay_alu instid0(SALU_CYCLE_1)
	s_and_b32 s39, s39, exec_lo
	s_or_not1_b32 s0, s0, exec_lo
.LBB106_50:                             ;   in Loop: Header=BB106_3 Depth=1
	s_or_b32 exec_lo, exec_lo, s35
	s_mov_b32 s36, s19
	s_and_saveexec_b32 s35, s0
	s_cbranch_execz .LBB106_54
; %bb.51:                               ;   in Loop: Header=BB106_3 Depth=1
	v_cmp_le_f32_e32 vcc_lo, 0, v32
	v_cmp_ge_f32_e64 s0, 1.0, v32
	s_delay_alu instid0(VALU_DEP_1) | instskip(SKIP_2) | instid1(SALU_CYCLE_1)
	s_and_b32 s36, vcc_lo, s0
	s_mov_b32 s0, 0
	s_and_saveexec_b32 s38, s36
	s_xor_b32 s36, exec_lo, s38
	s_cbranch_execz .LBB106_53
; %bb.52:                               ;   in Loop: Header=BB106_3 Depth=1
	v_cvt_f32_u32_e32 v9, v13
	v_lshlrev_b64 v[7:8], 1, v[7:8]
	s_mov_b32 s0, exec_lo
	s_delay_alu instid0(VALU_DEP_2) | instskip(NEXT) | instid1(VALU_DEP_2)
	v_fmaak_f32 v9, 0x2f800000, v9, 0x2f800000
	v_add_co_u32 v7, vcc_lo, s14, v7
	s_delay_alu instid0(VALU_DEP_3) | instskip(NEXT) | instid1(VALU_DEP_3)
	v_add_co_ci_u32_e32 v8, vcc_lo, s15, v8, vcc_lo
	v_cmp_le_f32_e32 vcc_lo, v9, v32
	v_cndmask_b32_e64 v9, 0, 1.0, vcc_lo
	global_store_d16_hi_b16 v[7:8], v9, off
.LBB106_53:                             ;   in Loop: Header=BB106_3 Depth=1
	s_or_b32 exec_lo, exec_lo, s36
	s_delay_alu instid0(SALU_CYCLE_1)
	s_and_not1_b32 s36, s19, exec_lo
	s_or_b32 s19, s19, exec_lo
	s_and_not1_b32 s34, s34, exec_lo
	s_and_b32 s38, s0, exec_lo
.LBB106_54:                             ;   in Loop: Header=BB106_3 Depth=1
	s_or_b32 exec_lo, exec_lo, s35
	s_delay_alu instid0(SALU_CYCLE_1)
	s_and_b32 s36, s36, exec_lo
	s_and_b32 s35, s19, exec_lo
	;; [unrolled: 1-line block ×5, first 2 shown]
.LBB106_55:                             ;   in Loop: Header=BB106_3 Depth=1
	s_and_not1_saveexec_b32 s0, s37
; %bb.56:                               ;   in Loop: Header=BB106_3 Depth=1
	v_cmp_lt_i32_e32 vcc_lo, 1, v14
	s_and_not1_b32 s37, s38, exec_lo
	s_mov_b32 s18, exec_lo
	s_and_not1_b32 s36, s36, exec_lo
	s_and_not1_b32 s35, s35, exec_lo
	s_and_b32 s38, vcc_lo, exec_lo
	s_and_not1_b32 s34, s34, exec_lo
	s_or_b32 s38, s37, s38
; %bb.57:                               ;   in Loop: Header=BB106_3 Depth=1
	s_or_b32 exec_lo, exec_lo, s0
	s_mov_b32 s0, 0
	s_mov_b32 s37, s36
	s_and_saveexec_b32 s39, s38
	s_cbranch_execnz .LBB106_60
; %bb.58:                               ;   in Loop: Header=BB106_3 Depth=1
	s_or_b32 exec_lo, exec_lo, s39
	s_and_saveexec_b32 s38, s18
	s_cbranch_execnz .LBB106_63
.LBB106_59:                             ;   in Loop: Header=BB106_3 Depth=1
	s_or_b32 exec_lo, exec_lo, s38
	s_and_saveexec_b32 s18, s0
	s_cbranch_execnz .LBB106_64
	s_branch .LBB106_67
.LBB106_60:                             ;   in Loop: Header=BB106_3 Depth=1
	v_cmp_le_f32_e32 vcc_lo, 0, v3
	v_cmp_ge_f32_e64 s0, 1.0, v3
	s_delay_alu instid0(VALU_DEP_1) | instskip(SKIP_2) | instid1(SALU_CYCLE_1)
	s_and_b32 s37, vcc_lo, s0
	s_mov_b32 s0, 0
	s_and_saveexec_b32 s38, s37
	s_xor_b32 s37, exec_lo, s38
	s_cbranch_execz .LBB106_62
; %bb.61:                               ;   in Loop: Header=BB106_3 Depth=1
	v_cvt_f32_u32_e32 v8, v12
	v_mov_b32_e32 v7, v4
	s_mov_b32 s0, exec_lo
	s_delay_alu instid0(VALU_DEP_2) | instskip(NEXT) | instid1(VALU_DEP_2)
	v_fmaak_f32 v8, 0x2f800000, v8, 0x2f800000
	v_lshlrev_b64 v[6:7], 1, v[6:7]
	s_delay_alu instid0(VALU_DEP_1) | instskip(NEXT) | instid1(VALU_DEP_2)
	v_add_co_u32 v6, vcc_lo, s14, v6
	v_add_co_ci_u32_e32 v7, vcc_lo, s15, v7, vcc_lo
	s_delay_alu instid0(VALU_DEP_4)
	v_cmp_le_f32_e32 vcc_lo, v8, v3
	v_cndmask_b32_e64 v3, 0, 1.0, vcc_lo
	global_store_d16_hi_b16 v[6:7], v3, off
.LBB106_62:                             ;   in Loop: Header=BB106_3 Depth=1
	s_or_b32 exec_lo, exec_lo, s37
	s_delay_alu instid0(SALU_CYCLE_1)
	s_and_not1_b32 s37, s36, exec_lo
	s_or_b32 s36, s36, exec_lo
	s_and_not1_b32 s35, s35, exec_lo
	s_and_not1_b32 s34, s34, exec_lo
	s_and_b32 s0, s0, exec_lo
	s_and_not1_b32 s18, s18, exec_lo
	s_or_b32 exec_lo, exec_lo, s39
	s_and_saveexec_b32 s38, s18
	s_cbranch_execz .LBB106_59
.LBB106_63:                             ;   in Loop: Header=BB106_3 Depth=1
	v_cmp_eq_u32_e32 vcc_lo, 1, v14
	s_and_not1_b32 s0, s0, exec_lo
	s_and_not1_b32 s37, s37, exec_lo
	;; [unrolled: 1-line block ×4, first 2 shown]
	s_and_b32 s18, vcc_lo, exec_lo
	s_and_not1_b32 s34, s34, exec_lo
	s_or_b32 s19, s19, exec_lo
	s_or_b32 s0, s0, s18
	s_or_b32 exec_lo, exec_lo, s38
	s_and_saveexec_b32 s18, s0
	s_cbranch_execz .LBB106_67
.LBB106_64:                             ;   in Loop: Header=BB106_3 Depth=1
	v_cmp_le_f32_e32 vcc_lo, 0, v0
	v_cmp_ge_f32_e64 s0, 1.0, v0
	s_delay_alu instid0(VALU_DEP_1)
	s_and_b32 s39, vcc_lo, s0
	s_mov_b32 s0, 0
	s_and_saveexec_b32 s38, s39
	s_cbranch_execz .LBB106_66
; %bb.65:                               ;   in Loop: Header=BB106_3 Depth=1
	v_cvt_f32_u32_e32 v3, v11
	v_mov_b32_e32 v6, v4
	s_mov_b32 s0, exec_lo
	s_delay_alu instid0(VALU_DEP_2) | instskip(NEXT) | instid1(VALU_DEP_2)
	v_fmaak_f32 v3, 0x2f800000, v3, 0x2f800000
	v_lshlrev_b64 v[5:6], 1, v[5:6]
	s_delay_alu instid0(VALU_DEP_1) | instskip(NEXT) | instid1(VALU_DEP_2)
	v_add_co_u32 v5, vcc_lo, s14, v5
	v_add_co_ci_u32_e32 v6, vcc_lo, s15, v6, vcc_lo
	s_delay_alu instid0(VALU_DEP_4)
	v_cmp_le_f32_e32 vcc_lo, v3, v0
	v_cndmask_b32_e64 v0, 0, 1.0, vcc_lo
	global_store_d16_hi_b16 v[5:6], v0, off
.LBB106_66:                             ;   in Loop: Header=BB106_3 Depth=1
	s_or_b32 exec_lo, exec_lo, s38
	s_delay_alu instid0(SALU_CYCLE_1)
	s_and_not1_b32 s19, s19, exec_lo
	s_and_b32 s0, s0, exec_lo
	s_or_b32 s37, s37, exec_lo
	s_and_not1_b32 s36, s36, exec_lo
	s_and_not1_b32 s35, s35, exec_lo
	;; [unrolled: 1-line block ×3, first 2 shown]
	s_or_b32 s19, s19, s0
.LBB106_67:                             ;   in Loop: Header=BB106_3 Depth=1
	s_or_b32 exec_lo, exec_lo, s18
	s_delay_alu instid0(SALU_CYCLE_1)
	s_and_not1_b32 s18, s33, exec_lo
	s_and_b32 s33, s37, exec_lo
	s_and_not1_b32 s30, s30, exec_lo
	s_and_b32 s36, s36, exec_lo
	s_or_b32 s33, s18, s33
	s_and_not1_b32 s18, s31, exec_lo
	s_and_b32 s31, s35, exec_lo
	s_and_not1_b32 s29, s29, exec_lo
	s_and_b32 s34, s34, exec_lo
	s_mov_b32 s0, -1
	s_or_b32 s30, s30, s36
	s_or_b32 s31, s18, s31
	;; [unrolled: 1-line block ×3, first 2 shown]
	s_and_saveexec_b32 s18, s19
	s_cbranch_execz .LBB106_2
; %bb.68:                               ;   in Loop: Header=BB106_3 Depth=1
	v_add_nc_u32_e32 v28, s25, v28
	s_and_not1_b32 s33, s33, exec_lo
	s_and_not1_b32 s30, s30, exec_lo
	;; [unrolled: 1-line block ×4, first 2 shown]
	v_cmp_le_u32_e32 vcc_lo, s20, v28
	s_or_not1_b32 s0, vcc_lo, exec_lo
	s_branch .LBB106_2
.LBB106_69:
	s_or_b32 exec_lo, exec_lo, s13
	s_xor_b32 s4, s27, -1
	s_xor_b32 s5, s28, -1
	s_xor_b32 s0, s26, -1
	s_mov_b32 s2, 0
	s_and_saveexec_b32 s3, s0
	s_delay_alu instid0(SALU_CYCLE_1)
	s_xor_b32 s0, exec_lo, s3
	s_cbranch_execz .LBB106_78
; %bb.70:
	s_mov_b32 s3, 0
	s_and_saveexec_b32 s2, s5
	s_delay_alu instid0(SALU_CYCLE_1)
	s_xor_b32 s2, exec_lo, s2
	s_cbranch_execz .LBB106_76
; %bb.71:
	s_and_saveexec_b32 s5, s4
	s_delay_alu instid0(SALU_CYCLE_1)
	s_xor_b32 s4, exec_lo, s5
	s_cbranch_execz .LBB106_74
; %bb.72:
	s_and_saveexec_b32 s5, s1
	s_delay_alu instid0(SALU_CYCLE_1)
	s_xor_b32 s1, exec_lo, s5
	s_cbranch_execnz .LBB106_92
.LBB106_73:
	s_or_b32 exec_lo, exec_lo, s1
	s_delay_alu instid0(SALU_CYCLE_1)
	s_and_b32 s3, s3, exec_lo
.LBB106_74:
	s_and_not1_saveexec_b32 s1, s4
	s_cbranch_execnz .LBB106_88
.LBB106_75:
	s_or_b32 exec_lo, exec_lo, s1
	s_delay_alu instid0(SALU_CYCLE_1)
	s_and_b32 s3, s3, exec_lo
.LBB106_76:
	s_and_not1_saveexec_b32 s1, s2
	s_cbranch_execnz .LBB106_84
.LBB106_77:
	s_or_b32 exec_lo, exec_lo, s1
	s_delay_alu instid0(SALU_CYCLE_1)
	s_and_b32 s2, s3, exec_lo
.LBB106_78:
	s_and_not1_saveexec_b32 s0, s0
	s_cbranch_execnz .LBB106_82
; %bb.79:
	s_or_b32 exec_lo, exec_lo, s0
	s_delay_alu instid0(SALU_CYCLE_1)
	s_and_b32 exec_lo, exec_lo, s2
.LBB106_80:
	; divergent unreachable
.LBB106_81:
	s_nop 0
	s_sendmsg sendmsg(MSG_DEALLOC_VGPRS)
	s_endpgm
.LBB106_82:
	s_cbranch_execnz .LBB106_86
; %bb.83:
	s_or_b32 s2, s2, exec_lo
	s_or_b32 exec_lo, exec_lo, s0
	s_delay_alu instid0(SALU_CYCLE_1)
	s_and_b32 exec_lo, exec_lo, s2
	s_cbranch_execnz .LBB106_80
	s_branch .LBB106_81
.LBB106_84:
	s_cbranch_execnz .LBB106_90
; %bb.85:
	s_or_b32 s3, s3, exec_lo
	s_branch .LBB106_77
.LBB106_86:
	s_trap 2
	s_sendmsg_rtn_b32 s0, sendmsg(MSG_RTN_GET_DOORBELL)
	s_mov_b32 ttmp2, m0
	s_waitcnt lgkmcnt(0)
	s_and_b32 s0, s0, 0x3ff
	s_delay_alu instid0(SALU_CYCLE_1) | instskip(NEXT) | instid1(SALU_CYCLE_1)
	s_bitset1_b32 s0, 10
	s_mov_b32 m0, s0
	s_sendmsg sendmsg(MSG_INTERRUPT)
	s_mov_b32 m0, ttmp2
.LBB106_87:                             ; =>This Inner Loop Header: Depth=1
	s_sethalt 5
	s_branch .LBB106_87
.LBB106_88:
	s_cbranch_execnz .LBB106_94
; %bb.89:
	s_or_b32 s3, s3, exec_lo
	s_branch .LBB106_75
.LBB106_90:
	s_trap 2
	s_sendmsg_rtn_b32 s0, sendmsg(MSG_RTN_GET_DOORBELL)
	s_mov_b32 ttmp2, m0
	s_waitcnt lgkmcnt(0)
	s_and_b32 s0, s0, 0x3ff
	s_delay_alu instid0(SALU_CYCLE_1) | instskip(NEXT) | instid1(SALU_CYCLE_1)
	s_bitset1_b32 s0, 10
	s_mov_b32 m0, s0
	s_sendmsg sendmsg(MSG_INTERRUPT)
	s_mov_b32 m0, ttmp2
.LBB106_91:                             ; =>This Inner Loop Header: Depth=1
	s_sethalt 5
	s_branch .LBB106_91
.LBB106_92:
	s_cbranch_execnz .LBB106_96
; %bb.93:
	s_mov_b32 s3, exec_lo
	s_branch .LBB106_73
.LBB106_94:
	s_trap 2
	s_sendmsg_rtn_b32 s0, sendmsg(MSG_RTN_GET_DOORBELL)
	s_mov_b32 ttmp2, m0
	s_waitcnt lgkmcnt(0)
	s_and_b32 s0, s0, 0x3ff
	s_delay_alu instid0(SALU_CYCLE_1) | instskip(NEXT) | instid1(SALU_CYCLE_1)
	s_bitset1_b32 s0, 10
	s_mov_b32 m0, s0
	s_sendmsg sendmsg(MSG_INTERRUPT)
	s_mov_b32 m0, ttmp2
.LBB106_95:                             ; =>This Inner Loop Header: Depth=1
	s_sethalt 5
	s_branch .LBB106_95
.LBB106_96:
	s_trap 2
	s_sendmsg_rtn_b32 s0, sendmsg(MSG_RTN_GET_DOORBELL)
	s_mov_b32 ttmp2, m0
	s_waitcnt lgkmcnt(0)
	s_and_b32 s0, s0, 0x3ff
	s_delay_alu instid0(SALU_CYCLE_1) | instskip(NEXT) | instid1(SALU_CYCLE_1)
	s_bitset1_b32 s0, 10
	s_mov_b32 m0, s0
	s_sendmsg sendmsg(MSG_INTERRUPT)
	s_mov_b32 m0, ttmp2
.LBB106_97:                             ; =>This Inner Loop Header: Depth=1
	s_sethalt 5
	s_branch .LBB106_97
	.section	.rodata,"a",@progbits
	.p2align	6, 0x0
	.amdhsa_kernel _ZN2at4cuda12_GLOBAL__N_121kernelPointwiseApply2IZNS_6native9templates4cuda28bernoulli_tensor_cuda_kernelIN3c108BFloat16EfEEvRKNS_10TensorBaseESB_NS_15PhiloxCudaStateEEUliRS8_SD_SD_SD_RKfSF_SF_SF_E_S8_SE_jLin1ELi2ELi4ELi512ELi2EEEvNS0_6detail10TensorInfoIT0_T2_EENSI_IT1_SK_EESK_T_
		.amdhsa_group_segment_fixed_size 0
		.amdhsa_private_segment_fixed_size 0
		.amdhsa_kernarg_size 728
		.amdhsa_user_sgpr_count 15
		.amdhsa_user_sgpr_dispatch_ptr 0
		.amdhsa_user_sgpr_queue_ptr 0
		.amdhsa_user_sgpr_kernarg_segment_ptr 1
		.amdhsa_user_sgpr_dispatch_id 0
		.amdhsa_user_sgpr_private_segment_size 0
		.amdhsa_wavefront_size32 1
		.amdhsa_uses_dynamic_stack 0
		.amdhsa_enable_private_segment 0
		.amdhsa_system_sgpr_workgroup_id_x 1
		.amdhsa_system_sgpr_workgroup_id_y 0
		.amdhsa_system_sgpr_workgroup_id_z 0
		.amdhsa_system_sgpr_workgroup_info 0
		.amdhsa_system_vgpr_workitem_id 0
		.amdhsa_next_free_vgpr 42
		.amdhsa_next_free_sgpr 40
		.amdhsa_reserve_vcc 1
		.amdhsa_float_round_mode_32 0
		.amdhsa_float_round_mode_16_64 0
		.amdhsa_float_denorm_mode_32 3
		.amdhsa_float_denorm_mode_16_64 3
		.amdhsa_dx10_clamp 1
		.amdhsa_ieee_mode 1
		.amdhsa_fp16_overflow 0
		.amdhsa_workgroup_processor_mode 1
		.amdhsa_memory_ordered 1
		.amdhsa_forward_progress 0
		.amdhsa_shared_vgpr_count 0
		.amdhsa_exception_fp_ieee_invalid_op 0
		.amdhsa_exception_fp_denorm_src 0
		.amdhsa_exception_fp_ieee_div_zero 0
		.amdhsa_exception_fp_ieee_overflow 0
		.amdhsa_exception_fp_ieee_underflow 0
		.amdhsa_exception_fp_ieee_inexact 0
		.amdhsa_exception_int_div_zero 0
	.end_amdhsa_kernel
	.section	.text._ZN2at4cuda12_GLOBAL__N_121kernelPointwiseApply2IZNS_6native9templates4cuda28bernoulli_tensor_cuda_kernelIN3c108BFloat16EfEEvRKNS_10TensorBaseESB_NS_15PhiloxCudaStateEEUliRS8_SD_SD_SD_RKfSF_SF_SF_E_S8_SE_jLin1ELi2ELi4ELi512ELi2EEEvNS0_6detail10TensorInfoIT0_T2_EENSI_IT1_SK_EESK_T_,"axG",@progbits,_ZN2at4cuda12_GLOBAL__N_121kernelPointwiseApply2IZNS_6native9templates4cuda28bernoulli_tensor_cuda_kernelIN3c108BFloat16EfEEvRKNS_10TensorBaseESB_NS_15PhiloxCudaStateEEUliRS8_SD_SD_SD_RKfSF_SF_SF_E_S8_SE_jLin1ELi2ELi4ELi512ELi2EEEvNS0_6detail10TensorInfoIT0_T2_EENSI_IT1_SK_EESK_T_,comdat
.Lfunc_end106:
	.size	_ZN2at4cuda12_GLOBAL__N_121kernelPointwiseApply2IZNS_6native9templates4cuda28bernoulli_tensor_cuda_kernelIN3c108BFloat16EfEEvRKNS_10TensorBaseESB_NS_15PhiloxCudaStateEEUliRS8_SD_SD_SD_RKfSF_SF_SF_E_S8_SE_jLin1ELi2ELi4ELi512ELi2EEEvNS0_6detail10TensorInfoIT0_T2_EENSI_IT1_SK_EESK_T_, .Lfunc_end106-_ZN2at4cuda12_GLOBAL__N_121kernelPointwiseApply2IZNS_6native9templates4cuda28bernoulli_tensor_cuda_kernelIN3c108BFloat16EfEEvRKNS_10TensorBaseESB_NS_15PhiloxCudaStateEEUliRS8_SD_SD_SD_RKfSF_SF_SF_E_S8_SE_jLin1ELi2ELi4ELi512ELi2EEEvNS0_6detail10TensorInfoIT0_T2_EENSI_IT1_SK_EESK_T_
                                        ; -- End function
	.section	.AMDGPU.csdata,"",@progbits
; Kernel info:
; codeLenInByte = 4828
; NumSgprs: 42
; NumVgprs: 42
; ScratchSize: 0
; MemoryBound: 0
; FloatMode: 240
; IeeeMode: 1
; LDSByteSize: 0 bytes/workgroup (compile time only)
; SGPRBlocks: 5
; VGPRBlocks: 5
; NumSGPRsForWavesPerEU: 42
; NumVGPRsForWavesPerEU: 42
; Occupancy: 16
; WaveLimiterHint : 1
; COMPUTE_PGM_RSRC2:SCRATCH_EN: 0
; COMPUTE_PGM_RSRC2:USER_SGPR: 15
; COMPUTE_PGM_RSRC2:TRAP_HANDLER: 0
; COMPUTE_PGM_RSRC2:TGID_X_EN: 1
; COMPUTE_PGM_RSRC2:TGID_Y_EN: 0
; COMPUTE_PGM_RSRC2:TGID_Z_EN: 0
; COMPUTE_PGM_RSRC2:TIDIG_COMP_CNT: 0
	.section	.text._ZN2at4cuda12_GLOBAL__N_121kernelPointwiseApply2IZNS_6native9templates4cuda28bernoulli_tensor_cuda_kernelIN3c108BFloat16EfEEvRKNS_10TensorBaseESB_NS_15PhiloxCudaStateEEUliRS8_SD_SD_SD_RKfSF_SF_SF_E_S8_SE_jLin1ELin1ELi4ELi512ELi2EEEvNS0_6detail10TensorInfoIT0_T2_EENSI_IT1_SK_EESK_T_,"axG",@progbits,_ZN2at4cuda12_GLOBAL__N_121kernelPointwiseApply2IZNS_6native9templates4cuda28bernoulli_tensor_cuda_kernelIN3c108BFloat16EfEEvRKNS_10TensorBaseESB_NS_15PhiloxCudaStateEEUliRS8_SD_SD_SD_RKfSF_SF_SF_E_S8_SE_jLin1ELin1ELi4ELi512ELi2EEEvNS0_6detail10TensorInfoIT0_T2_EENSI_IT1_SK_EESK_T_,comdat
	.globl	_ZN2at4cuda12_GLOBAL__N_121kernelPointwiseApply2IZNS_6native9templates4cuda28bernoulli_tensor_cuda_kernelIN3c108BFloat16EfEEvRKNS_10TensorBaseESB_NS_15PhiloxCudaStateEEUliRS8_SD_SD_SD_RKfSF_SF_SF_E_S8_SE_jLin1ELin1ELi4ELi512ELi2EEEvNS0_6detail10TensorInfoIT0_T2_EENSI_IT1_SK_EESK_T_ ; -- Begin function _ZN2at4cuda12_GLOBAL__N_121kernelPointwiseApply2IZNS_6native9templates4cuda28bernoulli_tensor_cuda_kernelIN3c108BFloat16EfEEvRKNS_10TensorBaseESB_NS_15PhiloxCudaStateEEUliRS8_SD_SD_SD_RKfSF_SF_SF_E_S8_SE_jLin1ELin1ELi4ELi512ELi2EEEvNS0_6detail10TensorInfoIT0_T2_EENSI_IT1_SK_EESK_T_
	.p2align	8
	.type	_ZN2at4cuda12_GLOBAL__N_121kernelPointwiseApply2IZNS_6native9templates4cuda28bernoulli_tensor_cuda_kernelIN3c108BFloat16EfEEvRKNS_10TensorBaseESB_NS_15PhiloxCudaStateEEUliRS8_SD_SD_SD_RKfSF_SF_SF_E_S8_SE_jLin1ELin1ELi4ELi512ELi2EEEvNS0_6detail10TensorInfoIT0_T2_EENSI_IT1_SK_EESK_T_,@function
_ZN2at4cuda12_GLOBAL__N_121kernelPointwiseApply2IZNS_6native9templates4cuda28bernoulli_tensor_cuda_kernelIN3c108BFloat16EfEEvRKNS_10TensorBaseESB_NS_15PhiloxCudaStateEEUliRS8_SD_SD_SD_RKfSF_SF_SF_E_S8_SE_jLin1ELin1ELi4ELi512ELi2EEEvNS0_6detail10TensorInfoIT0_T2_EENSI_IT1_SK_EESK_T_: ; @_ZN2at4cuda12_GLOBAL__N_121kernelPointwiseApply2IZNS_6native9templates4cuda28bernoulli_tensor_cuda_kernelIN3c108BFloat16EfEEvRKNS_10TensorBaseESB_NS_15PhiloxCudaStateEEUliRS8_SD_SD_SD_RKfSF_SF_SF_E_S8_SE_jLin1ELin1ELi4ELi512ELi2EEEvNS0_6detail10TensorInfoIT0_T2_EENSI_IT1_SK_EESK_T_
; %bb.0:
	s_clause 0x1
	s_load_b32 s4, s[0:1], 0x1e4
	s_load_b32 s20, s[0:1], 0x1b0
	s_add_u32 s2, s0, 0x1d8
	s_addc_u32 s3, s1, 0
	s_waitcnt lgkmcnt(0)
	s_and_b32 s12, s4, 0xffff
	s_mov_b32 s4, exec_lo
	v_mad_u64_u32 v[1:2], null, s15, s12, v[0:1]
	s_delay_alu instid0(VALU_DEP_1) | instskip(NEXT) | instid1(VALU_DEP_1)
	v_lshlrev_b32_e32 v27, 2, v1
	v_cmpx_gt_u32_e64 s20, v27
	s_cbranch_execz .LBB107_93
; %bb.1:
	s_clause 0x2
	s_load_b32 s16, s[0:1], 0xd0
	s_load_b32 s17, s[0:1], 0x1a8
	;; [unrolled: 1-line block ×4, first 2 shown]
	s_clause 0x1
	s_load_b64 s[2:3], s[0:1], 0x1c8
	s_load_b128 s[4:7], s[0:1], 0x1b8
	s_add_u32 s18, s0, 0xd8
	s_addc_u32 s19, s1, 0
	s_clause 0x3
	s_load_b32 s21, s[0:1], 0x144
	s_load_b64 s[8:9], s[0:1], 0xd8
	s_load_b32 s22, s[0:1], 0x6c
	s_load_b64 s[10:11], s[0:1], 0x0
	s_mov_b32 s13, 0
	v_mad_u64_u32 v[2:3], null, 0xcd9e8d57, v1, 0
	v_mov_b32_e32 v4, 0
                                        ; implicit-def: $sgpr29
                                        ; implicit-def: $sgpr31
                                        ; implicit-def: $sgpr30
                                        ; implicit-def: $sgpr33
                                        ; implicit-def: $sgpr35
                                        ; implicit-def: $sgpr34
                                        ; implicit-def: $sgpr36
	s_delay_alu instid0(VALU_DEP_2)
	v_mov_b32_e32 v28, v3
	s_waitcnt lgkmcnt(0)
	s_cmp_gt_i32 s16, 1
	s_cselect_b32 s23, -1, 0
	s_cmp_gt_i32 s17, 1
	s_mul_i32 s15, s15, s12
	s_cselect_b32 s24, -1, 0
	s_bitcmp1_b32 s14, 0
	s_cselect_b32 s25, -1, 0
	s_add_i32 s12, s16, -1
	s_lshl_b32 s26, s15, 2
	s_lshl_b64 s[14:15], s[12:13], 2
	s_add_i32 s27, s16, 1
	s_add_u32 s0, s14, s0
	s_addc_u32 s1, s15, s1
	s_add_u32 s14, s0, 8
	s_addc_u32 s15, s1, 0
	s_add_i32 s12, s17, -1
	s_add_i32 s28, s17, 1
	s_lshl_b64 s[0:1], s[12:13], 2
                                        ; implicit-def: $sgpr12
	s_delay_alu instid0(SALU_CYCLE_1)
	s_add_u32 s0, s0, s18
	s_addc_u32 s1, s1, s19
	s_add_u32 s16, s0, 8
	s_addc_u32 s17, s1, 0
	s_branch .LBB107_3
.LBB107_2:                              ;   in Loop: Header=BB107_3 Depth=1
	s_or_b32 exec_lo, exec_lo, s1
	s_delay_alu instid0(SALU_CYCLE_1) | instskip(NEXT) | instid1(SALU_CYCLE_1)
	s_and_b32 s0, exec_lo, s0
	s_or_b32 s13, s0, s13
	s_and_not1_b32 s0, s12, exec_lo
	s_and_b32 s1, s36, exec_lo
	s_and_not1_b32 s18, s30, exec_lo
	s_and_b32 s19, s34, exec_lo
	s_or_b32 s12, s0, s1
	s_or_b32 s30, s18, s19
	s_and_not1_b32 s0, s31, exec_lo
	s_and_b32 s1, s35, exec_lo
	s_and_not1_b32 s18, s29, exec_lo
	s_and_b32 s19, s33, exec_lo
	s_or_b32 s31, s0, s1
	s_or_b32 s29, s18, s19
	s_and_not1_b32 exec_lo, exec_lo, s13
	s_cbranch_execz .LBB107_81
.LBB107_3:                              ; =>This Loop Header: Depth=1
                                        ;     Child Loop BB107_6 Depth 2
                                        ;     Child Loop BB107_11 Depth 2
	;; [unrolled: 1-line block ×8, first 2 shown]
	v_sub_nc_u32_e32 v29, s20, v27
	v_mov_b32_e32 v5, 0
	s_delay_alu instid0(VALU_DEP_2) | instskip(NEXT) | instid1(VALU_DEP_1)
	v_cmp_lt_i32_e64 s0, 0, v29
	s_and_saveexec_b32 s1, s0
	s_cbranch_execz .LBB107_8
; %bb.4:                                ;   in Loop: Header=BB107_3 Depth=1
	v_dual_mov_b32 v0, 0 :: v_dual_mov_b32 v3, v27
	s_and_not1_b32 vcc_lo, exec_lo, s23
	s_cbranch_vccnz .LBB107_7
; %bb.5:                                ;   in Loop: Header=BB107_3 Depth=1
	v_dual_mov_b32 v0, 0 :: v_dual_mov_b32 v3, v27
	s_mov_b64 s[18:19], s[14:15]
	s_mov_b32 s37, s27
	s_set_inst_prefetch_distance 0x1
	.p2align	6
.LBB107_6:                              ;   Parent Loop BB107_3 Depth=1
                                        ; =>  This Inner Loop Header: Depth=2
	s_clause 0x1
	s_load_b32 s38, s[18:19], 0x0
	s_load_b32 s39, s[18:19], 0x64
	v_mov_b32_e32 v7, v3
	s_add_i32 s37, s37, -1
	s_waitcnt lgkmcnt(0)
	v_cvt_f32_u32_e32 v5, s38
	s_sub_i32 s40, 0, s38
	s_add_u32 s18, s18, -4
	s_addc_u32 s19, s19, -1
	s_cmp_gt_u32 s37, 2
	v_rcp_iflag_f32_e32 v5, v5
	s_waitcnt_depctr 0xfff
	v_mul_f32_e32 v5, 0x4f7ffffe, v5
	s_delay_alu instid0(VALU_DEP_1) | instskip(NEXT) | instid1(VALU_DEP_1)
	v_cvt_u32_f32_e32 v5, v5
	v_mul_lo_u32 v6, s40, v5
	s_delay_alu instid0(VALU_DEP_1) | instskip(NEXT) | instid1(VALU_DEP_1)
	v_mul_hi_u32 v6, v5, v6
	v_add_nc_u32_e32 v3, v5, v6
	s_delay_alu instid0(VALU_DEP_1) | instskip(NEXT) | instid1(VALU_DEP_1)
	v_mul_hi_u32 v3, v7, v3
	v_add_nc_u32_e32 v6, 1, v3
	v_mul_lo_u32 v5, v3, s38
	s_delay_alu instid0(VALU_DEP_1) | instskip(NEXT) | instid1(VALU_DEP_1)
	v_sub_nc_u32_e32 v5, v7, v5
	v_subrev_nc_u32_e32 v8, s38, v5
	v_cmp_le_u32_e32 vcc_lo, s38, v5
	v_cndmask_b32_e32 v3, v3, v6, vcc_lo
	s_delay_alu instid0(VALU_DEP_1) | instskip(NEXT) | instid1(VALU_DEP_1)
	v_dual_cndmask_b32 v5, v5, v8 :: v_dual_add_nc_u32 v6, 1, v3
	v_cmp_le_u32_e32 vcc_lo, s38, v5
	s_delay_alu instid0(VALU_DEP_2) | instskip(NEXT) | instid1(VALU_DEP_1)
	v_cndmask_b32_e32 v3, v3, v6, vcc_lo
	v_mul_lo_u32 v5, v3, s38
	s_delay_alu instid0(VALU_DEP_1) | instskip(NEXT) | instid1(VALU_DEP_1)
	v_sub_nc_u32_e32 v7, v7, v5
	v_mad_u64_u32 v[5:6], null, s39, v7, v[0:1]
	s_delay_alu instid0(VALU_DEP_1)
	v_mov_b32_e32 v0, v5
	s_cbranch_scc1 .LBB107_6
.LBB107_7:                              ;   in Loop: Header=BB107_3 Depth=1
	s_set_inst_prefetch_distance 0x2
	s_delay_alu instid0(VALU_DEP_1)
	v_mad_u64_u32 v[5:6], null, s22, v3, v[0:1]
.LBB107_8:                              ;   in Loop: Header=BB107_3 Depth=1
	s_or_b32 exec_lo, exec_lo, s1
	v_mov_b32_e32 v3, 0
	s_and_saveexec_b32 s18, s0
	s_cbranch_execz .LBB107_13
; %bb.9:                                ;   in Loop: Header=BB107_3 Depth=1
	v_dual_mov_b32 v0, 0 :: v_dual_mov_b32 v3, v27
	s_and_not1_b32 vcc_lo, exec_lo, s24
	s_cbranch_vccnz .LBB107_12
; %bb.10:                               ;   in Loop: Header=BB107_3 Depth=1
	v_dual_mov_b32 v0, 0 :: v_dual_mov_b32 v3, v27
	s_mov_b64 s[0:1], s[16:17]
	s_mov_b32 s19, s28
	s_set_inst_prefetch_distance 0x1
	.p2align	6
.LBB107_11:                             ;   Parent Loop BB107_3 Depth=1
                                        ; =>  This Inner Loop Header: Depth=2
	s_clause 0x1
	s_load_b32 s37, s[0:1], 0x0
	s_load_b32 s38, s[0:1], 0x64
	s_add_i32 s19, s19, -1
	s_waitcnt lgkmcnt(0)
	v_cvt_f32_u32_e32 v6, s37
	s_sub_i32 s39, 0, s37
	s_add_u32 s0, s0, -4
	s_addc_u32 s1, s1, -1
	s_cmp_gt_u32 s19, 2
	v_rcp_iflag_f32_e32 v6, v6
	s_waitcnt_depctr 0xfff
	v_mul_f32_e32 v6, 0x4f7ffffe, v6
	s_delay_alu instid0(VALU_DEP_1) | instskip(NEXT) | instid1(VALU_DEP_1)
	v_cvt_u32_f32_e32 v6, v6
	v_mul_lo_u32 v7, s39, v6
	s_delay_alu instid0(VALU_DEP_1) | instskip(NEXT) | instid1(VALU_DEP_1)
	v_mul_hi_u32 v7, v6, v7
	v_dual_mov_b32 v8, v3 :: v_dual_add_nc_u32 v3, v6, v7
	s_delay_alu instid0(VALU_DEP_1) | instskip(NEXT) | instid1(VALU_DEP_1)
	v_mul_hi_u32 v3, v8, v3
	v_mul_lo_u32 v6, v3, s37
	v_add_nc_u32_e32 v7, 1, v3
	s_delay_alu instid0(VALU_DEP_2) | instskip(NEXT) | instid1(VALU_DEP_1)
	v_sub_nc_u32_e32 v6, v8, v6
	v_subrev_nc_u32_e32 v9, s37, v6
	v_cmp_le_u32_e32 vcc_lo, s37, v6
	s_delay_alu instid0(VALU_DEP_2) | instskip(NEXT) | instid1(VALU_DEP_1)
	v_dual_cndmask_b32 v3, v3, v7 :: v_dual_cndmask_b32 v6, v6, v9
	v_add_nc_u32_e32 v7, 1, v3
	s_delay_alu instid0(VALU_DEP_2) | instskip(NEXT) | instid1(VALU_DEP_2)
	v_cmp_le_u32_e32 vcc_lo, s37, v6
	v_cndmask_b32_e32 v3, v3, v7, vcc_lo
	s_delay_alu instid0(VALU_DEP_1) | instskip(NEXT) | instid1(VALU_DEP_1)
	v_mul_lo_u32 v6, v3, s37
	v_sub_nc_u32_e32 v8, v8, v6
	s_delay_alu instid0(VALU_DEP_1) | instskip(NEXT) | instid1(VALU_DEP_1)
	v_mad_u64_u32 v[6:7], null, s38, v8, v[0:1]
	v_mov_b32_e32 v0, v6
	s_cbranch_scc1 .LBB107_11
.LBB107_12:                             ;   in Loop: Header=BB107_3 Depth=1
	s_set_inst_prefetch_distance 0x2
	s_delay_alu instid0(VALU_DEP_1) | instskip(NEXT) | instid1(VALU_DEP_1)
	v_mad_u64_u32 v[6:7], null, s21, v3, v[0:1]
	v_mov_b32_e32 v3, v6
.LBB107_13:                             ;   in Loop: Header=BB107_3 Depth=1
	s_or_b32 exec_lo, exec_lo, s18
	v_or_b32_e32 v8, 1, v27
	v_cmp_lt_i32_e64 s0, 1, v29
	v_mov_b32_e32 v6, 0
	s_delay_alu instid0(VALU_DEP_2)
	s_and_saveexec_b32 s1, s0
	s_cbranch_execz .LBB107_18
; %bb.14:                               ;   in Loop: Header=BB107_3 Depth=1
	v_dual_mov_b32 v0, 0 :: v_dual_mov_b32 v9, v8
	s_and_not1_b32 vcc_lo, exec_lo, s23
	s_cbranch_vccnz .LBB107_17
; %bb.15:                               ;   in Loop: Header=BB107_3 Depth=1
	v_dual_mov_b32 v0, 0 :: v_dual_mov_b32 v9, v8
	s_mov_b64 s[18:19], s[14:15]
	s_mov_b32 s37, s27
	s_set_inst_prefetch_distance 0x1
	.p2align	6
.LBB107_16:                             ;   Parent Loop BB107_3 Depth=1
                                        ; =>  This Inner Loop Header: Depth=2
	s_clause 0x1
	s_load_b32 s38, s[18:19], 0x0
	s_load_b32 s39, s[18:19], 0x64
	v_mov_b32_e32 v10, v9
	s_add_i32 s37, s37, -1
	s_waitcnt lgkmcnt(0)
	v_cvt_f32_u32_e32 v6, s38
	s_sub_i32 s40, 0, s38
	s_add_u32 s18, s18, -4
	s_addc_u32 s19, s19, -1
	s_cmp_gt_u32 s37, 2
	v_rcp_iflag_f32_e32 v6, v6
	s_waitcnt_depctr 0xfff
	v_mul_f32_e32 v6, 0x4f7ffffe, v6
	s_delay_alu instid0(VALU_DEP_1) | instskip(NEXT) | instid1(VALU_DEP_1)
	v_cvt_u32_f32_e32 v6, v6
	v_mul_lo_u32 v7, s40, v6
	s_delay_alu instid0(VALU_DEP_1) | instskip(NEXT) | instid1(VALU_DEP_1)
	v_mul_hi_u32 v7, v6, v7
	v_add_nc_u32_e32 v6, v6, v7
	s_delay_alu instid0(VALU_DEP_1) | instskip(NEXT) | instid1(VALU_DEP_1)
	v_mul_hi_u32 v6, v10, v6
	v_mul_lo_u32 v7, v6, s38
	v_add_nc_u32_e32 v9, 1, v6
	s_delay_alu instid0(VALU_DEP_2) | instskip(NEXT) | instid1(VALU_DEP_1)
	v_sub_nc_u32_e32 v7, v10, v7
	v_subrev_nc_u32_e32 v11, s38, v7
	v_cmp_le_u32_e32 vcc_lo, s38, v7
	s_delay_alu instid0(VALU_DEP_2) | instskip(NEXT) | instid1(VALU_DEP_1)
	v_dual_cndmask_b32 v7, v7, v11 :: v_dual_cndmask_b32 v6, v6, v9
	v_cmp_le_u32_e32 vcc_lo, s38, v7
	s_delay_alu instid0(VALU_DEP_2) | instskip(NEXT) | instid1(VALU_DEP_1)
	v_add_nc_u32_e32 v9, 1, v6
	v_cndmask_b32_e32 v9, v6, v9, vcc_lo
	s_delay_alu instid0(VALU_DEP_1) | instskip(NEXT) | instid1(VALU_DEP_1)
	v_mul_lo_u32 v6, v9, s38
	v_sub_nc_u32_e32 v10, v10, v6
	s_delay_alu instid0(VALU_DEP_1) | instskip(NEXT) | instid1(VALU_DEP_1)
	v_mad_u64_u32 v[6:7], null, s39, v10, v[0:1]
	v_mov_b32_e32 v0, v6
	s_cbranch_scc1 .LBB107_16
.LBB107_17:                             ;   in Loop: Header=BB107_3 Depth=1
	s_set_inst_prefetch_distance 0x2
	s_delay_alu instid0(VALU_DEP_1)
	v_mad_u64_u32 v[6:7], null, s22, v9, v[0:1]
.LBB107_18:                             ;   in Loop: Header=BB107_3 Depth=1
	s_or_b32 exec_lo, exec_lo, s1
	v_mov_b32_e32 v10, 0
	s_and_saveexec_b32 s18, s0
	s_cbranch_execz .LBB107_23
; %bb.19:                               ;   in Loop: Header=BB107_3 Depth=1
	v_mov_b32_e32 v0, 0
	s_and_not1_b32 vcc_lo, exec_lo, s24
	s_cbranch_vccnz .LBB107_22
; %bb.20:                               ;   in Loop: Header=BB107_3 Depth=1
	v_mov_b32_e32 v0, 0
	s_mov_b64 s[0:1], s[16:17]
	s_mov_b32 s19, s28
	s_set_inst_prefetch_distance 0x1
	.p2align	6
.LBB107_21:                             ;   Parent Loop BB107_3 Depth=1
                                        ; =>  This Inner Loop Header: Depth=2
	s_clause 0x1
	s_load_b32 s37, s[0:1], 0x0
	s_load_b32 s38, s[0:1], 0x64
	s_add_i32 s19, s19, -1
	v_mov_b32_e32 v10, v8
	s_waitcnt lgkmcnt(0)
	v_cvt_f32_u32_e32 v7, s37
	s_sub_i32 s39, 0, s37
	s_add_u32 s0, s0, -4
	s_addc_u32 s1, s1, -1
	s_cmp_gt_u32 s19, 2
	v_rcp_iflag_f32_e32 v7, v7
	s_waitcnt_depctr 0xfff
	v_mul_f32_e32 v7, 0x4f7ffffe, v7
	s_delay_alu instid0(VALU_DEP_1) | instskip(NEXT) | instid1(VALU_DEP_1)
	v_cvt_u32_f32_e32 v7, v7
	v_mul_lo_u32 v9, s39, v7
	s_delay_alu instid0(VALU_DEP_1) | instskip(NEXT) | instid1(VALU_DEP_1)
	v_mul_hi_u32 v9, v7, v9
	v_add_nc_u32_e32 v7, v7, v9
	s_delay_alu instid0(VALU_DEP_1) | instskip(NEXT) | instid1(VALU_DEP_1)
	v_mul_hi_u32 v7, v10, v7
	v_mul_lo_u32 v8, v7, s37
	v_add_nc_u32_e32 v9, 1, v7
	s_delay_alu instid0(VALU_DEP_2) | instskip(NEXT) | instid1(VALU_DEP_1)
	v_sub_nc_u32_e32 v8, v10, v8
	v_subrev_nc_u32_e32 v11, s37, v8
	v_cmp_le_u32_e32 vcc_lo, s37, v8
	s_delay_alu instid0(VALU_DEP_2) | instskip(NEXT) | instid1(VALU_DEP_1)
	v_dual_cndmask_b32 v8, v8, v11 :: v_dual_cndmask_b32 v7, v7, v9
	v_cmp_le_u32_e32 vcc_lo, s37, v8
	s_delay_alu instid0(VALU_DEP_2) | instskip(NEXT) | instid1(VALU_DEP_1)
	v_add_nc_u32_e32 v9, 1, v7
	v_cndmask_b32_e32 v8, v7, v9, vcc_lo
	s_delay_alu instid0(VALU_DEP_1) | instskip(NEXT) | instid1(VALU_DEP_1)
	v_mul_lo_u32 v7, v8, s37
	v_sub_nc_u32_e32 v7, v10, v7
	s_delay_alu instid0(VALU_DEP_1) | instskip(NEXT) | instid1(VALU_DEP_1)
	v_mad_u64_u32 v[9:10], null, s38, v7, v[0:1]
	v_mov_b32_e32 v0, v9
	s_cbranch_scc1 .LBB107_21
.LBB107_22:                             ;   in Loop: Header=BB107_3 Depth=1
	s_set_inst_prefetch_distance 0x2
	s_delay_alu instid0(VALU_DEP_1)
	v_mad_u64_u32 v[10:11], null, s21, v8, v[0:1]
.LBB107_23:                             ;   in Loop: Header=BB107_3 Depth=1
	s_or_b32 exec_lo, exec_lo, s18
	v_or_b32_e32 v9, 2, v27
	v_cmp_lt_i32_e64 s0, 2, v29
	v_mov_b32_e32 v7, 0
	s_delay_alu instid0(VALU_DEP_2)
	s_and_saveexec_b32 s1, s0
	s_cbranch_execz .LBB107_28
; %bb.24:                               ;   in Loop: Header=BB107_3 Depth=1
	v_dual_mov_b32 v0, 0 :: v_dual_mov_b32 v11, v9
	s_and_not1_b32 vcc_lo, exec_lo, s23
	s_cbranch_vccnz .LBB107_27
; %bb.25:                               ;   in Loop: Header=BB107_3 Depth=1
	v_dual_mov_b32 v0, 0 :: v_dual_mov_b32 v11, v9
	s_mov_b64 s[18:19], s[14:15]
	s_mov_b32 s37, s27
	s_set_inst_prefetch_distance 0x1
	.p2align	6
.LBB107_26:                             ;   Parent Loop BB107_3 Depth=1
                                        ; =>  This Inner Loop Header: Depth=2
	s_clause 0x1
	s_load_b32 s38, s[18:19], 0x0
	s_load_b32 s39, s[18:19], 0x64
	s_add_i32 s37, s37, -1
	v_mov_b32_e32 v12, v11
	s_waitcnt lgkmcnt(0)
	v_cvt_f32_u32_e32 v7, s38
	s_sub_i32 s40, 0, s38
	s_add_u32 s18, s18, -4
	s_addc_u32 s19, s19, -1
	s_cmp_gt_u32 s37, 2
	v_rcp_iflag_f32_e32 v7, v7
	s_waitcnt_depctr 0xfff
	v_mul_f32_e32 v7, 0x4f7ffffe, v7
	s_delay_alu instid0(VALU_DEP_1) | instskip(NEXT) | instid1(VALU_DEP_1)
	v_cvt_u32_f32_e32 v7, v7
	v_mul_lo_u32 v8, s40, v7
	s_delay_alu instid0(VALU_DEP_1) | instskip(NEXT) | instid1(VALU_DEP_1)
	v_mul_hi_u32 v8, v7, v8
	v_add_nc_u32_e32 v7, v7, v8
	s_delay_alu instid0(VALU_DEP_1) | instskip(NEXT) | instid1(VALU_DEP_1)
	v_mul_hi_u32 v7, v12, v7
	v_mul_lo_u32 v8, v7, s38
	v_add_nc_u32_e32 v11, 1, v7
	s_delay_alu instid0(VALU_DEP_2) | instskip(NEXT) | instid1(VALU_DEP_1)
	v_sub_nc_u32_e32 v8, v12, v8
	v_subrev_nc_u32_e32 v13, s38, v8
	v_cmp_le_u32_e32 vcc_lo, s38, v8
	s_delay_alu instid0(VALU_DEP_2) | instskip(NEXT) | instid1(VALU_DEP_1)
	v_dual_cndmask_b32 v7, v7, v11 :: v_dual_cndmask_b32 v8, v8, v13
	v_add_nc_u32_e32 v11, 1, v7
	s_delay_alu instid0(VALU_DEP_2) | instskip(NEXT) | instid1(VALU_DEP_2)
	v_cmp_le_u32_e32 vcc_lo, s38, v8
	v_cndmask_b32_e32 v11, v7, v11, vcc_lo
	s_delay_alu instid0(VALU_DEP_1) | instskip(NEXT) | instid1(VALU_DEP_1)
	v_mul_lo_u32 v7, v11, s38
	v_sub_nc_u32_e32 v12, v12, v7
	s_delay_alu instid0(VALU_DEP_1) | instskip(NEXT) | instid1(VALU_DEP_1)
	v_mad_u64_u32 v[7:8], null, s39, v12, v[0:1]
	v_mov_b32_e32 v0, v7
	s_cbranch_scc1 .LBB107_26
.LBB107_27:                             ;   in Loop: Header=BB107_3 Depth=1
	s_set_inst_prefetch_distance 0x2
	s_delay_alu instid0(VALU_DEP_1)
	v_mad_u64_u32 v[7:8], null, s22, v11, v[0:1]
.LBB107_28:                             ;   in Loop: Header=BB107_3 Depth=1
	s_or_b32 exec_lo, exec_lo, s1
	v_mov_b32_e32 v12, 0
	v_mov_b32_e32 v13, 0
	s_and_saveexec_b32 s18, s0
	s_cbranch_execz .LBB107_33
; %bb.29:                               ;   in Loop: Header=BB107_3 Depth=1
	v_mov_b32_e32 v0, 0
	s_and_not1_b32 vcc_lo, exec_lo, s24
	s_cbranch_vccnz .LBB107_32
; %bb.30:                               ;   in Loop: Header=BB107_3 Depth=1
	v_mov_b32_e32 v0, 0
	s_mov_b64 s[0:1], s[16:17]
	s_mov_b32 s19, s28
	s_set_inst_prefetch_distance 0x1
	.p2align	6
.LBB107_31:                             ;   Parent Loop BB107_3 Depth=1
                                        ; =>  This Inner Loop Header: Depth=2
	s_clause 0x1
	s_load_b32 s37, s[0:1], 0x0
	s_load_b32 s38, s[0:1], 0x64
	v_mov_b32_e32 v12, v9
	s_add_i32 s19, s19, -1
	s_waitcnt lgkmcnt(0)
	v_cvt_f32_u32_e32 v8, s37
	s_sub_i32 s39, 0, s37
	s_add_u32 s0, s0, -4
	s_addc_u32 s1, s1, -1
	s_cmp_gt_u32 s19, 2
	v_rcp_iflag_f32_e32 v8, v8
	s_waitcnt_depctr 0xfff
	v_mul_f32_e32 v8, 0x4f7ffffe, v8
	s_delay_alu instid0(VALU_DEP_1) | instskip(NEXT) | instid1(VALU_DEP_1)
	v_cvt_u32_f32_e32 v8, v8
	v_mul_lo_u32 v11, s39, v8
	s_delay_alu instid0(VALU_DEP_1) | instskip(NEXT) | instid1(VALU_DEP_1)
	v_mul_hi_u32 v11, v8, v11
	v_add_nc_u32_e32 v8, v8, v11
	s_delay_alu instid0(VALU_DEP_1) | instskip(NEXT) | instid1(VALU_DEP_1)
	v_mul_hi_u32 v8, v12, v8
	v_mul_lo_u32 v9, v8, s37
	v_add_nc_u32_e32 v11, 1, v8
	s_delay_alu instid0(VALU_DEP_2) | instskip(NEXT) | instid1(VALU_DEP_1)
	v_sub_nc_u32_e32 v9, v12, v9
	v_subrev_nc_u32_e32 v13, s37, v9
	v_cmp_le_u32_e32 vcc_lo, s37, v9
	s_delay_alu instid0(VALU_DEP_2) | instskip(NEXT) | instid1(VALU_DEP_1)
	v_dual_cndmask_b32 v9, v9, v13 :: v_dual_cndmask_b32 v8, v8, v11
	v_cmp_le_u32_e32 vcc_lo, s37, v9
	s_delay_alu instid0(VALU_DEP_2) | instskip(NEXT) | instid1(VALU_DEP_1)
	v_add_nc_u32_e32 v11, 1, v8
	v_cndmask_b32_e32 v9, v8, v11, vcc_lo
	s_delay_alu instid0(VALU_DEP_1) | instskip(NEXT) | instid1(VALU_DEP_1)
	v_mul_lo_u32 v8, v9, s37
	v_sub_nc_u32_e32 v8, v12, v8
	s_delay_alu instid0(VALU_DEP_1) | instskip(NEXT) | instid1(VALU_DEP_1)
	v_mad_u64_u32 v[11:12], null, s38, v8, v[0:1]
	v_mov_b32_e32 v0, v11
	s_cbranch_scc1 .LBB107_31
.LBB107_32:                             ;   in Loop: Header=BB107_3 Depth=1
	s_set_inst_prefetch_distance 0x2
	s_delay_alu instid0(VALU_DEP_1)
	v_mad_u64_u32 v[12:13], null, s21, v9, v[0:1]
	v_mov_b32_e32 v13, v4
.LBB107_33:                             ;   in Loop: Header=BB107_3 Depth=1
	s_or_b32 exec_lo, exec_lo, s18
	v_mov_b32_e32 v8, 0
	v_or_b32_e32 v11, 3, v27
	v_mov_b32_e32 v9, 0
	v_cmp_lt_i32_e64 s0, 3, v29
	s_delay_alu instid0(VALU_DEP_1)
	s_and_saveexec_b32 s1, s0
	s_cbranch_execz .LBB107_38
; %bb.34:                               ;   in Loop: Header=BB107_3 Depth=1
	v_mov_b32_e32 v0, 0
	v_mov_b32_e32 v14, v11
	s_and_not1_b32 vcc_lo, exec_lo, s23
	s_cbranch_vccnz .LBB107_37
; %bb.35:                               ;   in Loop: Header=BB107_3 Depth=1
	v_mov_b32_e32 v0, 0
	v_mov_b32_e32 v14, v11
	s_mov_b64 s[18:19], s[14:15]
	s_mov_b32 s37, s27
	s_set_inst_prefetch_distance 0x1
	.p2align	6
.LBB107_36:                             ;   Parent Loop BB107_3 Depth=1
                                        ; =>  This Inner Loop Header: Depth=2
	s_clause 0x1
	s_load_b32 s38, s[18:19], 0x0
	s_load_b32 s39, s[18:19], 0x64
	s_add_i32 s37, s37, -1
	v_mov_b32_e32 v15, v14
	s_waitcnt lgkmcnt(0)
	v_cvt_f32_u32_e32 v8, s38
	s_sub_i32 s40, 0, s38
	s_add_u32 s18, s18, -4
	s_addc_u32 s19, s19, -1
	s_cmp_gt_u32 s37, 2
	v_rcp_iflag_f32_e32 v8, v8
	s_waitcnt_depctr 0xfff
	v_mul_f32_e32 v8, 0x4f7ffffe, v8
	s_delay_alu instid0(VALU_DEP_1) | instskip(NEXT) | instid1(VALU_DEP_1)
	v_cvt_u32_f32_e32 v8, v8
	v_mul_lo_u32 v9, s40, v8
	s_delay_alu instid0(VALU_DEP_1) | instskip(NEXT) | instid1(VALU_DEP_1)
	v_mul_hi_u32 v9, v8, v9
	v_add_nc_u32_e32 v8, v8, v9
	s_delay_alu instid0(VALU_DEP_1) | instskip(NEXT) | instid1(VALU_DEP_1)
	v_mul_hi_u32 v8, v15, v8
	v_mul_lo_u32 v9, v8, s38
	v_add_nc_u32_e32 v14, 1, v8
	s_delay_alu instid0(VALU_DEP_2) | instskip(NEXT) | instid1(VALU_DEP_1)
	v_sub_nc_u32_e32 v9, v15, v9
	v_subrev_nc_u32_e32 v16, s38, v9
	v_cmp_le_u32_e32 vcc_lo, s38, v9
	s_delay_alu instid0(VALU_DEP_2) | instskip(NEXT) | instid1(VALU_DEP_1)
	v_dual_cndmask_b32 v9, v9, v16 :: v_dual_cndmask_b32 v8, v8, v14
	v_cmp_le_u32_e32 vcc_lo, s38, v9
	s_delay_alu instid0(VALU_DEP_2) | instskip(NEXT) | instid1(VALU_DEP_1)
	v_add_nc_u32_e32 v14, 1, v8
	v_cndmask_b32_e32 v14, v8, v14, vcc_lo
	s_delay_alu instid0(VALU_DEP_1) | instskip(NEXT) | instid1(VALU_DEP_1)
	v_mul_lo_u32 v8, v14, s38
	v_sub_nc_u32_e32 v15, v15, v8
	s_delay_alu instid0(VALU_DEP_1) | instskip(NEXT) | instid1(VALU_DEP_1)
	v_mad_u64_u32 v[8:9], null, s39, v15, v[0:1]
	v_mov_b32_e32 v0, v8
	s_cbranch_scc1 .LBB107_36
.LBB107_37:                             ;   in Loop: Header=BB107_3 Depth=1
	s_set_inst_prefetch_distance 0x2
	s_delay_alu instid0(VALU_DEP_1)
	v_mad_u64_u32 v[8:9], null, s22, v14, v[0:1]
	v_mov_b32_e32 v9, v4
.LBB107_38:                             ;   in Loop: Header=BB107_3 Depth=1
	s_or_b32 exec_lo, exec_lo, s1
	v_mov_b32_e32 v14, 0
	v_mov_b32_e32 v15, 0
	s_and_saveexec_b32 s18, s0
	s_cbranch_execz .LBB107_43
; %bb.39:                               ;   in Loop: Header=BB107_3 Depth=1
	v_mov_b32_e32 v0, 0
	s_and_not1_b32 vcc_lo, exec_lo, s24
	s_cbranch_vccnz .LBB107_42
; %bb.40:                               ;   in Loop: Header=BB107_3 Depth=1
	v_mov_b32_e32 v0, 0
	s_mov_b64 s[0:1], s[16:17]
	s_mov_b32 s19, s28
	s_set_inst_prefetch_distance 0x1
	.p2align	6
.LBB107_41:                             ;   Parent Loop BB107_3 Depth=1
                                        ; =>  This Inner Loop Header: Depth=2
	s_clause 0x1
	s_load_b32 s37, s[0:1], 0x0
	s_load_b32 s38, s[0:1], 0x64
	s_add_i32 s19, s19, -1
	s_waitcnt lgkmcnt(0)
	v_cvt_f32_u32_e32 v14, s37
	s_sub_i32 s39, 0, s37
	s_add_u32 s0, s0, -4
	s_addc_u32 s1, s1, -1
	s_cmp_gt_u32 s19, 2
	v_rcp_iflag_f32_e32 v14, v14
	s_waitcnt_depctr 0xfff
	v_mul_f32_e32 v14, 0x4f7ffffe, v14
	s_delay_alu instid0(VALU_DEP_1) | instskip(NEXT) | instid1(VALU_DEP_1)
	v_cvt_u32_f32_e32 v14, v14
	v_mul_lo_u32 v15, s39, v14
	s_delay_alu instid0(VALU_DEP_1) | instskip(NEXT) | instid1(VALU_DEP_1)
	v_mul_hi_u32 v15, v14, v15
	v_dual_mov_b32 v16, v11 :: v_dual_add_nc_u32 v11, v14, v15
	s_delay_alu instid0(VALU_DEP_1) | instskip(NEXT) | instid1(VALU_DEP_1)
	v_mul_hi_u32 v11, v16, v11
	v_mul_lo_u32 v14, v11, s37
	v_add_nc_u32_e32 v15, 1, v11
	s_delay_alu instid0(VALU_DEP_2) | instskip(NEXT) | instid1(VALU_DEP_1)
	v_sub_nc_u32_e32 v14, v16, v14
	v_subrev_nc_u32_e32 v17, s37, v14
	v_cmp_le_u32_e32 vcc_lo, s37, v14
	s_delay_alu instid0(VALU_DEP_2) | instskip(NEXT) | instid1(VALU_DEP_1)
	v_dual_cndmask_b32 v11, v11, v15 :: v_dual_cndmask_b32 v14, v14, v17
	v_add_nc_u32_e32 v15, 1, v11
	s_delay_alu instid0(VALU_DEP_2) | instskip(NEXT) | instid1(VALU_DEP_2)
	v_cmp_le_u32_e32 vcc_lo, s37, v14
	v_cndmask_b32_e32 v11, v11, v15, vcc_lo
	s_delay_alu instid0(VALU_DEP_1) | instskip(NEXT) | instid1(VALU_DEP_1)
	v_mul_lo_u32 v14, v11, s37
	v_sub_nc_u32_e32 v16, v16, v14
	s_delay_alu instid0(VALU_DEP_1) | instskip(NEXT) | instid1(VALU_DEP_1)
	v_mad_u64_u32 v[14:15], null, s38, v16, v[0:1]
	v_mov_b32_e32 v0, v14
	s_cbranch_scc1 .LBB107_41
.LBB107_42:                             ;   in Loop: Header=BB107_3 Depth=1
	s_set_inst_prefetch_distance 0x2
	s_delay_alu instid0(VALU_DEP_1)
	v_mad_u64_u32 v[14:15], null, s21, v11, v[0:1]
	v_mov_b32_e32 v15, v4
.LBB107_43:                             ;   in Loop: Header=BB107_3 Depth=1
	s_or_b32 exec_lo, exec_lo, s18
	v_mov_b32_e32 v11, v4
	v_lshlrev_b64 v[16:17], 2, v[3:4]
	v_lshlrev_b64 v[12:13], 2, v[12:13]
	;; [unrolled: 1-line block ×3, first 2 shown]
	s_delay_alu instid0(VALU_DEP_4) | instskip(NEXT) | instid1(VALU_DEP_4)
	v_lshlrev_b64 v[10:11], 2, v[10:11]
	v_add_co_u32 v16, vcc_lo, s8, v16
	v_add_co_ci_u32_e32 v17, vcc_lo, s9, v17, vcc_lo
	s_delay_alu instid0(VALU_DEP_3) | instskip(NEXT) | instid1(VALU_DEP_4)
	v_add_co_u32 v10, vcc_lo, s8, v10
	v_add_co_ci_u32_e32 v11, vcc_lo, s9, v11, vcc_lo
	v_add_co_u32 v12, vcc_lo, s8, v12
	v_add_co_ci_u32_e32 v13, vcc_lo, s9, v13, vcc_lo
	;; [unrolled: 2-line block ×3, first 2 shown]
	s_clause 0x3
	global_load_b32 v0, v[16:17], off
	global_load_b32 v3, v[10:11], off
	;; [unrolled: 1-line block ×4, first 2 shown]
	v_mov_b32_e32 v15, s7
	v_dual_mov_b32 v17, s5 :: v_dual_mov_b32 v16, s4
	v_mov_b32_e32 v14, s6
	s_and_not1_b32 vcc_lo, exec_lo, s25
	s_cbranch_vccnz .LBB107_45
; %bb.44:                               ;   in Loop: Header=BB107_3 Depth=1
	v_dual_mov_b32 v11, s7 :: v_dual_mov_b32 v10, s6
	v_dual_mov_b32 v13, s5 :: v_dual_mov_b32 v12, s4
	flat_load_b64 v[10:11], v[10:11]
	flat_load_b64 v[16:17], v[12:13]
	s_waitcnt vmcnt(1) lgkmcnt(1)
	v_add_co_u32 v14, vcc_lo, v10, s2
	v_add_co_ci_u32_e32 v15, vcc_lo, s3, v11, vcc_lo
.LBB107_45:                             ;   in Loop: Header=BB107_3 Depth=1
	s_delay_alu instid0(VALU_DEP_1)
	v_alignbit_b32 v13, v15, v14, 2
	v_lshrrev_b32_e32 v12, 2, v15
	s_waitcnt vmcnt(0) lgkmcnt(0)
	v_add_nc_u32_e32 v32, 0x9e3779b9, v16
	v_add_nc_u32_e32 v34, 0x76cf5d0a, v17
	;; [unrolled: 1-line block ×3, first 2 shown]
	v_add_co_u32 v15, vcc_lo, v13, 1
	s_delay_alu instid0(VALU_DEP_1) | instskip(SKIP_4) | instid1(VALU_DEP_4)
	v_cndmask_b32_e64 v10, 0, 1, vcc_lo
	v_add_co_ci_u32_e32 v24, vcc_lo, 0, v12, vcc_lo
	v_xor3_b32 v20, v28, v16, v12
	v_add_nc_u32_e32 v36, 0x32370b8f, v17
	v_add_nc_u32_e32 v37, 0xed9eba14, v17
	v_cmp_eq_u32_e32 vcc_lo, 0, v24
	v_add_nc_u32_e32 v38, 0x1715609d, v16
	v_add_nc_u32_e32 v39, 0xa9066899, v17
	s_mov_b32 s0, exec_lo
	v_dual_cndmask_b32 v18, 0, v10 :: v_dual_add_nc_u32 v33, 0xbb67ae85, v17
	v_mad_u64_u32 v[10:11], null, 0xd2511f53, v15, 0
	s_delay_alu instid0(VALU_DEP_2) | instskip(NEXT) | instid1(VALU_DEP_2)
	v_add_nc_u32_e32 v15, v18, v1
	v_xor_b32_e32 v19, v11, v17
	s_delay_alu instid0(VALU_DEP_2) | instskip(SKIP_2) | instid1(VALU_DEP_1)
	v_cmp_eq_u32_e32 vcc_lo, 0, v15
	v_mad_u64_u32 v[11:12], null, 0xd2511f53, v13, 0
	v_cndmask_b32_e32 v18, 0, v18, vcc_lo
	v_xor_b32_e32 v13, v18, v19
	v_mad_u64_u32 v[18:19], null, 0xd2511f53, v20, 0
	v_mad_u64_u32 v[20:21], null, 0xcd9e8d57, v15, 0
	s_delay_alu instid0(VALU_DEP_3) | instskip(SKIP_3) | instid1(VALU_DEP_3)
	v_mad_u64_u32 v[22:23], null, 0xcd9e8d57, v13, 0
	v_xor_b32_e32 v13, v12, v17
	v_add_nc_u32_e32 v15, 0x3c6ef372, v16
	v_xor3_b32 v25, v33, v19, v11
	v_mad_u64_u32 v[11:12], null, 0xcd9e8d57, v13, 0
	v_xor3_b32 v13, v21, v16, v24
	v_xor3_b32 v21, v32, v23, v20
	s_delay_alu instid0(VALU_DEP_4) | instskip(NEXT) | instid1(VALU_DEP_3)
	v_mad_u64_u32 v[19:20], null, 0xcd9e8d57, v25, 0
	v_mad_u64_u32 v[23:24], null, 0xd2511f53, v13, 0
	s_delay_alu instid0(VALU_DEP_3) | instskip(SKIP_1) | instid1(VALU_DEP_4)
	v_mad_u64_u32 v[25:26], null, 0xd2511f53, v21, 0
	v_xor3_b32 v13, v2, v12, v32
	v_xor3_b32 v32, v15, v20, v11
	s_delay_alu instid0(VALU_DEP_4) | instskip(NEXT) | instid1(VALU_DEP_3)
	v_xor3_b32 v10, v33, v24, v10
	v_mad_u64_u32 v[11:12], null, 0xd2511f53, v13, 0
	v_xor3_b32 v13, v34, v26, v23
	s_delay_alu instid0(VALU_DEP_4) | instskip(NEXT) | instid1(VALU_DEP_4)
	v_mad_u64_u32 v[20:21], null, 0xd2511f53, v32, 0
	v_mad_u64_u32 v[23:24], null, 0xcd9e8d57, v10, 0
	s_delay_alu instid0(VALU_DEP_3) | instskip(SKIP_4) | instid1(VALU_DEP_4)
	v_mad_u64_u32 v[32:33], null, 0xcd9e8d57, v13, 0
	v_xor3_b32 v12, v34, v12, v18
	v_add_nc_u32_e32 v26, 0x78dde6e4, v16
	v_xor3_b32 v18, v36, v21, v11
	v_xor3_b32 v15, v15, v24, v22
	v_mad_u64_u32 v[10:11], null, 0xcd9e8d57, v12, 0
	v_xor3_b32 v33, v35, v33, v23
	s_delay_alu instid0(VALU_DEP_4) | instskip(NEXT) | instid1(VALU_DEP_4)
	v_mad_u64_u32 v[12:13], null, 0xcd9e8d57, v18, 0
	v_mad_u64_u32 v[21:22], null, 0xd2511f53, v15, 0
	s_delay_alu instid0(VALU_DEP_3) | instskip(SKIP_1) | instid1(VALU_DEP_4)
	v_mad_u64_u32 v[23:24], null, 0xd2511f53, v33, 0
	v_xor3_b32 v15, v35, v11, v19
	v_xor3_b32 v13, v26, v13, v10
	s_delay_alu instid0(VALU_DEP_2) | instskip(SKIP_2) | instid1(VALU_DEP_4)
	v_mad_u64_u32 v[10:11], null, 0xd2511f53, v15, 0
	v_xor3_b32 v15, v36, v22, v25
	v_xor3_b32 v21, v37, v24, v21
	v_mad_u64_u32 v[24:25], null, 0xd2511f53, v13, 0
	s_delay_alu instid0(VALU_DEP_3) | instskip(NEXT) | instid1(VALU_DEP_3)
	v_mad_u64_u32 v[18:19], null, 0xcd9e8d57, v15, 0
	v_mad_u64_u32 v[33:34], null, 0xcd9e8d57, v21, 0
	v_xor3_b32 v13, v37, v11, v20
	s_delay_alu instid0(VALU_DEP_4) | instskip(SKIP_2) | instid1(VALU_DEP_4)
	v_xor3_b32 v21, v39, v25, v10
	v_add_nc_u32_e32 v15, 0xb54cda56, v16
	v_add_nc_u32_e32 v20, 0x646e171e, v17
	v_mad_u64_u32 v[10:11], null, 0xcd9e8d57, v13, 0
	v_xor3_b32 v13, v26, v19, v32
	v_xor3_b32 v22, v38, v34, v18
	v_mad_u64_u32 v[34:35], null, 0xcd9e8d57, v21, 0
	v_add_nc_u32_e32 v26, 0x5384540f, v16
	s_delay_alu instid0(VALU_DEP_4) | instskip(NEXT) | instid1(VALU_DEP_4)
	v_mad_u64_u32 v[18:19], null, 0xd2511f53, v13, 0
	v_mad_u64_u32 v[36:37], null, 0xd2511f53, v22, 0
	v_xor3_b32 v12, v38, v11, v12
	v_xor3_b32 v13, v15, v35, v10
	v_add_nc_u32_e32 v38, 0x1fd5c5a3, v17
	v_add_co_u32 v32, null, 0xf1bbcdc8, v16
	v_xor3_b32 v21, v39, v19, v23
	v_xor3_b32 v23, v20, v37, v18
	v_mad_u64_u32 v[10:11], null, 0xd2511f53, v12, 0
	v_mad_u64_u32 v[18:19], null, 0xd2511f53, v13, 0
	s_delay_alu instid0(VALU_DEP_4) | instskip(NEXT) | instid1(VALU_DEP_4)
	v_mad_u64_u32 v[12:13], null, 0xcd9e8d57, v21, 0
	v_mad_u64_u32 v[21:22], null, 0xcd9e8d57, v23, 0
	s_delay_alu instid0(VALU_DEP_4) | instskip(NEXT) | instid1(VALU_DEP_4)
	v_xor3_b32 v20, v20, v11, v24
	v_xor3_b32 v23, v38, v19, v10
	s_delay_alu instid0(VALU_DEP_4) | instskip(NEXT) | instid1(VALU_DEP_3)
	v_xor3_b32 v15, v15, v13, v33
	v_mad_u64_u32 v[10:11], null, 0xcd9e8d57, v20, 0
	v_xor3_b32 v22, v26, v22, v12
	s_delay_alu instid0(VALU_DEP_4) | instskip(NEXT) | instid1(VALU_DEP_4)
	v_mad_u64_u32 v[19:20], null, 0xcd9e8d57, v23, 0
	v_mad_u64_u32 v[12:13], null, 0xd2511f53, v15, 0
	s_delay_alu instid0(VALU_DEP_3)
	v_mad_u64_u32 v[24:25], null, 0xd2511f53, v22, 0
	v_add_nc_u32_e32 v33, 0xdb3d7428, v17
	v_xor3_b32 v11, v26, v11, v34
	v_xor3_b32 v15, v32, v20, v10
	v_add_nc_u32_e32 v34, 0x96a522ad, v17
	v_xor3_b32 v13, v38, v13, v36
	v_and_b32_e32 v17, 3, v14
	v_xor3_b32 v20, v33, v25, v12
	v_mad_u64_u32 v[22:23], null, 0xd2511f53, v11, 0
	v_mad_u64_u32 v[10:11], null, 0xd2511f53, v15, 0
	;; [unrolled: 1-line block ×3, first 2 shown]
	s_delay_alu instid0(VALU_DEP_4) | instskip(SKIP_1) | instid1(VALU_DEP_4)
	v_mad_u64_u32 v[12:13], null, 0xcd9e8d57, v20, 0
	v_add_nc_u32_e32 v20, 0x8ff34781, v16
                                        ; implicit-def: $vgpr15
	v_xor3_b32 v16, v11, v22, v34
	s_delay_alu instid0(VALU_DEP_2)
	v_xor3_b32 v11, v13, v25, v20
	v_cmpx_lt_i32_e32 1, v17
	s_xor_b32 s0, exec_lo, s0
	s_cbranch_execz .LBB107_51
; %bb.46:                               ;   in Loop: Header=BB107_3 Depth=1
	s_mov_b32 s1, exec_lo
                                        ; implicit-def: $vgpr15
	v_cmpx_lt_i32_e32 2, v17
	s_xor_b32 s1, exec_lo, s1
; %bb.47:                               ;   in Loop: Header=BB107_3 Depth=1
	v_xor3_b32 v13, v32, v26, v21
                                        ; implicit-def: $vgpr16
	s_delay_alu instid0(VALU_DEP_1) | instskip(NEXT) | instid1(VALU_DEP_1)
	v_mul_hi_u32 v13, 0xd2511f53, v13
	v_xor3_b32 v15, v13, v24, v34
; %bb.48:                               ;   in Loop: Header=BB107_3 Depth=1
	s_and_not1_saveexec_b32 s1, s1
; %bb.49:                               ;   in Loop: Header=BB107_3 Depth=1
	v_dual_mov_b32 v15, v12 :: v_dual_mov_b32 v12, v11
	v_dual_mov_b32 v11, v10 :: v_dual_mov_b32 v10, v16
; %bb.50:                               ;   in Loop: Header=BB107_3 Depth=1
	s_or_b32 exec_lo, exec_lo, s1
                                        ; implicit-def: $vgpr18_vgpr19
                                        ; implicit-def: $vgpr17
                                        ; implicit-def: $vgpr16
                                        ; implicit-def: $vgpr33
                                        ; implicit-def: $vgpr22_vgpr23
                                        ; implicit-def: $vgpr19_vgpr20
                                        ; implicit-def: $vgpr20
.LBB107_51:                             ;   in Loop: Header=BB107_3 Depth=1
	s_and_not1_saveexec_b32 s0, s0
	s_cbranch_execz .LBB107_55
; %bb.52:                               ;   in Loop: Header=BB107_3 Depth=1
	v_xor3_b32 v12, v33, v23, v18
	v_cmp_eq_u32_e32 vcc_lo, 1, v17
	v_mov_b32_e32 v15, v10
	s_delay_alu instid0(VALU_DEP_3) | instskip(SKIP_1) | instid1(VALU_DEP_2)
	v_mad_u64_u32 v[13:14], null, 0xcd9e8d57, v12, 0
	v_mov_b32_e32 v12, v16
	v_xor3_b32 v17, v14, v19, v20
	s_delay_alu instid0(VALU_DEP_3)
	v_mov_b32_e32 v14, v13
	s_and_saveexec_b32 s1, vcc_lo
; %bb.53:                               ;   in Loop: Header=BB107_3 Depth=1
	v_dual_mov_b32 v15, v11 :: v_dual_mov_b32 v12, v10
	v_dual_mov_b32 v14, v16 :: v_dual_mov_b32 v17, v13
; %bb.54:                               ;   in Loop: Header=BB107_3 Depth=1
	s_or_b32 exec_lo, exec_lo, s1
	s_delay_alu instid0(VALU_DEP_1)
	v_dual_mov_b32 v10, v17 :: v_dual_mov_b32 v11, v14
.LBB107_55:                             ;   in Loop: Header=BB107_3 Depth=1
	s_or_b32 exec_lo, exec_lo, s0
	v_min_i32_e32 v13, 4, v29
	s_mov_b32 s1, 0
	s_mov_b32 s40, 0
	;; [unrolled: 1-line block ×3, first 2 shown]
                                        ; implicit-def: $sgpr19
                                        ; implicit-def: $sgpr37
                                        ; implicit-def: $sgpr38
	s_mov_b32 s0, exec_lo
	v_cmpx_lt_i32_e32 2, v13
	s_xor_b32 s39, exec_lo, s0
	s_cbranch_execz .LBB107_67
; %bb.56:                               ;   in Loop: Header=BB107_3 Depth=1
	s_mov_b32 s0, -1
	s_mov_b32 s41, 0
	s_mov_b32 s37, exec_lo
                                        ; implicit-def: $sgpr18
                                        ; implicit-def: $sgpr19
	v_cmpx_lt_i32_e32 3, v13
	s_cbranch_execz .LBB107_62
; %bb.57:                               ;   in Loop: Header=BB107_3 Depth=1
	s_mov_b32 s0, 0
	s_mov_b32 s41, -1
	s_mov_b32 s38, exec_lo
                                        ; implicit-def: $sgpr18
                                        ; implicit-def: $sgpr19
	v_cmpx_eq_u32_e32 4, v13
	s_cbranch_execz .LBB107_61
; %bb.58:                               ;   in Loop: Header=BB107_3 Depth=1
	v_cmp_le_f32_e32 vcc_lo, 0, v31
	v_cmp_ge_f32_e64 s0, 1.0, v31
	s_mov_b32 s18, 0
	s_delay_alu instid0(VALU_DEP_1)
	s_and_b32 s41, vcc_lo, s0
	s_mov_b32 s0, 0
	s_and_saveexec_b32 s19, s41
	s_cbranch_execz .LBB107_60
; %bb.59:                               ;   in Loop: Header=BB107_3 Depth=1
	v_cvt_f32_u32_e32 v14, v15
	v_lshlrev_b64 v[8:9], 1, v[8:9]
	s_mov_b32 s0, exec_lo
	s_delay_alu instid0(VALU_DEP_2) | instskip(NEXT) | instid1(VALU_DEP_2)
	v_fmaak_f32 v14, 0x2f800000, v14, 0x2f800000
	v_add_co_u32 v8, vcc_lo, s10, v8
	s_delay_alu instid0(VALU_DEP_3) | instskip(NEXT) | instid1(VALU_DEP_3)
	v_add_co_ci_u32_e32 v9, vcc_lo, s11, v9, vcc_lo
	v_cmp_le_f32_e32 vcc_lo, v14, v31
	v_cndmask_b32_e64 v14, 0, 1.0, vcc_lo
	global_store_d16_hi_b16 v[8:9], v14, off
.LBB107_60:                             ;   in Loop: Header=BB107_3 Depth=1
	s_or_b32 exec_lo, exec_lo, s19
	s_mov_b32 s19, -1
	s_xor_b32 s41, exec_lo, -1
	s_and_b32 s0, s0, exec_lo
.LBB107_61:                             ;   in Loop: Header=BB107_3 Depth=1
	s_or_b32 exec_lo, exec_lo, s38
	s_delay_alu instid0(SALU_CYCLE_1)
	s_and_b32 s41, s41, exec_lo
	s_or_not1_b32 s0, s0, exec_lo
.LBB107_62:                             ;   in Loop: Header=BB107_3 Depth=1
	s_or_b32 exec_lo, exec_lo, s37
	s_mov_b32 s38, s18
	s_and_saveexec_b32 s37, s0
	s_cbranch_execz .LBB107_66
; %bb.63:                               ;   in Loop: Header=BB107_3 Depth=1
	v_cmp_le_f32_e32 vcc_lo, 0, v30
	v_cmp_ge_f32_e64 s0, 1.0, v30
	s_delay_alu instid0(VALU_DEP_1) | instskip(SKIP_2) | instid1(SALU_CYCLE_1)
	s_and_b32 s38, vcc_lo, s0
	s_mov_b32 s0, 0
	s_and_saveexec_b32 s40, s38
	s_xor_b32 s38, exec_lo, s40
	s_cbranch_execz .LBB107_65
; %bb.64:                               ;   in Loop: Header=BB107_3 Depth=1
	v_cvt_f32_u32_e32 v9, v12
	v_mov_b32_e32 v8, v4
	s_mov_b32 s0, exec_lo
	s_delay_alu instid0(VALU_DEP_2) | instskip(NEXT) | instid1(VALU_DEP_2)
	v_fmaak_f32 v9, 0x2f800000, v9, 0x2f800000
	v_lshlrev_b64 v[7:8], 1, v[7:8]
	s_delay_alu instid0(VALU_DEP_1) | instskip(NEXT) | instid1(VALU_DEP_2)
	v_add_co_u32 v7, vcc_lo, s10, v7
	v_add_co_ci_u32_e32 v8, vcc_lo, s11, v8, vcc_lo
	s_delay_alu instid0(VALU_DEP_4)
	v_cmp_le_f32_e32 vcc_lo, v9, v30
	v_cndmask_b32_e64 v9, 0, 1.0, vcc_lo
	global_store_d16_hi_b16 v[7:8], v9, off
.LBB107_65:                             ;   in Loop: Header=BB107_3 Depth=1
	s_or_b32 exec_lo, exec_lo, s38
	s_delay_alu instid0(SALU_CYCLE_1)
	s_and_not1_b32 s38, s18, exec_lo
	s_or_b32 s18, s18, exec_lo
	s_and_not1_b32 s19, s19, exec_lo
	s_and_b32 s40, s0, exec_lo
.LBB107_66:                             ;   in Loop: Header=BB107_3 Depth=1
	s_or_b32 exec_lo, exec_lo, s37
	s_delay_alu instid0(SALU_CYCLE_1)
	s_and_b32 s38, s38, exec_lo
	s_and_b32 s37, s18, exec_lo
	;; [unrolled: 1-line block ×5, first 2 shown]
.LBB107_67:                             ;   in Loop: Header=BB107_3 Depth=1
	s_and_not1_saveexec_b32 s0, s39
; %bb.68:                               ;   in Loop: Header=BB107_3 Depth=1
	v_cmp_lt_i32_e32 vcc_lo, 1, v13
	s_and_not1_b32 s39, s40, exec_lo
	s_mov_b32 s1, exec_lo
	s_and_not1_b32 s38, s38, exec_lo
	s_and_not1_b32 s37, s37, exec_lo
	s_and_b32 s40, vcc_lo, exec_lo
	s_and_not1_b32 s19, s19, exec_lo
	s_or_b32 s40, s39, s40
; %bb.69:                               ;   in Loop: Header=BB107_3 Depth=1
	s_or_b32 exec_lo, exec_lo, s0
	s_mov_b32 s0, 0
	s_mov_b32 s39, s38
	s_and_saveexec_b32 s41, s40
	s_cbranch_execnz .LBB107_72
; %bb.70:                               ;   in Loop: Header=BB107_3 Depth=1
	s_or_b32 exec_lo, exec_lo, s41
	s_and_saveexec_b32 s40, s1
	s_cbranch_execnz .LBB107_75
.LBB107_71:                             ;   in Loop: Header=BB107_3 Depth=1
	s_or_b32 exec_lo, exec_lo, s40
	s_and_saveexec_b32 s1, s0
	s_cbranch_execnz .LBB107_76
	s_branch .LBB107_79
.LBB107_72:                             ;   in Loop: Header=BB107_3 Depth=1
	v_cmp_le_f32_e32 vcc_lo, 0, v3
	v_cmp_ge_f32_e64 s0, 1.0, v3
	s_delay_alu instid0(VALU_DEP_1) | instskip(SKIP_2) | instid1(SALU_CYCLE_1)
	s_and_b32 s39, vcc_lo, s0
	s_mov_b32 s0, 0
	s_and_saveexec_b32 s40, s39
	s_xor_b32 s39, exec_lo, s40
	s_cbranch_execz .LBB107_74
; %bb.73:                               ;   in Loop: Header=BB107_3 Depth=1
	v_cvt_f32_u32_e32 v8, v11
	v_mov_b32_e32 v7, v4
	s_mov_b32 s0, exec_lo
	s_delay_alu instid0(VALU_DEP_2) | instskip(NEXT) | instid1(VALU_DEP_2)
	v_fmaak_f32 v8, 0x2f800000, v8, 0x2f800000
	v_lshlrev_b64 v[6:7], 1, v[6:7]
	s_delay_alu instid0(VALU_DEP_1) | instskip(NEXT) | instid1(VALU_DEP_2)
	v_add_co_u32 v6, vcc_lo, s10, v6
	v_add_co_ci_u32_e32 v7, vcc_lo, s11, v7, vcc_lo
	s_delay_alu instid0(VALU_DEP_4)
	v_cmp_le_f32_e32 vcc_lo, v8, v3
	v_cndmask_b32_e64 v3, 0, 1.0, vcc_lo
	global_store_d16_hi_b16 v[6:7], v3, off
.LBB107_74:                             ;   in Loop: Header=BB107_3 Depth=1
	s_or_b32 exec_lo, exec_lo, s39
	s_delay_alu instid0(SALU_CYCLE_1)
	s_and_not1_b32 s39, s38, exec_lo
	s_or_b32 s38, s38, exec_lo
	s_and_not1_b32 s37, s37, exec_lo
	s_and_not1_b32 s19, s19, exec_lo
	s_and_b32 s0, s0, exec_lo
	s_and_not1_b32 s1, s1, exec_lo
	s_or_b32 exec_lo, exec_lo, s41
	s_and_saveexec_b32 s40, s1
	s_cbranch_execz .LBB107_71
.LBB107_75:                             ;   in Loop: Header=BB107_3 Depth=1
	v_cmp_eq_u32_e32 vcc_lo, 1, v13
	s_and_not1_b32 s0, s0, exec_lo
	s_and_not1_b32 s39, s39, exec_lo
	s_and_not1_b32 s38, s38, exec_lo
	s_and_not1_b32 s37, s37, exec_lo
	s_and_b32 s1, vcc_lo, exec_lo
	s_and_not1_b32 s19, s19, exec_lo
	s_or_b32 s18, s18, exec_lo
	s_or_b32 s0, s0, s1
	s_or_b32 exec_lo, exec_lo, s40
	s_and_saveexec_b32 s1, s0
	s_cbranch_execz .LBB107_79
.LBB107_76:                             ;   in Loop: Header=BB107_3 Depth=1
	v_cmp_le_f32_e32 vcc_lo, 0, v0
	v_cmp_ge_f32_e64 s0, 1.0, v0
	s_delay_alu instid0(VALU_DEP_1)
	s_and_b32 s41, vcc_lo, s0
	s_mov_b32 s0, 0
	s_and_saveexec_b32 s40, s41
	s_cbranch_execz .LBB107_78
; %bb.77:                               ;   in Loop: Header=BB107_3 Depth=1
	v_cvt_f32_u32_e32 v3, v10
	v_mov_b32_e32 v6, v4
	s_mov_b32 s0, exec_lo
	s_delay_alu instid0(VALU_DEP_2) | instskip(NEXT) | instid1(VALU_DEP_2)
	v_fmaak_f32 v3, 0x2f800000, v3, 0x2f800000
	v_lshlrev_b64 v[5:6], 1, v[5:6]
	s_delay_alu instid0(VALU_DEP_1) | instskip(NEXT) | instid1(VALU_DEP_2)
	v_add_co_u32 v5, vcc_lo, s10, v5
	v_add_co_ci_u32_e32 v6, vcc_lo, s11, v6, vcc_lo
	s_delay_alu instid0(VALU_DEP_4)
	v_cmp_le_f32_e32 vcc_lo, v3, v0
	v_cndmask_b32_e64 v0, 0, 1.0, vcc_lo
	global_store_d16_hi_b16 v[5:6], v0, off
.LBB107_78:                             ;   in Loop: Header=BB107_3 Depth=1
	s_or_b32 exec_lo, exec_lo, s40
	s_delay_alu instid0(SALU_CYCLE_1)
	s_and_not1_b32 s18, s18, exec_lo
	s_and_b32 s0, s0, exec_lo
	s_or_b32 s39, s39, exec_lo
	s_and_not1_b32 s38, s38, exec_lo
	s_and_not1_b32 s37, s37, exec_lo
	;; [unrolled: 1-line block ×3, first 2 shown]
	s_or_b32 s18, s18, s0
.LBB107_79:                             ;   in Loop: Header=BB107_3 Depth=1
	s_or_b32 exec_lo, exec_lo, s1
	s_delay_alu instid0(SALU_CYCLE_1)
	s_and_not1_b32 s1, s36, exec_lo
	s_and_b32 s36, s39, exec_lo
	s_and_not1_b32 s34, s34, exec_lo
	s_and_b32 s38, s38, exec_lo
	s_or_b32 s36, s1, s36
	s_and_not1_b32 s1, s35, exec_lo
	s_and_b32 s35, s37, exec_lo
	s_and_not1_b32 s33, s33, exec_lo
	s_and_b32 s19, s19, exec_lo
	s_mov_b32 s0, -1
	s_or_b32 s34, s34, s38
	s_or_b32 s35, s1, s35
	;; [unrolled: 1-line block ×3, first 2 shown]
	s_and_saveexec_b32 s1, s18
	s_cbranch_execz .LBB107_2
; %bb.80:                               ;   in Loop: Header=BB107_3 Depth=1
	v_add_nc_u32_e32 v27, s26, v27
	s_and_not1_b32 s36, s36, exec_lo
	s_and_not1_b32 s34, s34, exec_lo
	;; [unrolled: 1-line block ×4, first 2 shown]
	v_cmp_le_u32_e32 vcc_lo, s20, v27
	s_or_not1_b32 s0, vcc_lo, exec_lo
	s_branch .LBB107_2
.LBB107_81:
	s_or_b32 exec_lo, exec_lo, s13
	s_xor_b32 s3, s30, -1
	s_xor_b32 s4, s31, -1
	s_xor_b32 s0, s29, -1
	s_mov_b32 s1, 0
	s_and_saveexec_b32 s2, s0
	s_delay_alu instid0(SALU_CYCLE_1)
	s_xor_b32 s0, exec_lo, s2
	s_cbranch_execz .LBB107_90
; %bb.82:
	s_mov_b32 s2, 0
	s_and_saveexec_b32 s1, s4
	s_delay_alu instid0(SALU_CYCLE_1)
	s_xor_b32 s1, exec_lo, s1
	s_cbranch_execz .LBB107_88
; %bb.83:
	s_and_saveexec_b32 s4, s3
	s_delay_alu instid0(SALU_CYCLE_1)
	s_xor_b32 s3, exec_lo, s4
	s_cbranch_execz .LBB107_86
; %bb.84:
	s_and_saveexec_b32 s4, s12
	s_delay_alu instid0(SALU_CYCLE_1)
	s_xor_b32 s4, exec_lo, s4
	s_cbranch_execnz .LBB107_104
.LBB107_85:
	s_or_b32 exec_lo, exec_lo, s4
	s_delay_alu instid0(SALU_CYCLE_1)
	s_and_b32 s2, s2, exec_lo
.LBB107_86:
	s_and_not1_saveexec_b32 s3, s3
	s_cbranch_execnz .LBB107_100
.LBB107_87:
	s_or_b32 exec_lo, exec_lo, s3
	s_delay_alu instid0(SALU_CYCLE_1)
	s_and_b32 s2, s2, exec_lo
.LBB107_88:
	s_and_not1_saveexec_b32 s1, s1
	s_cbranch_execnz .LBB107_96
.LBB107_89:
	s_or_b32 exec_lo, exec_lo, s1
	s_delay_alu instid0(SALU_CYCLE_1)
	s_and_b32 s1, s2, exec_lo
.LBB107_90:
	s_and_not1_saveexec_b32 s0, s0
	s_cbranch_execnz .LBB107_94
; %bb.91:
	s_or_b32 exec_lo, exec_lo, s0
	s_delay_alu instid0(SALU_CYCLE_1)
	s_and_b32 exec_lo, exec_lo, s1
.LBB107_92:
	; divergent unreachable
.LBB107_93:
	s_nop 0
	s_sendmsg sendmsg(MSG_DEALLOC_VGPRS)
	s_endpgm
.LBB107_94:
	s_cbranch_execnz .LBB107_98
; %bb.95:
	s_or_b32 s1, s1, exec_lo
	s_or_b32 exec_lo, exec_lo, s0
	s_delay_alu instid0(SALU_CYCLE_1)
	s_and_b32 exec_lo, exec_lo, s1
	s_cbranch_execnz .LBB107_92
	s_branch .LBB107_93
.LBB107_96:
	s_cbranch_execnz .LBB107_102
; %bb.97:
	s_or_b32 s2, s2, exec_lo
	s_branch .LBB107_89
.LBB107_98:
	s_trap 2
	s_sendmsg_rtn_b32 s0, sendmsg(MSG_RTN_GET_DOORBELL)
	s_mov_b32 ttmp2, m0
	s_waitcnt lgkmcnt(0)
	s_and_b32 s0, s0, 0x3ff
	s_delay_alu instid0(SALU_CYCLE_1) | instskip(NEXT) | instid1(SALU_CYCLE_1)
	s_bitset1_b32 s0, 10
	s_mov_b32 m0, s0
	s_sendmsg sendmsg(MSG_INTERRUPT)
	s_mov_b32 m0, ttmp2
.LBB107_99:                             ; =>This Inner Loop Header: Depth=1
	s_sethalt 5
	s_branch .LBB107_99
.LBB107_100:
	s_cbranch_execnz .LBB107_106
; %bb.101:
	s_or_b32 s2, s2, exec_lo
	s_branch .LBB107_87
.LBB107_102:
	s_trap 2
	s_sendmsg_rtn_b32 s0, sendmsg(MSG_RTN_GET_DOORBELL)
	s_mov_b32 ttmp2, m0
	s_waitcnt lgkmcnt(0)
	s_and_b32 s0, s0, 0x3ff
	s_delay_alu instid0(SALU_CYCLE_1) | instskip(NEXT) | instid1(SALU_CYCLE_1)
	s_bitset1_b32 s0, 10
	s_mov_b32 m0, s0
	s_sendmsg sendmsg(MSG_INTERRUPT)
	s_mov_b32 m0, ttmp2
.LBB107_103:                            ; =>This Inner Loop Header: Depth=1
	s_sethalt 5
	s_branch .LBB107_103
.LBB107_104:
	s_cbranch_execnz .LBB107_108
; %bb.105:
	s_mov_b32 s2, exec_lo
	s_branch .LBB107_85
.LBB107_106:
	s_trap 2
	s_sendmsg_rtn_b32 s0, sendmsg(MSG_RTN_GET_DOORBELL)
	s_mov_b32 ttmp2, m0
	s_waitcnt lgkmcnt(0)
	s_and_b32 s0, s0, 0x3ff
	s_delay_alu instid0(SALU_CYCLE_1) | instskip(NEXT) | instid1(SALU_CYCLE_1)
	s_bitset1_b32 s0, 10
	s_mov_b32 m0, s0
	s_sendmsg sendmsg(MSG_INTERRUPT)
	s_mov_b32 m0, ttmp2
.LBB107_107:                            ; =>This Inner Loop Header: Depth=1
	s_sethalt 5
	s_branch .LBB107_107
.LBB107_108:
	s_trap 2
	s_sendmsg_rtn_b32 s0, sendmsg(MSG_RTN_GET_DOORBELL)
	s_mov_b32 ttmp2, m0
	s_waitcnt lgkmcnt(0)
	s_and_b32 s0, s0, 0x3ff
	s_delay_alu instid0(SALU_CYCLE_1) | instskip(NEXT) | instid1(SALU_CYCLE_1)
	s_bitset1_b32 s0, 10
	s_mov_b32 m0, s0
	s_sendmsg sendmsg(MSG_INTERRUPT)
	s_mov_b32 m0, ttmp2
.LBB107_109:                            ; =>This Inner Loop Header: Depth=1
	s_sethalt 5
	s_branch .LBB107_109
	.section	.rodata,"a",@progbits
	.p2align	6, 0x0
	.amdhsa_kernel _ZN2at4cuda12_GLOBAL__N_121kernelPointwiseApply2IZNS_6native9templates4cuda28bernoulli_tensor_cuda_kernelIN3c108BFloat16EfEEvRKNS_10TensorBaseESB_NS_15PhiloxCudaStateEEUliRS8_SD_SD_SD_RKfSF_SF_SF_E_S8_SE_jLin1ELin1ELi4ELi512ELi2EEEvNS0_6detail10TensorInfoIT0_T2_EENSI_IT1_SK_EESK_T_
		.amdhsa_group_segment_fixed_size 0
		.amdhsa_private_segment_fixed_size 0
		.amdhsa_kernarg_size 728
		.amdhsa_user_sgpr_count 15
		.amdhsa_user_sgpr_dispatch_ptr 0
		.amdhsa_user_sgpr_queue_ptr 0
		.amdhsa_user_sgpr_kernarg_segment_ptr 1
		.amdhsa_user_sgpr_dispatch_id 0
		.amdhsa_user_sgpr_private_segment_size 0
		.amdhsa_wavefront_size32 1
		.amdhsa_uses_dynamic_stack 0
		.amdhsa_enable_private_segment 0
		.amdhsa_system_sgpr_workgroup_id_x 1
		.amdhsa_system_sgpr_workgroup_id_y 0
		.amdhsa_system_sgpr_workgroup_id_z 0
		.amdhsa_system_sgpr_workgroup_info 0
		.amdhsa_system_vgpr_workitem_id 0
		.amdhsa_next_free_vgpr 40
		.amdhsa_next_free_sgpr 42
		.amdhsa_reserve_vcc 1
		.amdhsa_float_round_mode_32 0
		.amdhsa_float_round_mode_16_64 0
		.amdhsa_float_denorm_mode_32 3
		.amdhsa_float_denorm_mode_16_64 3
		.amdhsa_dx10_clamp 1
		.amdhsa_ieee_mode 1
		.amdhsa_fp16_overflow 0
		.amdhsa_workgroup_processor_mode 1
		.amdhsa_memory_ordered 1
		.amdhsa_forward_progress 0
		.amdhsa_shared_vgpr_count 0
		.amdhsa_exception_fp_ieee_invalid_op 0
		.amdhsa_exception_fp_denorm_src 0
		.amdhsa_exception_fp_ieee_div_zero 0
		.amdhsa_exception_fp_ieee_overflow 0
		.amdhsa_exception_fp_ieee_underflow 0
		.amdhsa_exception_fp_ieee_inexact 0
		.amdhsa_exception_int_div_zero 0
	.end_amdhsa_kernel
	.section	.text._ZN2at4cuda12_GLOBAL__N_121kernelPointwiseApply2IZNS_6native9templates4cuda28bernoulli_tensor_cuda_kernelIN3c108BFloat16EfEEvRKNS_10TensorBaseESB_NS_15PhiloxCudaStateEEUliRS8_SD_SD_SD_RKfSF_SF_SF_E_S8_SE_jLin1ELin1ELi4ELi512ELi2EEEvNS0_6detail10TensorInfoIT0_T2_EENSI_IT1_SK_EESK_T_,"axG",@progbits,_ZN2at4cuda12_GLOBAL__N_121kernelPointwiseApply2IZNS_6native9templates4cuda28bernoulli_tensor_cuda_kernelIN3c108BFloat16EfEEvRKNS_10TensorBaseESB_NS_15PhiloxCudaStateEEUliRS8_SD_SD_SD_RKfSF_SF_SF_E_S8_SE_jLin1ELin1ELi4ELi512ELi2EEEvNS0_6detail10TensorInfoIT0_T2_EENSI_IT1_SK_EESK_T_,comdat
.Lfunc_end107:
	.size	_ZN2at4cuda12_GLOBAL__N_121kernelPointwiseApply2IZNS_6native9templates4cuda28bernoulli_tensor_cuda_kernelIN3c108BFloat16EfEEvRKNS_10TensorBaseESB_NS_15PhiloxCudaStateEEUliRS8_SD_SD_SD_RKfSF_SF_SF_E_S8_SE_jLin1ELin1ELi4ELi512ELi2EEEvNS0_6detail10TensorInfoIT0_T2_EENSI_IT1_SK_EESK_T_, .Lfunc_end107-_ZN2at4cuda12_GLOBAL__N_121kernelPointwiseApply2IZNS_6native9templates4cuda28bernoulli_tensor_cuda_kernelIN3c108BFloat16EfEEvRKNS_10TensorBaseESB_NS_15PhiloxCudaStateEEUliRS8_SD_SD_SD_RKfSF_SF_SF_E_S8_SE_jLin1ELin1ELi4ELi512ELi2EEEvNS0_6detail10TensorInfoIT0_T2_EENSI_IT1_SK_EESK_T_
                                        ; -- End function
	.section	.AMDGPU.csdata,"",@progbits
; Kernel info:
; codeLenInByte = 5384
; NumSgprs: 44
; NumVgprs: 40
; ScratchSize: 0
; MemoryBound: 0
; FloatMode: 240
; IeeeMode: 1
; LDSByteSize: 0 bytes/workgroup (compile time only)
; SGPRBlocks: 5
; VGPRBlocks: 4
; NumSGPRsForWavesPerEU: 44
; NumVGPRsForWavesPerEU: 40
; Occupancy: 16
; WaveLimiterHint : 1
; COMPUTE_PGM_RSRC2:SCRATCH_EN: 0
; COMPUTE_PGM_RSRC2:USER_SGPR: 15
; COMPUTE_PGM_RSRC2:TRAP_HANDLER: 0
; COMPUTE_PGM_RSRC2:TGID_X_EN: 1
; COMPUTE_PGM_RSRC2:TGID_Y_EN: 0
; COMPUTE_PGM_RSRC2:TGID_Z_EN: 0
; COMPUTE_PGM_RSRC2:TIDIG_COMP_CNT: 0
	.section	.text._ZN2at4cuda12_GLOBAL__N_121kernelPointwiseApply2IZNS_6native9templates4cuda28bernoulli_tensor_cuda_kernelIN3c108BFloat16EfEEvRKNS_10TensorBaseESB_NS_15PhiloxCudaStateEEUliRS8_SD_SD_SD_RKfSF_SF_SF_E_S8_SE_mLi1ELi1ELi4ELi512ELi2EEEvNS0_6detail10TensorInfoIT0_T2_EENSI_IT1_SK_EESK_T_,"axG",@progbits,_ZN2at4cuda12_GLOBAL__N_121kernelPointwiseApply2IZNS_6native9templates4cuda28bernoulli_tensor_cuda_kernelIN3c108BFloat16EfEEvRKNS_10TensorBaseESB_NS_15PhiloxCudaStateEEUliRS8_SD_SD_SD_RKfSF_SF_SF_E_S8_SE_mLi1ELi1ELi4ELi512ELi2EEEvNS0_6detail10TensorInfoIT0_T2_EENSI_IT1_SK_EESK_T_,comdat
	.globl	_ZN2at4cuda12_GLOBAL__N_121kernelPointwiseApply2IZNS_6native9templates4cuda28bernoulli_tensor_cuda_kernelIN3c108BFloat16EfEEvRKNS_10TensorBaseESB_NS_15PhiloxCudaStateEEUliRS8_SD_SD_SD_RKfSF_SF_SF_E_S8_SE_mLi1ELi1ELi4ELi512ELi2EEEvNS0_6detail10TensorInfoIT0_T2_EENSI_IT1_SK_EESK_T_ ; -- Begin function _ZN2at4cuda12_GLOBAL__N_121kernelPointwiseApply2IZNS_6native9templates4cuda28bernoulli_tensor_cuda_kernelIN3c108BFloat16EfEEvRKNS_10TensorBaseESB_NS_15PhiloxCudaStateEEUliRS8_SD_SD_SD_RKfSF_SF_SF_E_S8_SE_mLi1ELi1ELi4ELi512ELi2EEEvNS0_6detail10TensorInfoIT0_T2_EENSI_IT1_SK_EESK_T_
	.p2align	8
	.type	_ZN2at4cuda12_GLOBAL__N_121kernelPointwiseApply2IZNS_6native9templates4cuda28bernoulli_tensor_cuda_kernelIN3c108BFloat16EfEEvRKNS_10TensorBaseESB_NS_15PhiloxCudaStateEEUliRS8_SD_SD_SD_RKfSF_SF_SF_E_S8_SE_mLi1ELi1ELi4ELi512ELi2EEEvNS0_6detail10TensorInfoIT0_T2_EENSI_IT1_SK_EESK_T_,@function
_ZN2at4cuda12_GLOBAL__N_121kernelPointwiseApply2IZNS_6native9templates4cuda28bernoulli_tensor_cuda_kernelIN3c108BFloat16EfEEvRKNS_10TensorBaseESB_NS_15PhiloxCudaStateEEUliRS8_SD_SD_SD_RKfSF_SF_SF_E_S8_SE_mLi1ELi1ELi4ELi512ELi2EEEvNS0_6detail10TensorInfoIT0_T2_EENSI_IT1_SK_EESK_T_: ; @_ZN2at4cuda12_GLOBAL__N_121kernelPointwiseApply2IZNS_6native9templates4cuda28bernoulli_tensor_cuda_kernelIN3c108BFloat16EfEEvRKNS_10TensorBaseESB_NS_15PhiloxCudaStateEEUliRS8_SD_SD_SD_RKfSF_SF_SF_E_S8_SE_mLi1ELi1ELi4ELi512ELi2EEEvNS0_6detail10TensorInfoIT0_T2_EENSI_IT1_SK_EESK_T_
; %bb.0:
	s_clause 0x1
	s_load_b32 s4, s[0:1], 0x374
	s_load_b256 s[16:23], s[0:1], 0x340
	s_add_u32 s2, s0, 0x368
	s_addc_u32 s3, s1, 0
	s_mov_b32 s5, exec_lo
	v_mov_b32_e32 v3, 0
	s_waitcnt lgkmcnt(0)
	s_and_b32 s4, s4, 0xffff
	s_delay_alu instid0(SALU_CYCLE_1) | instskip(NEXT) | instid1(VALU_DEP_1)
	v_mad_u64_u32 v[1:2], null, s15, s4, v[0:1]
	v_lshlrev_b32_e32 v2, 2, v1
	s_delay_alu instid0(VALU_DEP_1)
	v_cmpx_gt_u64_e64 s[16:17], v[2:3]
	s_cbranch_execz .LBB108_51
; %bb.1:
	s_load_b64 s[10:11], s[0:1], 0xd0
	s_load_b32 s2, s[2:3], 0x0
	s_clause 0x3
	s_load_b32 s3, s[0:1], 0x360
	s_load_b64 s[6:7], s[0:1], 0x0
	s_load_b64 s[8:9], s[0:1], 0x1a0
	;; [unrolled: 1-line block ×3, first 2 shown]
	v_mad_u64_u32 v[4:5], null, 0xcd9e8d57, v1, 0
	v_add_co_u32 v15, s12, v2, 2
	s_delay_alu instid0(VALU_DEP_1) | instskip(SKIP_1) | instid1(VALU_DEP_4)
	v_add_co_ci_u32_e64 v16, null, 0, 0, s12
	v_add_co_u32 v17, s12, v2, 3
	v_mov_b32_e32 v34, v5
	v_add_co_ci_u32_e64 v18, null, 0, 0, s12
	v_sub_nc_u32_e32 v0, s16, v2
	s_mov_b32 s5, 0
	s_mov_b64 s[12:13], 0
	s_waitcnt lgkmcnt(0)
	v_mad_u64_u32 v[5:6], null, s10, v2, 0
	v_mad_u64_u32 v[7:8], null, s10, v15, 0
	;; [unrolled: 1-line block ×4, first 2 shown]
	v_mul_lo_u32 v19, s11, v15
	v_mul_lo_u32 v20, s10, v16
	v_mad_u64_u32 v[13:14], null, s11, v2, v[6:7]
	v_mul_lo_u32 v21, s11, v17
	v_mul_lo_u32 v22, s10, v18
	;; [unrolled: 1-line block ×3, first 2 shown]
	s_mul_i32 s2, s2, s4
	s_bitcmp1_b32 s3, 0
	v_add3_u32 v8, v8, v20, v19
	v_mov_b32_e32 v6, v13
	v_mad_u64_u32 v[13:14], null, s1, v2, v[10:11]
	v_add3_u32 v12, v12, v22, v21
	v_mul_lo_u32 v19, s1, v15
	v_mul_lo_u32 v20, s0, v16
	;; [unrolled: 1-line block ×3, first 2 shown]
	v_add_co_u32 v10, vcc_lo, v5, s10
	v_mov_b32_e32 v36, v13
	v_mad_u64_u32 v[13:14], null, s0, v15, 0
	v_mad_u64_u32 v[15:16], null, s0, v17, 0
	s_cselect_b32 s14, -1, 0
	s_lshl_b32 s15, s2, 2
	v_add_co_ci_u32_e32 v35, vcc_lo, s11, v6, vcc_lo
	v_add_co_u32 v37, vcc_lo, v9, s0
	s_mul_i32 s2, s11, s15
	s_mul_hi_u32 s3, s10, s15
	v_add_co_ci_u32_e32 v38, vcc_lo, s1, v36, vcc_lo
	v_add3_u32 v14, v14, v20, v19
	v_add3_u32 v16, v16, v18, v21
	s_add_i32 s24, s3, s2
	s_mul_i32 s2, s1, s15
	s_mul_hi_u32 s3, s0, s15
	s_mul_i32 s25, s10, s15
	s_add_i32 s27, s3, s2
	s_mul_i32 s28, s0, s15
	s_mov_b64 s[10:11], 0
                                        ; implicit-def: $sgpr29
                                        ; implicit-def: $sgpr31
                                        ; implicit-def: $sgpr30
                                        ; implicit-def: $sgpr26
                                        ; implicit-def: $sgpr33
                                        ; implicit-def: $sgpr35
                                        ; implicit-def: $sgpr34
                                        ; implicit-def: $sgpr36
	s_branch .LBB108_3
.LBB108_2:                              ;   in Loop: Header=BB108_3 Depth=1
	s_or_b32 exec_lo, exec_lo, s1
	s_delay_alu instid0(SALU_CYCLE_1) | instskip(NEXT) | instid1(SALU_CYCLE_1)
	s_and_b32 s0, exec_lo, s0
	s_or_b32 s5, s0, s5
	s_and_not1_b32 s0, s26, exec_lo
	s_and_b32 s1, s36, exec_lo
	s_and_not1_b32 s2, s30, exec_lo
	s_and_b32 s3, s34, exec_lo
	s_or_b32 s26, s0, s1
	s_or_b32 s30, s2, s3
	s_and_not1_b32 s0, s31, exec_lo
	s_and_b32 s1, s35, exec_lo
	s_and_not1_b32 s2, s29, exec_lo
	s_and_b32 s3, s33, exec_lo
	s_or_b32 s31, s0, s1
	s_or_b32 s29, s2, s3
	s_and_not1_b32 exec_lo, exec_lo, s5
	s_cbranch_execz .LBB108_39
.LBB108_3:                              ; =>This Inner Loop Header: Depth=1
	v_add_co_u32 v17, vcc_lo, v9, s10
	v_add_co_ci_u32_e32 v18, vcc_lo, s11, v36, vcc_lo
	v_cmp_lt_i32_e64 s0, 0, v0
	v_add_co_u32 v19, vcc_lo, v37, s10
	v_add_co_ci_u32_e32 v20, vcc_lo, s11, v38, vcc_lo
	v_cmp_lt_i32_e64 s1, 1, v0
	v_add_co_u32 v21, vcc_lo, v13, s10
	v_cndmask_b32_e64 v18, 0, v18, s0
	v_cndmask_b32_e64 v17, 0, v17, s0
	v_add_co_ci_u32_e32 v22, vcc_lo, s11, v14, vcc_lo
	v_cmp_lt_i32_e64 s2, 2, v0
	v_add_co_u32 v23, vcc_lo, v15, s10
	v_cndmask_b32_e64 v20, 0, v20, s1
	v_cndmask_b32_e64 v19, 0, v19, s1
	v_add_co_ci_u32_e32 v24, vcc_lo, s11, v16, vcc_lo
	v_cmp_lt_i32_e64 s3, 3, v0
	v_lshlrev_b64 v[17:18], 2, v[17:18]
	v_cndmask_b32_e64 v22, 0, v22, s2
	v_cndmask_b32_e64 v21, 0, v21, s2
	v_lshlrev_b64 v[19:20], 2, v[19:20]
	v_cndmask_b32_e64 v24, 0, v24, s3
	v_cndmask_b32_e64 v23, 0, v23, s3
	v_add_co_u32 v17, vcc_lo, s8, v17
	v_lshlrev_b64 v[21:22], 2, v[21:22]
	v_add_co_ci_u32_e32 v18, vcc_lo, s9, v18, vcc_lo
	v_add_co_u32 v19, vcc_lo, s8, v19
	v_lshlrev_b64 v[23:24], 2, v[23:24]
	v_add_co_ci_u32_e32 v20, vcc_lo, s9, v20, vcc_lo
	v_add_co_u32 v21, vcc_lo, s8, v21
	v_add_co_ci_u32_e32 v22, vcc_lo, s9, v22, vcc_lo
	s_delay_alu instid0(VALU_DEP_4)
	v_add_co_u32 v23, vcc_lo, s8, v23
	v_add_co_ci_u32_e32 v24, vcc_lo, s9, v24, vcc_lo
	s_clause 0x3
	global_load_b32 v39, v[17:18], off
	global_load_b32 v40, v[19:20], off
	;; [unrolled: 1-line block ×4, first 2 shown]
	v_dual_mov_b32 v22, s21 :: v_dual_mov_b32 v21, s20
	v_dual_mov_b32 v24, s19 :: v_dual_mov_b32 v23, s18
	s_and_not1_b32 vcc_lo, exec_lo, s14
	s_cbranch_vccnz .LBB108_5
; %bb.4:                                ;   in Loop: Header=BB108_3 Depth=1
	v_dual_mov_b32 v17, s20 :: v_dual_mov_b32 v18, s21
	v_dual_mov_b32 v20, s19 :: v_dual_mov_b32 v19, s18
	flat_load_b64 v[17:18], v[17:18]
	flat_load_b64 v[23:24], v[19:20]
	s_waitcnt vmcnt(1) lgkmcnt(1)
	v_add_co_u32 v21, vcc_lo, v17, s22
	v_add_co_ci_u32_e32 v22, vcc_lo, s23, v18, vcc_lo
.LBB108_5:                              ;   in Loop: Header=BB108_3 Depth=1
	s_delay_alu instid0(VALU_DEP_1)
	v_alignbit_b32 v20, v22, v21, 2
	v_lshrrev_b32_e32 v19, 2, v22
	s_waitcnt vmcnt(0) lgkmcnt(0)
	v_add_nc_u32_e32 v43, 0x9e3779b9, v23
	v_add_nc_u32_e32 v45, 0x76cf5d0a, v24
	;; [unrolled: 1-line block ×3, first 2 shown]
	v_add_co_u32 v22, vcc_lo, v20, 1
	s_delay_alu instid0(VALU_DEP_1) | instskip(SKIP_4) | instid1(VALU_DEP_4)
	v_cndmask_b32_e64 v17, 0, 1, vcc_lo
	v_add_co_ci_u32_e32 v31, vcc_lo, 0, v19, vcc_lo
	v_xor3_b32 v27, v34, v23, v19
	v_add_nc_u32_e32 v47, 0x32370b8f, v24
	v_add_nc_u32_e32 v48, 0xed9eba14, v24
	v_cmp_eq_u32_e32 vcc_lo, 0, v31
	v_add_nc_u32_e32 v49, 0x1715609d, v23
	v_add_nc_u32_e32 v50, 0xa9066899, v24
	s_mov_b32 s4, exec_lo
	v_dual_cndmask_b32 v25, 0, v17 :: v_dual_add_nc_u32 v44, 0xbb67ae85, v24
	v_mad_u64_u32 v[17:18], null, 0xd2511f53, v22, 0
	s_delay_alu instid0(VALU_DEP_2) | instskip(NEXT) | instid1(VALU_DEP_2)
	v_add_nc_u32_e32 v22, v25, v1
	v_xor_b32_e32 v26, v18, v24
	s_delay_alu instid0(VALU_DEP_2) | instskip(SKIP_2) | instid1(VALU_DEP_1)
	v_cmp_eq_u32_e32 vcc_lo, 0, v22
	v_mad_u64_u32 v[18:19], null, 0xd2511f53, v20, 0
	v_cndmask_b32_e32 v25, 0, v25, vcc_lo
	v_xor_b32_e32 v20, v25, v26
	v_mad_u64_u32 v[25:26], null, 0xd2511f53, v27, 0
	v_mad_u64_u32 v[27:28], null, 0xcd9e8d57, v22, 0
	v_add_nc_u32_e32 v22, 0x3c6ef372, v23
	s_delay_alu instid0(VALU_DEP_4) | instskip(SKIP_2) | instid1(VALU_DEP_2)
	v_mad_u64_u32 v[29:30], null, 0xcd9e8d57, v20, 0
	v_xor_b32_e32 v20, v19, v24
	v_xor3_b32 v32, v44, v26, v18
	v_mad_u64_u32 v[18:19], null, 0xcd9e8d57, v20, 0
	v_xor3_b32 v20, v28, v23, v31
	v_xor3_b32 v28, v43, v30, v27
	s_delay_alu instid0(VALU_DEP_4) | instskip(NEXT) | instid1(VALU_DEP_3)
	v_mad_u64_u32 v[26:27], null, 0xcd9e8d57, v32, 0
	v_mad_u64_u32 v[30:31], null, 0xd2511f53, v20, 0
	s_delay_alu instid0(VALU_DEP_3) | instskip(SKIP_1) | instid1(VALU_DEP_4)
	v_mad_u64_u32 v[32:33], null, 0xd2511f53, v28, 0
	v_xor3_b32 v20, v4, v19, v43
	v_xor3_b32 v43, v22, v27, v18
	s_delay_alu instid0(VALU_DEP_4) | instskip(NEXT) | instid1(VALU_DEP_3)
	v_xor3_b32 v17, v44, v31, v17
	v_mad_u64_u32 v[18:19], null, 0xd2511f53, v20, 0
	v_xor3_b32 v20, v45, v33, v30
	s_delay_alu instid0(VALU_DEP_4) | instskip(NEXT) | instid1(VALU_DEP_4)
	v_mad_u64_u32 v[27:28], null, 0xd2511f53, v43, 0
	v_mad_u64_u32 v[30:31], null, 0xcd9e8d57, v17, 0
	s_delay_alu instid0(VALU_DEP_3) | instskip(SKIP_4) | instid1(VALU_DEP_4)
	v_mad_u64_u32 v[43:44], null, 0xcd9e8d57, v20, 0
	v_xor3_b32 v19, v45, v19, v25
	v_add_nc_u32_e32 v33, 0x78dde6e4, v23
	v_xor3_b32 v25, v47, v28, v18
	v_xor3_b32 v22, v22, v31, v29
	v_mad_u64_u32 v[17:18], null, 0xcd9e8d57, v19, 0
	v_xor3_b32 v44, v46, v44, v30
	s_delay_alu instid0(VALU_DEP_4) | instskip(NEXT) | instid1(VALU_DEP_4)
	v_mad_u64_u32 v[19:20], null, 0xcd9e8d57, v25, 0
	v_mad_u64_u32 v[28:29], null, 0xd2511f53, v22, 0
	s_delay_alu instid0(VALU_DEP_3) | instskip(SKIP_1) | instid1(VALU_DEP_4)
	v_mad_u64_u32 v[30:31], null, 0xd2511f53, v44, 0
	v_xor3_b32 v22, v46, v18, v26
	v_xor3_b32 v20, v33, v20, v17
	s_delay_alu instid0(VALU_DEP_2) | instskip(SKIP_2) | instid1(VALU_DEP_4)
	v_mad_u64_u32 v[17:18], null, 0xd2511f53, v22, 0
	v_xor3_b32 v22, v47, v29, v32
	v_xor3_b32 v28, v48, v31, v28
	v_mad_u64_u32 v[31:32], null, 0xd2511f53, v20, 0
	s_delay_alu instid0(VALU_DEP_3) | instskip(NEXT) | instid1(VALU_DEP_3)
	v_mad_u64_u32 v[25:26], null, 0xcd9e8d57, v22, 0
	v_mad_u64_u32 v[44:45], null, 0xcd9e8d57, v28, 0
	v_xor3_b32 v20, v48, v18, v27
	s_delay_alu instid0(VALU_DEP_4) | instskip(SKIP_2) | instid1(VALU_DEP_4)
	v_xor3_b32 v28, v50, v32, v17
	v_add_nc_u32_e32 v22, 0xb54cda56, v23
	v_add_nc_u32_e32 v27, 0x646e171e, v24
	v_mad_u64_u32 v[17:18], null, 0xcd9e8d57, v20, 0
	v_xor3_b32 v20, v33, v26, v43
	v_xor3_b32 v29, v49, v45, v25
	v_mad_u64_u32 v[45:46], null, 0xcd9e8d57, v28, 0
	v_add_nc_u32_e32 v33, 0x5384540f, v23
	s_delay_alu instid0(VALU_DEP_4) | instskip(NEXT) | instid1(VALU_DEP_4)
	v_mad_u64_u32 v[25:26], null, 0xd2511f53, v20, 0
	v_mad_u64_u32 v[47:48], null, 0xd2511f53, v29, 0
	v_xor3_b32 v19, v49, v18, v19
	v_xor3_b32 v20, v22, v46, v17
	v_add_nc_u32_e32 v49, 0x1fd5c5a3, v24
	v_add_co_u32 v43, null, 0xf1bbcdc8, v23
	v_xor3_b32 v28, v50, v26, v30
	v_xor3_b32 v30, v27, v48, v25
	v_mad_u64_u32 v[17:18], null, 0xd2511f53, v19, 0
	v_mad_u64_u32 v[25:26], null, 0xd2511f53, v20, 0
	s_delay_alu instid0(VALU_DEP_4) | instskip(NEXT) | instid1(VALU_DEP_4)
	v_mad_u64_u32 v[19:20], null, 0xcd9e8d57, v28, 0
	v_mad_u64_u32 v[28:29], null, 0xcd9e8d57, v30, 0
	s_delay_alu instid0(VALU_DEP_4) | instskip(NEXT) | instid1(VALU_DEP_4)
	v_xor3_b32 v27, v27, v18, v31
	v_xor3_b32 v30, v49, v26, v17
	s_delay_alu instid0(VALU_DEP_4) | instskip(NEXT) | instid1(VALU_DEP_3)
	v_xor3_b32 v22, v22, v20, v44
	v_mad_u64_u32 v[17:18], null, 0xcd9e8d57, v27, 0
	v_xor3_b32 v29, v33, v29, v19
	s_delay_alu instid0(VALU_DEP_4) | instskip(NEXT) | instid1(VALU_DEP_4)
	v_mad_u64_u32 v[26:27], null, 0xcd9e8d57, v30, 0
	v_mad_u64_u32 v[19:20], null, 0xd2511f53, v22, 0
	s_delay_alu instid0(VALU_DEP_3)
	v_mad_u64_u32 v[31:32], null, 0xd2511f53, v29, 0
	v_add_nc_u32_e32 v44, 0xdb3d7428, v24
	v_xor3_b32 v18, v33, v18, v45
	v_xor3_b32 v22, v43, v27, v17
	v_add_nc_u32_e32 v45, 0x96a522ad, v24
	v_xor3_b32 v20, v49, v20, v47
	v_and_b32_e32 v24, 3, v21
	v_xor3_b32 v27, v44, v32, v19
	v_mad_u64_u32 v[29:30], null, 0xd2511f53, v18, 0
	v_mad_u64_u32 v[17:18], null, 0xd2511f53, v22, 0
	v_mad_u64_u32 v[32:33], null, 0xcd9e8d57, v20, 0
	s_delay_alu instid0(VALU_DEP_4) | instskip(SKIP_1) | instid1(VALU_DEP_4)
	v_mad_u64_u32 v[19:20], null, 0xcd9e8d57, v27, 0
	v_add_nc_u32_e32 v27, 0x8ff34781, v23
                                        ; implicit-def: $vgpr22
	v_xor3_b32 v23, v18, v29, v45
	s_delay_alu instid0(VALU_DEP_2)
	v_xor3_b32 v18, v20, v32, v27
	v_cmpx_lt_i32_e32 1, v24
	s_xor_b32 s4, exec_lo, s4
	s_cbranch_execz .LBB108_11
; %bb.6:                                ;   in Loop: Header=BB108_3 Depth=1
	s_mov_b32 s37, exec_lo
                                        ; implicit-def: $vgpr22
	v_cmpx_lt_i32_e32 2, v24
	s_xor_b32 s37, exec_lo, s37
; %bb.7:                                ;   in Loop: Header=BB108_3 Depth=1
	v_xor3_b32 v20, v43, v33, v28
                                        ; implicit-def: $vgpr23
	s_delay_alu instid0(VALU_DEP_1) | instskip(NEXT) | instid1(VALU_DEP_1)
	v_mul_hi_u32 v20, 0xd2511f53, v20
	v_xor3_b32 v22, v20, v31, v45
; %bb.8:                                ;   in Loop: Header=BB108_3 Depth=1
	s_and_not1_saveexec_b32 s37, s37
; %bb.9:                                ;   in Loop: Header=BB108_3 Depth=1
	v_dual_mov_b32 v22, v19 :: v_dual_mov_b32 v19, v18
	v_dual_mov_b32 v18, v17 :: v_dual_mov_b32 v17, v23
; %bb.10:                               ;   in Loop: Header=BB108_3 Depth=1
	s_or_b32 exec_lo, exec_lo, s37
                                        ; implicit-def: $vgpr25_vgpr26
                                        ; implicit-def: $vgpr24
                                        ; implicit-def: $vgpr23
                                        ; implicit-def: $vgpr44
                                        ; implicit-def: $vgpr29_vgpr30
                                        ; implicit-def: $vgpr26_vgpr27
                                        ; implicit-def: $vgpr27
.LBB108_11:                             ;   in Loop: Header=BB108_3 Depth=1
	s_and_not1_saveexec_b32 s4, s4
	s_cbranch_execz .LBB108_15
; %bb.12:                               ;   in Loop: Header=BB108_3 Depth=1
	v_xor3_b32 v19, v44, v30, v25
	v_cmp_eq_u32_e32 vcc_lo, 1, v24
	v_mov_b32_e32 v22, v17
	s_delay_alu instid0(VALU_DEP_3) | instskip(SKIP_1) | instid1(VALU_DEP_2)
	v_mad_u64_u32 v[20:21], null, 0xcd9e8d57, v19, 0
	v_mov_b32_e32 v19, v23
	v_xor3_b32 v24, v21, v26, v27
	s_delay_alu instid0(VALU_DEP_3)
	v_mov_b32_e32 v21, v20
	s_and_saveexec_b32 s37, vcc_lo
; %bb.13:                               ;   in Loop: Header=BB108_3 Depth=1
	v_dual_mov_b32 v22, v18 :: v_dual_mov_b32 v19, v17
	v_dual_mov_b32 v21, v23 :: v_dual_mov_b32 v24, v20
; %bb.14:                               ;   in Loop: Header=BB108_3 Depth=1
	s_or_b32 exec_lo, exec_lo, s37
	s_delay_alu instid0(VALU_DEP_1)
	v_dual_mov_b32 v17, v24 :: v_dual_mov_b32 v18, v21
.LBB108_15:                             ;   in Loop: Header=BB108_3 Depth=1
	s_or_b32 exec_lo, exec_lo, s4
	v_min_i32_e32 v20, 4, v0
	s_mov_b32 s37, 0
	s_mov_b32 s41, 0
	s_mov_b32 s40, exec_lo
                                        ; implicit-def: $sgpr4
                                        ; implicit-def: $sgpr38
                                        ; implicit-def: $sgpr39
	s_delay_alu instid0(VALU_DEP_1)
	v_cmpx_lt_i32_e32 2, v20
	s_xor_b32 s40, exec_lo, s40
	s_cbranch_execz .LBB108_25
; %bb.16:                               ;   in Loop: Header=BB108_3 Depth=1
	s_mov_b32 s41, -1
	s_mov_b32 s39, exec_lo
                                        ; implicit-def: $sgpr38
                                        ; implicit-def: $sgpr4
	v_cmpx_lt_i32_e32 3, v20
	s_cbranch_execz .LBB108_20
; %bb.17:                               ;   in Loop: Header=BB108_3 Depth=1
	v_cmp_le_f32_e32 vcc_lo, 0, v42
	v_cmp_ge_f32_e64 s4, 1.0, v42
	s_mov_b32 s38, 0
	s_mov_b32 s41, 0
	s_delay_alu instid0(VALU_DEP_1) | instskip(NEXT) | instid1(SALU_CYCLE_1)
	s_and_b32 s42, vcc_lo, s4
	s_and_saveexec_b32 s4, s42
	s_cbranch_execz .LBB108_19
; %bb.18:                               ;   in Loop: Header=BB108_3 Depth=1
	v_add_co_u32 v21, vcc_lo, v11, s12
	v_add_co_ci_u32_e32 v23, vcc_lo, s13, v12, vcc_lo
	v_cvt_f32_u32_e32 v25, v22
	s_mov_b32 s41, exec_lo
	s_delay_alu instid0(VALU_DEP_2) | instskip(SKIP_1) | instid1(VALU_DEP_1)
	v_cndmask_b32_e64 v24, 0, v23, s3
	v_cndmask_b32_e64 v23, 0, v21, s3
	v_lshlrev_b64 v[21:22], 1, v[23:24]
	v_fmaak_f32 v23, 0x2f800000, v25, 0x2f800000
	s_delay_alu instid0(VALU_DEP_2) | instskip(NEXT) | instid1(VALU_DEP_3)
	v_add_co_u32 v21, vcc_lo, s6, v21
	v_add_co_ci_u32_e32 v22, vcc_lo, s7, v22, vcc_lo
	s_delay_alu instid0(VALU_DEP_3)
	v_cmp_le_f32_e32 vcc_lo, v23, v42
	v_cndmask_b32_e64 v23, 0, 1.0, vcc_lo
	global_store_d16_hi_b16 v[21:22], v23, off
.LBB108_19:                             ;   in Loop: Header=BB108_3 Depth=1
	s_or_b32 exec_lo, exec_lo, s4
	s_mov_b32 s4, -1
	s_or_not1_b32 s41, s41, exec_lo
.LBB108_20:                             ;   in Loop: Header=BB108_3 Depth=1
	s_or_b32 exec_lo, exec_lo, s39
	s_mov_b32 s3, 0
	s_mov_b32 s42, s38
	s_and_saveexec_b32 s39, s41
	s_cbranch_execz .LBB108_24
; %bb.21:                               ;   in Loop: Header=BB108_3 Depth=1
	v_cmp_le_f32_e32 vcc_lo, 0, v41
	v_cmp_ge_f32_e64 s3, 1.0, v41
	s_delay_alu instid0(VALU_DEP_1) | instskip(SKIP_2) | instid1(SALU_CYCLE_1)
	s_and_b32 s41, vcc_lo, s3
	s_mov_b32 s3, 0
	s_and_saveexec_b32 s42, s41
	s_xor_b32 s41, exec_lo, s42
	s_cbranch_execz .LBB108_23
; %bb.22:                               ;   in Loop: Header=BB108_3 Depth=1
	v_add_co_u32 v21, vcc_lo, v7, s12
	v_add_co_ci_u32_e32 v22, vcc_lo, s13, v8, vcc_lo
	v_cvt_f32_u32_e32 v19, v19
	s_delay_alu instid0(VALU_DEP_3) | instskip(SKIP_1) | instid1(VALU_DEP_3)
	v_cndmask_b32_e64 v21, 0, v21, s2
	s_mov_b32 s3, exec_lo
	v_cndmask_b32_e64 v22, 0, v22, s2
	s_delay_alu instid0(VALU_DEP_3) | instskip(NEXT) | instid1(VALU_DEP_2)
	v_fmaak_f32 v19, 0x2f800000, v19, 0x2f800000
	v_lshlrev_b64 v[21:22], 1, v[21:22]
	s_delay_alu instid0(VALU_DEP_1) | instskip(NEXT) | instid1(VALU_DEP_2)
	v_add_co_u32 v21, vcc_lo, s6, v21
	v_add_co_ci_u32_e32 v22, vcc_lo, s7, v22, vcc_lo
	s_delay_alu instid0(VALU_DEP_4)
	v_cmp_le_f32_e32 vcc_lo, v19, v41
	v_cndmask_b32_e64 v19, 0, 1.0, vcc_lo
	global_store_d16_hi_b16 v[21:22], v19, off
.LBB108_23:                             ;   in Loop: Header=BB108_3 Depth=1
	s_or_b32 exec_lo, exec_lo, s41
	s_delay_alu instid0(SALU_CYCLE_1)
	s_and_not1_b32 s42, s38, exec_lo
	s_or_b32 s38, s38, exec_lo
	s_and_not1_b32 s4, s4, exec_lo
	s_and_b32 s3, s3, exec_lo
.LBB108_24:                             ;   in Loop: Header=BB108_3 Depth=1
	s_or_b32 exec_lo, exec_lo, s39
	s_delay_alu instid0(SALU_CYCLE_1)
	s_and_b32 s39, s42, exec_lo
	s_and_b32 s38, s38, exec_lo
	;; [unrolled: 1-line block ×4, first 2 shown]
.LBB108_25:                             ;   in Loop: Header=BB108_3 Depth=1
	s_and_not1_saveexec_b32 s2, s40
; %bb.26:                               ;   in Loop: Header=BB108_3 Depth=1
	v_cmp_lt_i32_e32 vcc_lo, 1, v20
	s_and_not1_b32 s3, s41, exec_lo
	s_mov_b32 s37, exec_lo
	s_and_not1_b32 s39, s39, exec_lo
	s_and_not1_b32 s38, s38, exec_lo
	s_and_b32 s40, vcc_lo, exec_lo
	s_and_not1_b32 s4, s4, exec_lo
	s_or_b32 s41, s3, s40
; %bb.27:                               ;   in Loop: Header=BB108_3 Depth=1
	s_or_b32 exec_lo, exec_lo, s2
	s_mov_b32 s3, 0
	s_mov_b32 s40, 0
	;; [unrolled: 1-line block ×3, first 2 shown]
	s_and_saveexec_b32 s42, s41
	s_cbranch_execnz .LBB108_30
; %bb.28:                               ;   in Loop: Header=BB108_3 Depth=1
	s_or_b32 exec_lo, exec_lo, s42
	s_and_saveexec_b32 s1, s37
	s_cbranch_execnz .LBB108_33
.LBB108_29:                             ;   in Loop: Header=BB108_3 Depth=1
	s_or_b32 exec_lo, exec_lo, s1
	s_and_saveexec_b32 s37, s40
	s_cbranch_execnz .LBB108_34
	s_branch .LBB108_37
.LBB108_30:                             ;   in Loop: Header=BB108_3 Depth=1
	v_cmp_le_f32_e32 vcc_lo, 0, v40
	v_cmp_ge_f32_e64 s2, 1.0, v40
	s_delay_alu instid0(VALU_DEP_1) | instskip(NEXT) | instid1(SALU_CYCLE_1)
	s_and_b32 s2, vcc_lo, s2
	s_and_saveexec_b32 s41, s2
	s_delay_alu instid0(SALU_CYCLE_1)
	s_xor_b32 s2, exec_lo, s41
	s_cbranch_execz .LBB108_32
; %bb.31:                               ;   in Loop: Header=BB108_3 Depth=1
	v_add_co_u32 v19, vcc_lo, v10, s12
	v_add_co_ci_u32_e32 v21, vcc_lo, s13, v35, vcc_lo
	v_cvt_f32_u32_e32 v23, v18
	s_mov_b32 s40, exec_lo
	s_delay_alu instid0(VALU_DEP_2) | instskip(SKIP_1) | instid1(VALU_DEP_1)
	v_cndmask_b32_e64 v22, 0, v21, s1
	v_cndmask_b32_e64 v21, 0, v19, s1
	v_lshlrev_b64 v[18:19], 1, v[21:22]
	v_fmaak_f32 v21, 0x2f800000, v23, 0x2f800000
	s_delay_alu instid0(VALU_DEP_2) | instskip(NEXT) | instid1(VALU_DEP_3)
	v_add_co_u32 v18, vcc_lo, s6, v18
	v_add_co_ci_u32_e32 v19, vcc_lo, s7, v19, vcc_lo
	s_delay_alu instid0(VALU_DEP_3)
	v_cmp_le_f32_e32 vcc_lo, v21, v40
	v_cndmask_b32_e64 v21, 0, 1.0, vcc_lo
	global_store_d16_hi_b16 v[18:19], v21, off
.LBB108_32:                             ;   in Loop: Header=BB108_3 Depth=1
	s_or_b32 exec_lo, exec_lo, s2
	s_delay_alu instid0(SALU_CYCLE_1)
	s_and_not1_b32 s2, s39, exec_lo
	s_or_b32 s39, s39, exec_lo
	s_and_not1_b32 s38, s38, exec_lo
	s_and_not1_b32 s4, s4, exec_lo
	s_and_b32 s40, s40, exec_lo
	s_and_not1_b32 s37, s37, exec_lo
	s_or_b32 exec_lo, exec_lo, s42
	s_and_saveexec_b32 s1, s37
	s_cbranch_execz .LBB108_29
.LBB108_33:                             ;   in Loop: Header=BB108_3 Depth=1
	v_cmp_eq_u32_e32 vcc_lo, 1, v20
	s_and_not1_b32 s37, s40, exec_lo
	s_mov_b32 s3, exec_lo
	s_and_not1_b32 s2, s2, exec_lo
	s_and_not1_b32 s39, s39, exec_lo
	s_and_b32 s40, vcc_lo, exec_lo
	s_and_not1_b32 s38, s38, exec_lo
	s_and_not1_b32 s4, s4, exec_lo
	s_or_b32 s40, s37, s40
	s_or_b32 exec_lo, exec_lo, s1
	s_and_saveexec_b32 s37, s40
	s_cbranch_execz .LBB108_37
.LBB108_34:                             ;   in Loop: Header=BB108_3 Depth=1
	v_cmp_le_f32_e32 vcc_lo, 0, v39
	v_cmp_ge_f32_e64 s1, 1.0, v39
	s_delay_alu instid0(VALU_DEP_1)
	s_and_b32 s41, vcc_lo, s1
	s_mov_b32 s1, 0
	s_and_saveexec_b32 s40, s41
	s_cbranch_execz .LBB108_36
; %bb.35:                               ;   in Loop: Header=BB108_3 Depth=1
	v_add_co_u32 v18, vcc_lo, v5, s12
	v_add_co_ci_u32_e32 v19, vcc_lo, s13, v6, vcc_lo
	v_cvt_f32_u32_e32 v20, v17
	s_delay_alu instid0(VALU_DEP_3) | instskip(SKIP_1) | instid1(VALU_DEP_3)
	v_cndmask_b32_e64 v18, 0, v18, s0
	s_mov_b32 s1, exec_lo
	v_cndmask_b32_e64 v19, 0, v19, s0
	s_delay_alu instid0(VALU_DEP_1) | instskip(SKIP_1) | instid1(VALU_DEP_2)
	v_lshlrev_b64 v[17:18], 1, v[18:19]
	v_fmaak_f32 v19, 0x2f800000, v20, 0x2f800000
	v_add_co_u32 v17, vcc_lo, s6, v17
	s_delay_alu instid0(VALU_DEP_3) | instskip(NEXT) | instid1(VALU_DEP_3)
	v_add_co_ci_u32_e32 v18, vcc_lo, s7, v18, vcc_lo
	v_cmp_le_f32_e32 vcc_lo, v19, v39
	v_cndmask_b32_e64 v19, 0, 1.0, vcc_lo
	global_store_d16_hi_b16 v[17:18], v19, off
.LBB108_36:                             ;   in Loop: Header=BB108_3 Depth=1
	s_or_b32 exec_lo, exec_lo, s40
	s_delay_alu instid0(SALU_CYCLE_1)
	s_and_not1_b32 s0, s3, exec_lo
	s_and_b32 s1, s1, exec_lo
	s_or_b32 s2, s2, exec_lo
	s_and_not1_b32 s39, s39, exec_lo
	s_and_not1_b32 s38, s38, exec_lo
	;; [unrolled: 1-line block ×3, first 2 shown]
	s_or_b32 s3, s0, s1
.LBB108_37:                             ;   in Loop: Header=BB108_3 Depth=1
	s_or_b32 exec_lo, exec_lo, s37
	s_delay_alu instid0(SALU_CYCLE_1)
	s_and_not1_b32 s1, s36, exec_lo
	s_and_b32 s2, s2, exec_lo
	s_and_not1_b32 s34, s34, exec_lo
	s_and_b32 s37, s39, exec_lo
	s_or_b32 s36, s1, s2
	s_and_not1_b32 s1, s35, exec_lo
	s_and_b32 s2, s38, exec_lo
	s_and_not1_b32 s33, s33, exec_lo
	s_and_b32 s4, s4, exec_lo
	s_mov_b32 s0, -1
	s_or_b32 s34, s34, s37
	s_or_b32 s35, s1, s2
	;; [unrolled: 1-line block ×3, first 2 shown]
	s_and_saveexec_b32 s1, s3
	s_cbranch_execz .LBB108_2
; %bb.38:                               ;   in Loop: Header=BB108_3 Depth=1
	v_add_co_u32 v2, vcc_lo, v2, s15
	v_add_co_ci_u32_e32 v3, vcc_lo, 0, v3, vcc_lo
	v_subrev_nc_u32_e32 v0, s15, v0
	s_add_u32 s12, s12, s25
	s_addc_u32 s13, s13, s24
	s_delay_alu instid0(VALU_DEP_2)
	v_cmp_le_u64_e32 vcc_lo, s[16:17], v[2:3]
	s_add_u32 s10, s10, s28
	s_addc_u32 s11, s11, s27
	s_and_not1_b32 s36, s36, exec_lo
	s_and_not1_b32 s34, s34, exec_lo
	s_and_not1_b32 s35, s35, exec_lo
	s_and_not1_b32 s33, s33, exec_lo
	s_or_not1_b32 s0, vcc_lo, exec_lo
	s_branch .LBB108_2
.LBB108_39:
	s_or_b32 exec_lo, exec_lo, s5
	s_xor_b32 s3, s30, -1
	s_xor_b32 s4, s31, -1
	;; [unrolled: 1-line block ×3, first 2 shown]
	s_mov_b32 s1, 0
	s_and_saveexec_b32 s2, s0
	s_delay_alu instid0(SALU_CYCLE_1)
	s_xor_b32 s0, exec_lo, s2
	s_cbranch_execz .LBB108_48
; %bb.40:
	s_mov_b32 s2, 0
	s_and_saveexec_b32 s1, s4
	s_delay_alu instid0(SALU_CYCLE_1)
	s_xor_b32 s1, exec_lo, s1
	s_cbranch_execz .LBB108_46
; %bb.41:
	s_and_saveexec_b32 s4, s3
	s_delay_alu instid0(SALU_CYCLE_1)
	s_xor_b32 s3, exec_lo, s4
	s_cbranch_execz .LBB108_44
; %bb.42:
	s_and_saveexec_b32 s4, s26
	s_delay_alu instid0(SALU_CYCLE_1)
	s_xor_b32 s4, exec_lo, s4
	s_cbranch_execnz .LBB108_62
.LBB108_43:
	s_or_b32 exec_lo, exec_lo, s4
	s_delay_alu instid0(SALU_CYCLE_1)
	s_and_b32 s2, s2, exec_lo
.LBB108_44:
	s_and_not1_saveexec_b32 s3, s3
	s_cbranch_execnz .LBB108_58
.LBB108_45:
	s_or_b32 exec_lo, exec_lo, s3
	s_delay_alu instid0(SALU_CYCLE_1)
	s_and_b32 s2, s2, exec_lo
.LBB108_46:
	s_and_not1_saveexec_b32 s1, s1
	s_cbranch_execnz .LBB108_54
.LBB108_47:
	s_or_b32 exec_lo, exec_lo, s1
	s_delay_alu instid0(SALU_CYCLE_1)
	s_and_b32 s1, s2, exec_lo
.LBB108_48:
	s_and_not1_saveexec_b32 s0, s0
	s_cbranch_execnz .LBB108_52
; %bb.49:
	s_or_b32 exec_lo, exec_lo, s0
	s_delay_alu instid0(SALU_CYCLE_1)
	s_and_b32 exec_lo, exec_lo, s1
.LBB108_50:
	; divergent unreachable
.LBB108_51:
	s_nop 0
	s_sendmsg sendmsg(MSG_DEALLOC_VGPRS)
	s_endpgm
.LBB108_52:
	s_cbranch_execnz .LBB108_56
; %bb.53:
	s_or_b32 s1, s1, exec_lo
	s_or_b32 exec_lo, exec_lo, s0
	s_delay_alu instid0(SALU_CYCLE_1)
	s_and_b32 exec_lo, exec_lo, s1
	s_cbranch_execnz .LBB108_50
	s_branch .LBB108_51
.LBB108_54:
	s_cbranch_execnz .LBB108_60
; %bb.55:
	s_or_b32 s2, s2, exec_lo
	s_branch .LBB108_47
.LBB108_56:
	s_trap 2
	s_sendmsg_rtn_b32 s0, sendmsg(MSG_RTN_GET_DOORBELL)
	s_mov_b32 ttmp2, m0
	s_waitcnt lgkmcnt(0)
	s_and_b32 s0, s0, 0x3ff
	s_delay_alu instid0(SALU_CYCLE_1) | instskip(NEXT) | instid1(SALU_CYCLE_1)
	s_bitset1_b32 s0, 10
	s_mov_b32 m0, s0
	s_sendmsg sendmsg(MSG_INTERRUPT)
	s_mov_b32 m0, ttmp2
.LBB108_57:                             ; =>This Inner Loop Header: Depth=1
	s_sethalt 5
	s_branch .LBB108_57
.LBB108_58:
	s_cbranch_execnz .LBB108_64
; %bb.59:
	s_or_b32 s2, s2, exec_lo
	s_branch .LBB108_45
.LBB108_60:
	s_trap 2
	s_sendmsg_rtn_b32 s0, sendmsg(MSG_RTN_GET_DOORBELL)
	s_mov_b32 ttmp2, m0
	s_waitcnt lgkmcnt(0)
	s_and_b32 s0, s0, 0x3ff
	s_delay_alu instid0(SALU_CYCLE_1) | instskip(NEXT) | instid1(SALU_CYCLE_1)
	s_bitset1_b32 s0, 10
	s_mov_b32 m0, s0
	s_sendmsg sendmsg(MSG_INTERRUPT)
	s_mov_b32 m0, ttmp2
.LBB108_61:                             ; =>This Inner Loop Header: Depth=1
	s_sethalt 5
	s_branch .LBB108_61
.LBB108_62:
	s_cbranch_execnz .LBB108_66
; %bb.63:
	s_mov_b32 s2, exec_lo
	s_branch .LBB108_43
.LBB108_64:
	s_trap 2
	s_sendmsg_rtn_b32 s0, sendmsg(MSG_RTN_GET_DOORBELL)
	s_mov_b32 ttmp2, m0
	s_waitcnt lgkmcnt(0)
	s_and_b32 s0, s0, 0x3ff
	s_delay_alu instid0(SALU_CYCLE_1) | instskip(NEXT) | instid1(SALU_CYCLE_1)
	s_bitset1_b32 s0, 10
	s_mov_b32 m0, s0
	s_sendmsg sendmsg(MSG_INTERRUPT)
	s_mov_b32 m0, ttmp2
.LBB108_65:                             ; =>This Inner Loop Header: Depth=1
	s_sethalt 5
	s_branch .LBB108_65
.LBB108_66:
	s_trap 2
	s_sendmsg_rtn_b32 s0, sendmsg(MSG_RTN_GET_DOORBELL)
	s_mov_b32 ttmp2, m0
	s_waitcnt lgkmcnt(0)
	s_and_b32 s0, s0, 0x3ff
	s_delay_alu instid0(SALU_CYCLE_1) | instskip(NEXT) | instid1(SALU_CYCLE_1)
	s_bitset1_b32 s0, 10
	s_mov_b32 m0, s0
	s_sendmsg sendmsg(MSG_INTERRUPT)
	s_mov_b32 m0, ttmp2
.LBB108_67:                             ; =>This Inner Loop Header: Depth=1
	s_sethalt 5
	s_branch .LBB108_67
	.section	.rodata,"a",@progbits
	.p2align	6, 0x0
	.amdhsa_kernel _ZN2at4cuda12_GLOBAL__N_121kernelPointwiseApply2IZNS_6native9templates4cuda28bernoulli_tensor_cuda_kernelIN3c108BFloat16EfEEvRKNS_10TensorBaseESB_NS_15PhiloxCudaStateEEUliRS8_SD_SD_SD_RKfSF_SF_SF_E_S8_SE_mLi1ELi1ELi4ELi512ELi2EEEvNS0_6detail10TensorInfoIT0_T2_EENSI_IT1_SK_EESK_T_
		.amdhsa_group_segment_fixed_size 0
		.amdhsa_private_segment_fixed_size 0
		.amdhsa_kernarg_size 1128
		.amdhsa_user_sgpr_count 15
		.amdhsa_user_sgpr_dispatch_ptr 0
		.amdhsa_user_sgpr_queue_ptr 0
		.amdhsa_user_sgpr_kernarg_segment_ptr 1
		.amdhsa_user_sgpr_dispatch_id 0
		.amdhsa_user_sgpr_private_segment_size 0
		.amdhsa_wavefront_size32 1
		.amdhsa_uses_dynamic_stack 0
		.amdhsa_enable_private_segment 0
		.amdhsa_system_sgpr_workgroup_id_x 1
		.amdhsa_system_sgpr_workgroup_id_y 0
		.amdhsa_system_sgpr_workgroup_id_z 0
		.amdhsa_system_sgpr_workgroup_info 0
		.amdhsa_system_vgpr_workitem_id 0
		.amdhsa_next_free_vgpr 51
		.amdhsa_next_free_sgpr 43
		.amdhsa_reserve_vcc 1
		.amdhsa_float_round_mode_32 0
		.amdhsa_float_round_mode_16_64 0
		.amdhsa_float_denorm_mode_32 3
		.amdhsa_float_denorm_mode_16_64 3
		.amdhsa_dx10_clamp 1
		.amdhsa_ieee_mode 1
		.amdhsa_fp16_overflow 0
		.amdhsa_workgroup_processor_mode 1
		.amdhsa_memory_ordered 1
		.amdhsa_forward_progress 0
		.amdhsa_shared_vgpr_count 0
		.amdhsa_exception_fp_ieee_invalid_op 0
		.amdhsa_exception_fp_denorm_src 0
		.amdhsa_exception_fp_ieee_div_zero 0
		.amdhsa_exception_fp_ieee_overflow 0
		.amdhsa_exception_fp_ieee_underflow 0
		.amdhsa_exception_fp_ieee_inexact 0
		.amdhsa_exception_int_div_zero 0
	.end_amdhsa_kernel
	.section	.text._ZN2at4cuda12_GLOBAL__N_121kernelPointwiseApply2IZNS_6native9templates4cuda28bernoulli_tensor_cuda_kernelIN3c108BFloat16EfEEvRKNS_10TensorBaseESB_NS_15PhiloxCudaStateEEUliRS8_SD_SD_SD_RKfSF_SF_SF_E_S8_SE_mLi1ELi1ELi4ELi512ELi2EEEvNS0_6detail10TensorInfoIT0_T2_EENSI_IT1_SK_EESK_T_,"axG",@progbits,_ZN2at4cuda12_GLOBAL__N_121kernelPointwiseApply2IZNS_6native9templates4cuda28bernoulli_tensor_cuda_kernelIN3c108BFloat16EfEEvRKNS_10TensorBaseESB_NS_15PhiloxCudaStateEEUliRS8_SD_SD_SD_RKfSF_SF_SF_E_S8_SE_mLi1ELi1ELi4ELi512ELi2EEEvNS0_6detail10TensorInfoIT0_T2_EENSI_IT1_SK_EESK_T_,comdat
.Lfunc_end108:
	.size	_ZN2at4cuda12_GLOBAL__N_121kernelPointwiseApply2IZNS_6native9templates4cuda28bernoulli_tensor_cuda_kernelIN3c108BFloat16EfEEvRKNS_10TensorBaseESB_NS_15PhiloxCudaStateEEUliRS8_SD_SD_SD_RKfSF_SF_SF_E_S8_SE_mLi1ELi1ELi4ELi512ELi2EEEvNS0_6detail10TensorInfoIT0_T2_EENSI_IT1_SK_EESK_T_, .Lfunc_end108-_ZN2at4cuda12_GLOBAL__N_121kernelPointwiseApply2IZNS_6native9templates4cuda28bernoulli_tensor_cuda_kernelIN3c108BFloat16EfEEvRKNS_10TensorBaseESB_NS_15PhiloxCudaStateEEUliRS8_SD_SD_SD_RKfSF_SF_SF_E_S8_SE_mLi1ELi1ELi4ELi512ELi2EEEvNS0_6detail10TensorInfoIT0_T2_EENSI_IT1_SK_EESK_T_
                                        ; -- End function
	.section	.AMDGPU.csdata,"",@progbits
; Kernel info:
; codeLenInByte = 3520
; NumSgprs: 45
; NumVgprs: 51
; ScratchSize: 0
; MemoryBound: 0
; FloatMode: 240
; IeeeMode: 1
; LDSByteSize: 0 bytes/workgroup (compile time only)
; SGPRBlocks: 5
; VGPRBlocks: 6
; NumSGPRsForWavesPerEU: 45
; NumVGPRsForWavesPerEU: 51
; Occupancy: 16
; WaveLimiterHint : 1
; COMPUTE_PGM_RSRC2:SCRATCH_EN: 0
; COMPUTE_PGM_RSRC2:USER_SGPR: 15
; COMPUTE_PGM_RSRC2:TRAP_HANDLER: 0
; COMPUTE_PGM_RSRC2:TGID_X_EN: 1
; COMPUTE_PGM_RSRC2:TGID_Y_EN: 0
; COMPUTE_PGM_RSRC2:TGID_Z_EN: 0
; COMPUTE_PGM_RSRC2:TIDIG_COMP_CNT: 0
	.section	.text._ZN2at4cuda12_GLOBAL__N_121kernelPointwiseApply2IZNS_6native9templates4cuda28bernoulli_tensor_cuda_kernelIN3c108BFloat16EfEEvRKNS_10TensorBaseESB_NS_15PhiloxCudaStateEEUliRS8_SD_SD_SD_RKfSF_SF_SF_E_S8_SE_mLin1ELin1ELi4ELi512ELi2EEEvNS0_6detail10TensorInfoIT0_T2_EENSI_IT1_SK_EESK_T_,"axG",@progbits,_ZN2at4cuda12_GLOBAL__N_121kernelPointwiseApply2IZNS_6native9templates4cuda28bernoulli_tensor_cuda_kernelIN3c108BFloat16EfEEvRKNS_10TensorBaseESB_NS_15PhiloxCudaStateEEUliRS8_SD_SD_SD_RKfSF_SF_SF_E_S8_SE_mLin1ELin1ELi4ELi512ELi2EEEvNS0_6detail10TensorInfoIT0_T2_EENSI_IT1_SK_EESK_T_,comdat
	.globl	_ZN2at4cuda12_GLOBAL__N_121kernelPointwiseApply2IZNS_6native9templates4cuda28bernoulli_tensor_cuda_kernelIN3c108BFloat16EfEEvRKNS_10TensorBaseESB_NS_15PhiloxCudaStateEEUliRS8_SD_SD_SD_RKfSF_SF_SF_E_S8_SE_mLin1ELin1ELi4ELi512ELi2EEEvNS0_6detail10TensorInfoIT0_T2_EENSI_IT1_SK_EESK_T_ ; -- Begin function _ZN2at4cuda12_GLOBAL__N_121kernelPointwiseApply2IZNS_6native9templates4cuda28bernoulli_tensor_cuda_kernelIN3c108BFloat16EfEEvRKNS_10TensorBaseESB_NS_15PhiloxCudaStateEEUliRS8_SD_SD_SD_RKfSF_SF_SF_E_S8_SE_mLin1ELin1ELi4ELi512ELi2EEEvNS0_6detail10TensorInfoIT0_T2_EENSI_IT1_SK_EESK_T_
	.p2align	8
	.type	_ZN2at4cuda12_GLOBAL__N_121kernelPointwiseApply2IZNS_6native9templates4cuda28bernoulli_tensor_cuda_kernelIN3c108BFloat16EfEEvRKNS_10TensorBaseESB_NS_15PhiloxCudaStateEEUliRS8_SD_SD_SD_RKfSF_SF_SF_E_S8_SE_mLin1ELin1ELi4ELi512ELi2EEEvNS0_6detail10TensorInfoIT0_T2_EENSI_IT1_SK_EESK_T_,@function
_ZN2at4cuda12_GLOBAL__N_121kernelPointwiseApply2IZNS_6native9templates4cuda28bernoulli_tensor_cuda_kernelIN3c108BFloat16EfEEvRKNS_10TensorBaseESB_NS_15PhiloxCudaStateEEUliRS8_SD_SD_SD_RKfSF_SF_SF_E_S8_SE_mLin1ELin1ELi4ELi512ELi2EEEvNS0_6detail10TensorInfoIT0_T2_EENSI_IT1_SK_EESK_T_: ; @_ZN2at4cuda12_GLOBAL__N_121kernelPointwiseApply2IZNS_6native9templates4cuda28bernoulli_tensor_cuda_kernelIN3c108BFloat16EfEEvRKNS_10TensorBaseESB_NS_15PhiloxCudaStateEEUliRS8_SD_SD_SD_RKfSF_SF_SF_E_S8_SE_mLin1ELin1ELi4ELi512ELi2EEEvNS0_6detail10TensorInfoIT0_T2_EENSI_IT1_SK_EESK_T_
; %bb.0:
	s_clause 0x1
	s_load_b32 s12, s[0:1], 0x374
	s_load_b256 s[4:11], s[0:1], 0x340
	s_add_u32 s2, s0, 0x368
	s_addc_u32 s3, s1, 0
	s_waitcnt lgkmcnt(0)
	s_and_b32 s18, s12, 0xffff
	s_mov_b32 s12, exec_lo
	v_mad_u64_u32 v[1:2], null, s15, s18, v[0:1]
	v_mov_b32_e32 v2, 0
	s_delay_alu instid0(VALU_DEP_1) | instskip(NEXT) | instid1(VALU_DEP_1)
	v_dual_mov_b32 v5, v2 :: v_dual_lshlrev_b32 v4, 2, v1
	v_cmpx_gt_u64_e64 s[4:5], v[4:5]
	s_cbranch_execz .LBB109_122
; %bb.1:
	s_clause 0x2
	s_load_b32 s22, s[0:1], 0x198
	s_load_b32 s23, s[0:1], 0x338
	;; [unrolled: 1-line block ×4, first 2 shown]
	s_add_u32 s24, s0, 0x1a0
	s_addc_u32 s25, s1, 0
	s_clause 0x3
	s_load_b64 s[2:3], s[0:1], 0x270
	s_load_b64 s[12:13], s[0:1], 0x1a0
	;; [unrolled: 1-line block ×4, first 2 shown]
	s_mov_b32 s19, 0
	v_mad_u64_u32 v[6:7], null, 0xcd9e8d57, v1, 0
                                        ; implicit-def: $sgpr35
                                        ; implicit-def: $sgpr37
                                        ; implicit-def: $sgpr36
                                        ; implicit-def: $sgpr38
                                        ; implicit-def: $sgpr40
                                        ; implicit-def: $sgpr39
                                        ; implicit-def: $sgpr41
	s_delay_alu instid0(VALU_DEP_1)
	v_mov_b32_e32 v0, v7
	s_waitcnt lgkmcnt(0)
	s_cmp_gt_i32 s22, 1
	s_cselect_b32 s28, -1, 0
	s_cmp_gt_i32 s23, 1
	s_mul_i32 s21, s21, s18
	s_cselect_b32 s29, -1, 0
	s_bitcmp1_b32 s20, 0
	s_cselect_b32 s30, -1, 0
	s_add_i32 s18, s22, -1
	s_lshl_b32 s31, s21, 2
	s_lshl_b64 s[20:21], s[18:19], 3
	s_add_i32 s33, s22, 1
	s_add_u32 s0, s20, s0
	s_addc_u32 s1, s21, s1
	s_add_u32 s20, s0, 8
	s_addc_u32 s21, s1, 0
	s_add_i32 s18, s23, -1
	s_add_i32 s34, s23, 1
	s_lshl_b64 s[0:1], s[18:19], 3
                                        ; implicit-def: $sgpr18
	s_delay_alu instid0(SALU_CYCLE_1)
	s_add_u32 s0, s0, s24
	s_addc_u32 s1, s1, s25
	s_add_u32 s22, s0, 8
	s_addc_u32 s23, s1, 0
	s_branch .LBB109_3
.LBB109_2:                              ;   in Loop: Header=BB109_3 Depth=1
	s_or_b32 exec_lo, exec_lo, s1
	s_delay_alu instid0(SALU_CYCLE_1) | instskip(NEXT) | instid1(SALU_CYCLE_1)
	s_and_b32 s0, exec_lo, s0
	s_or_b32 s19, s0, s19
	s_and_not1_b32 s0, s18, exec_lo
	s_and_b32 s1, s41, exec_lo
	s_and_not1_b32 s24, s36, exec_lo
	s_and_b32 s25, s39, exec_lo
	s_or_b32 s18, s0, s1
	s_or_b32 s36, s24, s25
	s_and_not1_b32 s0, s37, exec_lo
	s_and_b32 s1, s40, exec_lo
	s_and_not1_b32 s24, s35, exec_lo
	s_and_b32 s25, s38, exec_lo
	s_or_b32 s37, s0, s1
	s_or_b32 s35, s24, s25
	s_and_not1_b32 exec_lo, exec_lo, s19
	s_cbranch_execz .LBB109_110
.LBB109_3:                              ; =>This Loop Header: Depth=1
                                        ;     Child Loop BB109_5 Depth 2
                                        ;     Child Loop BB109_14 Depth 2
	;; [unrolled: 1-line block ×8, first 2 shown]
	v_sub_nc_u32_e32 v32, s4, v4
	v_mov_b32_e32 v7, 0
	v_mov_b32_e32 v8, 0
	s_delay_alu instid0(VALU_DEP_3) | instskip(NEXT) | instid1(VALU_DEP_1)
	v_cmp_lt_i32_e64 s0, 0, v32
	s_and_saveexec_b32 s42, s0
	s_cbranch_execz .LBB109_12
; %bb.4:                                ;   in Loop: Header=BB109_3 Depth=1
	v_dual_mov_b32 v9, 0 :: v_dual_mov_b32 v8, v5
	v_dual_mov_b32 v10, 0 :: v_dual_mov_b32 v7, v4
	;; [unrolled: 1-line block ×3, first 2 shown]
	s_and_not1_b32 vcc_lo, exec_lo, s28
	s_mov_b64 s[24:25], s[20:21]
	s_mov_b32 s43, s33
	s_cbranch_vccnz .LBB109_11
.LBB109_5:                              ;   Parent Loop BB109_3 Depth=1
                                        ; =>  This Inner Loop Header: Depth=2
	s_load_b64 s[26:27], s[24:25], 0x0
                                        ; implicit-def: $vgpr11_vgpr12
	s_mov_b32 s1, exec_lo
	s_waitcnt lgkmcnt(0)
	v_or_b32_e32 v3, s27, v8
	s_delay_alu instid0(VALU_DEP_1)
	v_cmpx_ne_u64_e32 0, v[2:3]
	s_xor_b32 s44, exec_lo, s1
	s_cbranch_execz .LBB109_7
; %bb.6:                                ;   in Loop: Header=BB109_5 Depth=2
	v_cvt_f32_u32_e32 v3, s26
	v_cvt_f32_u32_e32 v11, s27
	s_sub_u32 s1, 0, s26
	s_subb_u32 s45, 0, s27
	s_delay_alu instid0(VALU_DEP_1) | instskip(NEXT) | instid1(VALU_DEP_1)
	v_fmac_f32_e32 v3, 0x4f800000, v11
	v_rcp_f32_e32 v3, v3
	s_waitcnt_depctr 0xfff
	v_mul_f32_e32 v3, 0x5f7ffffc, v3
	s_delay_alu instid0(VALU_DEP_1) | instskip(NEXT) | instid1(VALU_DEP_1)
	v_mul_f32_e32 v11, 0x2f800000, v3
	v_trunc_f32_e32 v11, v11
	s_delay_alu instid0(VALU_DEP_1) | instskip(SKIP_1) | instid1(VALU_DEP_2)
	v_fmac_f32_e32 v3, 0xcf800000, v11
	v_cvt_u32_f32_e32 v11, v11
	v_cvt_u32_f32_e32 v3, v3
	s_delay_alu instid0(VALU_DEP_2) | instskip(NEXT) | instid1(VALU_DEP_2)
	v_mul_lo_u32 v12, s1, v11
	v_mul_hi_u32 v13, s1, v3
	v_mul_lo_u32 v14, s45, v3
	s_delay_alu instid0(VALU_DEP_2) | instskip(SKIP_1) | instid1(VALU_DEP_2)
	v_add_nc_u32_e32 v12, v13, v12
	v_mul_lo_u32 v13, s1, v3
	v_add_nc_u32_e32 v12, v12, v14
	s_delay_alu instid0(VALU_DEP_2) | instskip(NEXT) | instid1(VALU_DEP_2)
	v_mul_hi_u32 v14, v3, v13
	v_mul_lo_u32 v15, v3, v12
	v_mul_hi_u32 v16, v3, v12
	v_mul_hi_u32 v17, v11, v13
	v_mul_lo_u32 v13, v11, v13
	v_mul_hi_u32 v18, v11, v12
	v_mul_lo_u32 v12, v11, v12
	v_add_co_u32 v14, vcc_lo, v14, v15
	v_add_co_ci_u32_e32 v15, vcc_lo, 0, v16, vcc_lo
	s_delay_alu instid0(VALU_DEP_2) | instskip(NEXT) | instid1(VALU_DEP_2)
	v_add_co_u32 v13, vcc_lo, v14, v13
	v_add_co_ci_u32_e32 v13, vcc_lo, v15, v17, vcc_lo
	v_add_co_ci_u32_e32 v14, vcc_lo, 0, v18, vcc_lo
	s_delay_alu instid0(VALU_DEP_2) | instskip(NEXT) | instid1(VALU_DEP_2)
	v_add_co_u32 v12, vcc_lo, v13, v12
	v_add_co_ci_u32_e32 v13, vcc_lo, 0, v14, vcc_lo
	s_delay_alu instid0(VALU_DEP_2) | instskip(NEXT) | instid1(VALU_DEP_2)
	v_add_co_u32 v3, vcc_lo, v3, v12
	v_add_co_ci_u32_e32 v11, vcc_lo, v11, v13, vcc_lo
	s_delay_alu instid0(VALU_DEP_2) | instskip(SKIP_1) | instid1(VALU_DEP_3)
	v_mul_hi_u32 v12, s1, v3
	v_mul_lo_u32 v14, s45, v3
	v_mul_lo_u32 v13, s1, v11
	s_delay_alu instid0(VALU_DEP_1) | instskip(SKIP_1) | instid1(VALU_DEP_2)
	v_add_nc_u32_e32 v12, v12, v13
	v_mul_lo_u32 v13, s1, v3
	v_add_nc_u32_e32 v12, v12, v14
	s_delay_alu instid0(VALU_DEP_2) | instskip(NEXT) | instid1(VALU_DEP_2)
	v_mul_hi_u32 v14, v3, v13
	v_mul_lo_u32 v15, v3, v12
	v_mul_hi_u32 v16, v3, v12
	v_mul_hi_u32 v17, v11, v13
	v_mul_lo_u32 v13, v11, v13
	v_mul_hi_u32 v18, v11, v12
	v_mul_lo_u32 v12, v11, v12
	v_add_co_u32 v14, vcc_lo, v14, v15
	v_add_co_ci_u32_e32 v15, vcc_lo, 0, v16, vcc_lo
	s_delay_alu instid0(VALU_DEP_2) | instskip(NEXT) | instid1(VALU_DEP_2)
	v_add_co_u32 v13, vcc_lo, v14, v13
	v_add_co_ci_u32_e32 v13, vcc_lo, v15, v17, vcc_lo
	v_add_co_ci_u32_e32 v14, vcc_lo, 0, v18, vcc_lo
	s_delay_alu instid0(VALU_DEP_2) | instskip(NEXT) | instid1(VALU_DEP_2)
	v_add_co_u32 v12, vcc_lo, v13, v12
	v_add_co_ci_u32_e32 v13, vcc_lo, 0, v14, vcc_lo
	s_delay_alu instid0(VALU_DEP_2) | instskip(NEXT) | instid1(VALU_DEP_2)
	v_add_co_u32 v3, vcc_lo, v3, v12
	v_add_co_ci_u32_e32 v17, vcc_lo, v11, v13, vcc_lo
	s_delay_alu instid0(VALU_DEP_2) | instskip(SKIP_1) | instid1(VALU_DEP_3)
	v_mul_hi_u32 v18, v7, v3
	v_mad_u64_u32 v[13:14], null, v8, v3, 0
	v_mad_u64_u32 v[11:12], null, v7, v17, 0
	;; [unrolled: 1-line block ×3, first 2 shown]
	s_delay_alu instid0(VALU_DEP_2) | instskip(NEXT) | instid1(VALU_DEP_3)
	v_add_co_u32 v3, vcc_lo, v18, v11
	v_add_co_ci_u32_e32 v11, vcc_lo, 0, v12, vcc_lo
	s_delay_alu instid0(VALU_DEP_2) | instskip(NEXT) | instid1(VALU_DEP_2)
	v_add_co_u32 v3, vcc_lo, v3, v13
	v_add_co_ci_u32_e32 v3, vcc_lo, v11, v14, vcc_lo
	v_add_co_ci_u32_e32 v11, vcc_lo, 0, v16, vcc_lo
	s_delay_alu instid0(VALU_DEP_2) | instskip(NEXT) | instid1(VALU_DEP_2)
	v_add_co_u32 v3, vcc_lo, v3, v15
	v_add_co_ci_u32_e32 v13, vcc_lo, 0, v11, vcc_lo
	s_delay_alu instid0(VALU_DEP_2) | instskip(SKIP_1) | instid1(VALU_DEP_3)
	v_mul_lo_u32 v14, s27, v3
	v_mad_u64_u32 v[11:12], null, s26, v3, 0
	v_mul_lo_u32 v15, s26, v13
	s_delay_alu instid0(VALU_DEP_2) | instskip(NEXT) | instid1(VALU_DEP_2)
	v_sub_co_u32 v11, vcc_lo, v7, v11
	v_add3_u32 v12, v12, v15, v14
	s_delay_alu instid0(VALU_DEP_1) | instskip(NEXT) | instid1(VALU_DEP_1)
	v_sub_nc_u32_e32 v14, v8, v12
	v_subrev_co_ci_u32_e64 v14, s1, s27, v14, vcc_lo
	v_add_co_u32 v15, s1, v3, 2
	s_delay_alu instid0(VALU_DEP_1) | instskip(SKIP_3) | instid1(VALU_DEP_3)
	v_add_co_ci_u32_e64 v16, s1, 0, v13, s1
	v_sub_co_u32 v17, s1, v11, s26
	v_sub_co_ci_u32_e32 v12, vcc_lo, v8, v12, vcc_lo
	v_subrev_co_ci_u32_e64 v14, s1, 0, v14, s1
	v_cmp_le_u32_e32 vcc_lo, s26, v17
	s_delay_alu instid0(VALU_DEP_3) | instskip(SKIP_1) | instid1(VALU_DEP_4)
	v_cmp_eq_u32_e64 s1, s27, v12
	v_cndmask_b32_e64 v17, 0, -1, vcc_lo
	v_cmp_le_u32_e32 vcc_lo, s27, v14
	v_cndmask_b32_e64 v18, 0, -1, vcc_lo
	v_cmp_le_u32_e32 vcc_lo, s26, v11
	;; [unrolled: 2-line block ×3, first 2 shown]
	v_cndmask_b32_e64 v19, 0, -1, vcc_lo
	v_cmp_eq_u32_e32 vcc_lo, s27, v14
	s_delay_alu instid0(VALU_DEP_2) | instskip(SKIP_3) | instid1(VALU_DEP_3)
	v_cndmask_b32_e64 v11, v19, v11, s1
	v_cndmask_b32_e32 v14, v18, v17, vcc_lo
	v_add_co_u32 v17, vcc_lo, v3, 1
	v_add_co_ci_u32_e32 v18, vcc_lo, 0, v13, vcc_lo
	v_cmp_ne_u32_e32 vcc_lo, 0, v14
	s_delay_alu instid0(VALU_DEP_3) | instskip(NEXT) | instid1(VALU_DEP_3)
	v_cndmask_b32_e32 v14, v17, v15, vcc_lo
	v_cndmask_b32_e32 v12, v18, v16, vcc_lo
	v_cmp_ne_u32_e32 vcc_lo, 0, v11
	s_delay_alu instid0(VALU_DEP_2)
	v_dual_cndmask_b32 v11, v3, v14 :: v_dual_cndmask_b32 v12, v13, v12
.LBB109_7:                              ;   in Loop: Header=BB109_5 Depth=2
	s_and_not1_saveexec_b32 s1, s44
	s_cbranch_execz .LBB109_9
; %bb.8:                                ;   in Loop: Header=BB109_5 Depth=2
	v_cvt_f32_u32_e32 v3, s26
	s_sub_i32 s44, 0, s26
	s_delay_alu instid0(VALU_DEP_1) | instskip(SKIP_2) | instid1(VALU_DEP_1)
	v_rcp_iflag_f32_e32 v3, v3
	s_waitcnt_depctr 0xfff
	v_mul_f32_e32 v3, 0x4f7ffffe, v3
	v_cvt_u32_f32_e32 v3, v3
	s_delay_alu instid0(VALU_DEP_1) | instskip(NEXT) | instid1(VALU_DEP_1)
	v_mul_lo_u32 v11, s44, v3
	v_mul_hi_u32 v11, v3, v11
	s_delay_alu instid0(VALU_DEP_1) | instskip(NEXT) | instid1(VALU_DEP_1)
	v_add_nc_u32_e32 v3, v3, v11
	v_mul_hi_u32 v3, v7, v3
	s_delay_alu instid0(VALU_DEP_1) | instskip(NEXT) | instid1(VALU_DEP_1)
	v_mul_lo_u32 v11, v3, s26
	v_sub_nc_u32_e32 v11, v7, v11
	s_delay_alu instid0(VALU_DEP_1) | instskip(SKIP_1) | instid1(VALU_DEP_2)
	v_subrev_nc_u32_e32 v13, s26, v11
	v_cmp_le_u32_e32 vcc_lo, s26, v11
	v_dual_cndmask_b32 v11, v11, v13 :: v_dual_add_nc_u32 v12, 1, v3
	s_delay_alu instid0(VALU_DEP_1) | instskip(NEXT) | instid1(VALU_DEP_2)
	v_cndmask_b32_e32 v3, v3, v12, vcc_lo
	v_cmp_le_u32_e32 vcc_lo, s26, v11
	s_delay_alu instid0(VALU_DEP_2) | instskip(NEXT) | instid1(VALU_DEP_1)
	v_add_nc_u32_e32 v12, 1, v3
	v_dual_cndmask_b32 v11, v3, v12 :: v_dual_mov_b32 v12, v2
.LBB109_9:                              ;   in Loop: Header=BB109_5 Depth=2
	s_or_b32 exec_lo, exec_lo, s1
	s_load_b64 s[44:45], s[24:25], 0xc8
	s_delay_alu instid0(VALU_DEP_1) | instskip(NEXT) | instid1(VALU_DEP_2)
	v_mul_lo_u32 v3, v12, s26
	v_mul_lo_u32 v15, v11, s27
	v_mad_u64_u32 v[13:14], null, v11, s26, 0
	s_add_i32 s43, s43, -1
	s_add_u32 s24, s24, -8
	s_addc_u32 s25, s25, -1
	s_cmp_gt_u32 s43, 2
	s_delay_alu instid0(VALU_DEP_1) | instskip(NEXT) | instid1(VALU_DEP_2)
	v_add3_u32 v3, v14, v15, v3
	v_sub_co_u32 v13, vcc_lo, v7, v13
	s_delay_alu instid0(VALU_DEP_2) | instskip(SKIP_1) | instid1(VALU_DEP_2)
	v_sub_co_ci_u32_e32 v3, vcc_lo, v8, v3, vcc_lo
	s_waitcnt lgkmcnt(0)
	v_mul_lo_u32 v14, s45, v13
	s_delay_alu instid0(VALU_DEP_2) | instskip(SKIP_1) | instid1(VALU_DEP_1)
	v_mul_lo_u32 v3, s44, v3
	v_mad_u64_u32 v[7:8], null, s44, v13, v[9:10]
	v_add3_u32 v10, v14, v8, v3
	s_delay_alu instid0(VALU_DEP_2)
	v_mov_b32_e32 v9, v7
	s_cbranch_scc0 .LBB109_11
; %bb.10:                               ;   in Loop: Header=BB109_5 Depth=2
	v_dual_mov_b32 v7, v11 :: v_dual_mov_b32 v8, v12
	s_branch .LBB109_5
.LBB109_11:                             ;   in Loop: Header=BB109_3 Depth=1
	s_delay_alu instid0(VALU_DEP_1) | instskip(SKIP_2) | instid1(VALU_DEP_1)
	v_mad_u64_u32 v[7:8], null, s14, v11, v[9:10]
	v_mul_lo_u32 v3, s14, v12
	v_mul_lo_u32 v9, s15, v11
	v_add3_u32 v8, v9, v8, v3
.LBB109_12:                             ;   in Loop: Header=BB109_3 Depth=1
	s_or_b32 exec_lo, exec_lo, s42
	v_mov_b32_e32 v11, 0
	v_mov_b32_e32 v12, 0
	s_and_saveexec_b32 s1, s0
	s_cbranch_execz .LBB109_21
; %bb.13:                               ;   in Loop: Header=BB109_3 Depth=1
	v_dual_mov_b32 v9, 0 :: v_dual_mov_b32 v12, v5
	v_dual_mov_b32 v10, 0 :: v_dual_mov_b32 v11, v4
	;; [unrolled: 1-line block ×3, first 2 shown]
	s_and_not1_b32 vcc_lo, exec_lo, s29
	s_mov_b64 s[24:25], s[22:23]
	s_mov_b32 s42, s34
	s_cbranch_vccnz .LBB109_20
.LBB109_14:                             ;   Parent Loop BB109_3 Depth=1
                                        ; =>  This Inner Loop Header: Depth=2
	s_load_b64 s[26:27], s[24:25], 0x0
                                        ; implicit-def: $vgpr13_vgpr14
	s_mov_b32 s0, exec_lo
	s_waitcnt lgkmcnt(0)
	v_or_b32_e32 v3, s27, v12
	s_delay_alu instid0(VALU_DEP_1)
	v_cmpx_ne_u64_e32 0, v[2:3]
	s_xor_b32 s43, exec_lo, s0
	s_cbranch_execz .LBB109_16
; %bb.15:                               ;   in Loop: Header=BB109_14 Depth=2
	v_cvt_f32_u32_e32 v3, s26
	v_cvt_f32_u32_e32 v13, s27
	s_sub_u32 s0, 0, s26
	s_subb_u32 s44, 0, s27
	s_delay_alu instid0(VALU_DEP_1) | instskip(NEXT) | instid1(VALU_DEP_1)
	v_fmac_f32_e32 v3, 0x4f800000, v13
	v_rcp_f32_e32 v3, v3
	s_waitcnt_depctr 0xfff
	v_mul_f32_e32 v3, 0x5f7ffffc, v3
	s_delay_alu instid0(VALU_DEP_1) | instskip(NEXT) | instid1(VALU_DEP_1)
	v_mul_f32_e32 v13, 0x2f800000, v3
	v_trunc_f32_e32 v13, v13
	s_delay_alu instid0(VALU_DEP_1) | instskip(SKIP_1) | instid1(VALU_DEP_2)
	v_fmac_f32_e32 v3, 0xcf800000, v13
	v_cvt_u32_f32_e32 v13, v13
	v_cvt_u32_f32_e32 v3, v3
	s_delay_alu instid0(VALU_DEP_2) | instskip(NEXT) | instid1(VALU_DEP_2)
	v_mul_lo_u32 v14, s0, v13
	v_mul_hi_u32 v15, s0, v3
	v_mul_lo_u32 v16, s44, v3
	s_delay_alu instid0(VALU_DEP_2) | instskip(SKIP_1) | instid1(VALU_DEP_2)
	v_add_nc_u32_e32 v14, v15, v14
	v_mul_lo_u32 v15, s0, v3
	v_add_nc_u32_e32 v14, v14, v16
	s_delay_alu instid0(VALU_DEP_2) | instskip(NEXT) | instid1(VALU_DEP_2)
	v_mul_hi_u32 v16, v3, v15
	v_mul_lo_u32 v17, v3, v14
	v_mul_hi_u32 v18, v3, v14
	v_mul_hi_u32 v19, v13, v15
	v_mul_lo_u32 v15, v13, v15
	v_mul_hi_u32 v20, v13, v14
	v_mul_lo_u32 v14, v13, v14
	v_add_co_u32 v16, vcc_lo, v16, v17
	v_add_co_ci_u32_e32 v17, vcc_lo, 0, v18, vcc_lo
	s_delay_alu instid0(VALU_DEP_2) | instskip(NEXT) | instid1(VALU_DEP_2)
	v_add_co_u32 v15, vcc_lo, v16, v15
	v_add_co_ci_u32_e32 v15, vcc_lo, v17, v19, vcc_lo
	v_add_co_ci_u32_e32 v16, vcc_lo, 0, v20, vcc_lo
	s_delay_alu instid0(VALU_DEP_2) | instskip(NEXT) | instid1(VALU_DEP_2)
	v_add_co_u32 v14, vcc_lo, v15, v14
	v_add_co_ci_u32_e32 v15, vcc_lo, 0, v16, vcc_lo
	s_delay_alu instid0(VALU_DEP_2) | instskip(NEXT) | instid1(VALU_DEP_2)
	v_add_co_u32 v3, vcc_lo, v3, v14
	v_add_co_ci_u32_e32 v13, vcc_lo, v13, v15, vcc_lo
	s_delay_alu instid0(VALU_DEP_2) | instskip(SKIP_1) | instid1(VALU_DEP_3)
	v_mul_hi_u32 v14, s0, v3
	v_mul_lo_u32 v16, s44, v3
	v_mul_lo_u32 v15, s0, v13
	s_delay_alu instid0(VALU_DEP_1) | instskip(SKIP_1) | instid1(VALU_DEP_2)
	v_add_nc_u32_e32 v14, v14, v15
	v_mul_lo_u32 v15, s0, v3
	v_add_nc_u32_e32 v14, v14, v16
	s_delay_alu instid0(VALU_DEP_2) | instskip(NEXT) | instid1(VALU_DEP_2)
	v_mul_hi_u32 v16, v3, v15
	v_mul_lo_u32 v17, v3, v14
	v_mul_hi_u32 v18, v3, v14
	v_mul_hi_u32 v19, v13, v15
	v_mul_lo_u32 v15, v13, v15
	v_mul_hi_u32 v20, v13, v14
	v_mul_lo_u32 v14, v13, v14
	v_add_co_u32 v16, vcc_lo, v16, v17
	v_add_co_ci_u32_e32 v17, vcc_lo, 0, v18, vcc_lo
	s_delay_alu instid0(VALU_DEP_2) | instskip(NEXT) | instid1(VALU_DEP_2)
	v_add_co_u32 v15, vcc_lo, v16, v15
	v_add_co_ci_u32_e32 v15, vcc_lo, v17, v19, vcc_lo
	v_add_co_ci_u32_e32 v16, vcc_lo, 0, v20, vcc_lo
	s_delay_alu instid0(VALU_DEP_2) | instskip(NEXT) | instid1(VALU_DEP_2)
	v_add_co_u32 v14, vcc_lo, v15, v14
	v_add_co_ci_u32_e32 v15, vcc_lo, 0, v16, vcc_lo
	s_delay_alu instid0(VALU_DEP_2) | instskip(NEXT) | instid1(VALU_DEP_2)
	v_add_co_u32 v3, vcc_lo, v3, v14
	v_add_co_ci_u32_e32 v19, vcc_lo, v13, v15, vcc_lo
	s_delay_alu instid0(VALU_DEP_2) | instskip(SKIP_1) | instid1(VALU_DEP_3)
	v_mul_hi_u32 v20, v11, v3
	v_mad_u64_u32 v[15:16], null, v12, v3, 0
	v_mad_u64_u32 v[13:14], null, v11, v19, 0
	;; [unrolled: 1-line block ×3, first 2 shown]
	s_delay_alu instid0(VALU_DEP_2) | instskip(NEXT) | instid1(VALU_DEP_3)
	v_add_co_u32 v3, vcc_lo, v20, v13
	v_add_co_ci_u32_e32 v13, vcc_lo, 0, v14, vcc_lo
	s_delay_alu instid0(VALU_DEP_2) | instskip(NEXT) | instid1(VALU_DEP_2)
	v_add_co_u32 v3, vcc_lo, v3, v15
	v_add_co_ci_u32_e32 v3, vcc_lo, v13, v16, vcc_lo
	v_add_co_ci_u32_e32 v13, vcc_lo, 0, v18, vcc_lo
	s_delay_alu instid0(VALU_DEP_2) | instskip(NEXT) | instid1(VALU_DEP_2)
	v_add_co_u32 v3, vcc_lo, v3, v17
	v_add_co_ci_u32_e32 v15, vcc_lo, 0, v13, vcc_lo
	s_delay_alu instid0(VALU_DEP_2) | instskip(SKIP_1) | instid1(VALU_DEP_3)
	v_mul_lo_u32 v16, s27, v3
	v_mad_u64_u32 v[13:14], null, s26, v3, 0
	v_mul_lo_u32 v17, s26, v15
	s_delay_alu instid0(VALU_DEP_2) | instskip(NEXT) | instid1(VALU_DEP_2)
	v_sub_co_u32 v13, vcc_lo, v11, v13
	v_add3_u32 v14, v14, v17, v16
	s_delay_alu instid0(VALU_DEP_1) | instskip(NEXT) | instid1(VALU_DEP_1)
	v_sub_nc_u32_e32 v16, v12, v14
	v_subrev_co_ci_u32_e64 v16, s0, s27, v16, vcc_lo
	v_add_co_u32 v17, s0, v3, 2
	s_delay_alu instid0(VALU_DEP_1) | instskip(SKIP_3) | instid1(VALU_DEP_3)
	v_add_co_ci_u32_e64 v18, s0, 0, v15, s0
	v_sub_co_u32 v19, s0, v13, s26
	v_sub_co_ci_u32_e32 v14, vcc_lo, v12, v14, vcc_lo
	v_subrev_co_ci_u32_e64 v16, s0, 0, v16, s0
	v_cmp_le_u32_e32 vcc_lo, s26, v19
	s_delay_alu instid0(VALU_DEP_3) | instskip(SKIP_1) | instid1(VALU_DEP_4)
	v_cmp_eq_u32_e64 s0, s27, v14
	v_cndmask_b32_e64 v19, 0, -1, vcc_lo
	v_cmp_le_u32_e32 vcc_lo, s27, v16
	v_cndmask_b32_e64 v20, 0, -1, vcc_lo
	v_cmp_le_u32_e32 vcc_lo, s26, v13
	;; [unrolled: 2-line block ×3, first 2 shown]
	v_cndmask_b32_e64 v21, 0, -1, vcc_lo
	v_cmp_eq_u32_e32 vcc_lo, s27, v16
	s_delay_alu instid0(VALU_DEP_2) | instskip(SKIP_3) | instid1(VALU_DEP_3)
	v_cndmask_b32_e64 v13, v21, v13, s0
	v_cndmask_b32_e32 v16, v20, v19, vcc_lo
	v_add_co_u32 v19, vcc_lo, v3, 1
	v_add_co_ci_u32_e32 v20, vcc_lo, 0, v15, vcc_lo
	v_cmp_ne_u32_e32 vcc_lo, 0, v16
	s_delay_alu instid0(VALU_DEP_3) | instskip(NEXT) | instid1(VALU_DEP_3)
	v_cndmask_b32_e32 v16, v19, v17, vcc_lo
	v_cndmask_b32_e32 v14, v20, v18, vcc_lo
	v_cmp_ne_u32_e32 vcc_lo, 0, v13
	s_delay_alu instid0(VALU_DEP_3) | instskip(NEXT) | instid1(VALU_DEP_3)
	v_cndmask_b32_e32 v13, v3, v16, vcc_lo
	v_cndmask_b32_e32 v14, v15, v14, vcc_lo
.LBB109_16:                             ;   in Loop: Header=BB109_14 Depth=2
	s_and_not1_saveexec_b32 s0, s43
	s_cbranch_execz .LBB109_18
; %bb.17:                               ;   in Loop: Header=BB109_14 Depth=2
	v_cvt_f32_u32_e32 v3, s26
	s_sub_i32 s43, 0, s26
	s_delay_alu instid0(VALU_DEP_1) | instskip(SKIP_2) | instid1(VALU_DEP_1)
	v_rcp_iflag_f32_e32 v3, v3
	s_waitcnt_depctr 0xfff
	v_mul_f32_e32 v3, 0x4f7ffffe, v3
	v_cvt_u32_f32_e32 v3, v3
	s_delay_alu instid0(VALU_DEP_1) | instskip(NEXT) | instid1(VALU_DEP_1)
	v_mul_lo_u32 v13, s43, v3
	v_mul_hi_u32 v13, v3, v13
	s_delay_alu instid0(VALU_DEP_1) | instskip(NEXT) | instid1(VALU_DEP_1)
	v_add_nc_u32_e32 v3, v3, v13
	v_mul_hi_u32 v3, v11, v3
	s_delay_alu instid0(VALU_DEP_1) | instskip(SKIP_1) | instid1(VALU_DEP_2)
	v_mul_lo_u32 v13, v3, s26
	v_add_nc_u32_e32 v14, 1, v3
	v_sub_nc_u32_e32 v13, v11, v13
	s_delay_alu instid0(VALU_DEP_1) | instskip(SKIP_1) | instid1(VALU_DEP_2)
	v_subrev_nc_u32_e32 v15, s26, v13
	v_cmp_le_u32_e32 vcc_lo, s26, v13
	v_cndmask_b32_e32 v13, v13, v15, vcc_lo
	v_cndmask_b32_e32 v3, v3, v14, vcc_lo
	s_delay_alu instid0(VALU_DEP_2) | instskip(NEXT) | instid1(VALU_DEP_2)
	v_cmp_le_u32_e32 vcc_lo, s26, v13
	v_add_nc_u32_e32 v14, 1, v3
	s_delay_alu instid0(VALU_DEP_1)
	v_dual_cndmask_b32 v13, v3, v14 :: v_dual_mov_b32 v14, v2
.LBB109_18:                             ;   in Loop: Header=BB109_14 Depth=2
	s_or_b32 exec_lo, exec_lo, s0
	s_load_b64 s[44:45], s[24:25], 0xc8
	s_delay_alu instid0(VALU_DEP_1) | instskip(NEXT) | instid1(VALU_DEP_2)
	v_mul_lo_u32 v3, v14, s26
	v_mul_lo_u32 v17, v13, s27
	v_mad_u64_u32 v[15:16], null, v13, s26, 0
	s_add_i32 s42, s42, -1
	s_add_u32 s24, s24, -8
	s_addc_u32 s25, s25, -1
	s_cmp_gt_u32 s42, 2
	s_delay_alu instid0(VALU_DEP_1) | instskip(NEXT) | instid1(VALU_DEP_2)
	v_add3_u32 v3, v16, v17, v3
	v_sub_co_u32 v15, vcc_lo, v11, v15
	s_delay_alu instid0(VALU_DEP_2) | instskip(SKIP_1) | instid1(VALU_DEP_2)
	v_sub_co_ci_u32_e32 v3, vcc_lo, v12, v3, vcc_lo
	s_waitcnt lgkmcnt(0)
	v_mul_lo_u32 v16, s45, v15
	s_delay_alu instid0(VALU_DEP_2) | instskip(SKIP_1) | instid1(VALU_DEP_1)
	v_mul_lo_u32 v3, s44, v3
	v_mad_u64_u32 v[11:12], null, s44, v15, v[9:10]
	v_add3_u32 v10, v16, v12, v3
	s_delay_alu instid0(VALU_DEP_2)
	v_mov_b32_e32 v9, v11
	s_cbranch_scc0 .LBB109_20
; %bb.19:                               ;   in Loop: Header=BB109_14 Depth=2
	v_dual_mov_b32 v11, v13 :: v_dual_mov_b32 v12, v14
	s_branch .LBB109_14
.LBB109_20:                             ;   in Loop: Header=BB109_3 Depth=1
	s_delay_alu instid0(VALU_DEP_1) | instskip(SKIP_2) | instid1(VALU_DEP_1)
	v_mad_u64_u32 v[11:12], null, s2, v13, v[9:10]
	v_mul_lo_u32 v3, s2, v14
	v_mul_lo_u32 v9, s3, v13
	v_add3_u32 v12, v9, v12, v3
.LBB109_21:                             ;   in Loop: Header=BB109_3 Depth=1
	s_or_b32 exec_lo, exec_lo, s1
	v_dual_mov_b32 v14, v5 :: v_dual_mov_b32 v9, 0
	v_or_b32_e32 v13, 1, v4
	v_mov_b32_e32 v10, 0
	v_cmp_lt_i32_e64 s0, 1, v32
	s_delay_alu instid0(VALU_DEP_1)
	s_and_saveexec_b32 s42, s0
	s_cbranch_execz .LBB109_30
; %bb.22:                               ;   in Loop: Header=BB109_3 Depth=1
	v_mov_b32_e32 v15, 0
	v_dual_mov_b32 v16, 0 :: v_dual_mov_b32 v9, v13
	v_mov_b32_e32 v10, v14
	v_dual_mov_b32 v18, v14 :: v_dual_mov_b32 v17, v13
	s_and_not1_b32 vcc_lo, exec_lo, s28
	s_mov_b64 s[24:25], s[20:21]
	s_mov_b32 s43, s33
	s_cbranch_vccnz .LBB109_29
.LBB109_23:                             ;   Parent Loop BB109_3 Depth=1
                                        ; =>  This Inner Loop Header: Depth=2
	s_load_b64 s[26:27], s[24:25], 0x0
                                        ; implicit-def: $vgpr17_vgpr18
	s_mov_b32 s1, exec_lo
	s_waitcnt lgkmcnt(0)
	v_or_b32_e32 v3, s27, v10
	s_delay_alu instid0(VALU_DEP_1)
	v_cmpx_ne_u64_e32 0, v[2:3]
	s_xor_b32 s44, exec_lo, s1
	s_cbranch_execz .LBB109_25
; %bb.24:                               ;   in Loop: Header=BB109_23 Depth=2
	v_cvt_f32_u32_e32 v3, s26
	v_cvt_f32_u32_e32 v17, s27
	s_sub_u32 s1, 0, s26
	s_subb_u32 s45, 0, s27
	s_delay_alu instid0(VALU_DEP_1) | instskip(NEXT) | instid1(VALU_DEP_1)
	v_fmac_f32_e32 v3, 0x4f800000, v17
	v_rcp_f32_e32 v3, v3
	s_waitcnt_depctr 0xfff
	v_mul_f32_e32 v3, 0x5f7ffffc, v3
	s_delay_alu instid0(VALU_DEP_1) | instskip(NEXT) | instid1(VALU_DEP_1)
	v_mul_f32_e32 v17, 0x2f800000, v3
	v_trunc_f32_e32 v17, v17
	s_delay_alu instid0(VALU_DEP_1) | instskip(SKIP_1) | instid1(VALU_DEP_2)
	v_fmac_f32_e32 v3, 0xcf800000, v17
	v_cvt_u32_f32_e32 v17, v17
	v_cvt_u32_f32_e32 v3, v3
	s_delay_alu instid0(VALU_DEP_2) | instskip(NEXT) | instid1(VALU_DEP_2)
	v_mul_lo_u32 v18, s1, v17
	v_mul_hi_u32 v19, s1, v3
	v_mul_lo_u32 v20, s45, v3
	s_delay_alu instid0(VALU_DEP_2) | instskip(SKIP_1) | instid1(VALU_DEP_2)
	v_add_nc_u32_e32 v18, v19, v18
	v_mul_lo_u32 v19, s1, v3
	v_add_nc_u32_e32 v18, v18, v20
	s_delay_alu instid0(VALU_DEP_2) | instskip(NEXT) | instid1(VALU_DEP_2)
	v_mul_hi_u32 v20, v3, v19
	v_mul_lo_u32 v21, v3, v18
	v_mul_hi_u32 v22, v3, v18
	v_mul_hi_u32 v23, v17, v19
	v_mul_lo_u32 v19, v17, v19
	v_mul_hi_u32 v24, v17, v18
	v_mul_lo_u32 v18, v17, v18
	v_add_co_u32 v20, vcc_lo, v20, v21
	v_add_co_ci_u32_e32 v21, vcc_lo, 0, v22, vcc_lo
	s_delay_alu instid0(VALU_DEP_2) | instskip(NEXT) | instid1(VALU_DEP_2)
	v_add_co_u32 v19, vcc_lo, v20, v19
	v_add_co_ci_u32_e32 v19, vcc_lo, v21, v23, vcc_lo
	v_add_co_ci_u32_e32 v20, vcc_lo, 0, v24, vcc_lo
	s_delay_alu instid0(VALU_DEP_2) | instskip(NEXT) | instid1(VALU_DEP_2)
	v_add_co_u32 v18, vcc_lo, v19, v18
	v_add_co_ci_u32_e32 v19, vcc_lo, 0, v20, vcc_lo
	s_delay_alu instid0(VALU_DEP_2) | instskip(NEXT) | instid1(VALU_DEP_2)
	v_add_co_u32 v3, vcc_lo, v3, v18
	v_add_co_ci_u32_e32 v17, vcc_lo, v17, v19, vcc_lo
	s_delay_alu instid0(VALU_DEP_2) | instskip(SKIP_1) | instid1(VALU_DEP_3)
	v_mul_hi_u32 v18, s1, v3
	v_mul_lo_u32 v20, s45, v3
	v_mul_lo_u32 v19, s1, v17
	s_delay_alu instid0(VALU_DEP_1) | instskip(SKIP_1) | instid1(VALU_DEP_2)
	v_add_nc_u32_e32 v18, v18, v19
	v_mul_lo_u32 v19, s1, v3
	v_add_nc_u32_e32 v18, v18, v20
	s_delay_alu instid0(VALU_DEP_2) | instskip(NEXT) | instid1(VALU_DEP_2)
	v_mul_hi_u32 v20, v3, v19
	v_mul_lo_u32 v21, v3, v18
	v_mul_hi_u32 v22, v3, v18
	v_mul_hi_u32 v23, v17, v19
	v_mul_lo_u32 v19, v17, v19
	v_mul_hi_u32 v24, v17, v18
	v_mul_lo_u32 v18, v17, v18
	v_add_co_u32 v20, vcc_lo, v20, v21
	v_add_co_ci_u32_e32 v21, vcc_lo, 0, v22, vcc_lo
	s_delay_alu instid0(VALU_DEP_2) | instskip(NEXT) | instid1(VALU_DEP_2)
	v_add_co_u32 v19, vcc_lo, v20, v19
	v_add_co_ci_u32_e32 v19, vcc_lo, v21, v23, vcc_lo
	v_add_co_ci_u32_e32 v20, vcc_lo, 0, v24, vcc_lo
	s_delay_alu instid0(VALU_DEP_2) | instskip(NEXT) | instid1(VALU_DEP_2)
	v_add_co_u32 v18, vcc_lo, v19, v18
	v_add_co_ci_u32_e32 v19, vcc_lo, 0, v20, vcc_lo
	s_delay_alu instid0(VALU_DEP_2) | instskip(NEXT) | instid1(VALU_DEP_2)
	v_add_co_u32 v3, vcc_lo, v3, v18
	v_add_co_ci_u32_e32 v23, vcc_lo, v17, v19, vcc_lo
	s_delay_alu instid0(VALU_DEP_2) | instskip(SKIP_1) | instid1(VALU_DEP_3)
	v_mul_hi_u32 v24, v9, v3
	v_mad_u64_u32 v[19:20], null, v10, v3, 0
	v_mad_u64_u32 v[17:18], null, v9, v23, 0
	;; [unrolled: 1-line block ×3, first 2 shown]
	s_delay_alu instid0(VALU_DEP_2) | instskip(NEXT) | instid1(VALU_DEP_3)
	v_add_co_u32 v3, vcc_lo, v24, v17
	v_add_co_ci_u32_e32 v17, vcc_lo, 0, v18, vcc_lo
	s_delay_alu instid0(VALU_DEP_2) | instskip(NEXT) | instid1(VALU_DEP_2)
	v_add_co_u32 v3, vcc_lo, v3, v19
	v_add_co_ci_u32_e32 v3, vcc_lo, v17, v20, vcc_lo
	v_add_co_ci_u32_e32 v17, vcc_lo, 0, v22, vcc_lo
	s_delay_alu instid0(VALU_DEP_2) | instskip(NEXT) | instid1(VALU_DEP_2)
	v_add_co_u32 v3, vcc_lo, v3, v21
	v_add_co_ci_u32_e32 v19, vcc_lo, 0, v17, vcc_lo
	s_delay_alu instid0(VALU_DEP_2) | instskip(SKIP_1) | instid1(VALU_DEP_3)
	v_mul_lo_u32 v20, s27, v3
	v_mad_u64_u32 v[17:18], null, s26, v3, 0
	v_mul_lo_u32 v21, s26, v19
	s_delay_alu instid0(VALU_DEP_2) | instskip(NEXT) | instid1(VALU_DEP_2)
	v_sub_co_u32 v17, vcc_lo, v9, v17
	v_add3_u32 v18, v18, v21, v20
	s_delay_alu instid0(VALU_DEP_1) | instskip(NEXT) | instid1(VALU_DEP_1)
	v_sub_nc_u32_e32 v20, v10, v18
	v_subrev_co_ci_u32_e64 v20, s1, s27, v20, vcc_lo
	v_add_co_u32 v21, s1, v3, 2
	s_delay_alu instid0(VALU_DEP_1) | instskip(SKIP_3) | instid1(VALU_DEP_3)
	v_add_co_ci_u32_e64 v22, s1, 0, v19, s1
	v_sub_co_u32 v23, s1, v17, s26
	v_sub_co_ci_u32_e32 v18, vcc_lo, v10, v18, vcc_lo
	v_subrev_co_ci_u32_e64 v20, s1, 0, v20, s1
	v_cmp_le_u32_e32 vcc_lo, s26, v23
	s_delay_alu instid0(VALU_DEP_3) | instskip(SKIP_1) | instid1(VALU_DEP_4)
	v_cmp_eq_u32_e64 s1, s27, v18
	v_cndmask_b32_e64 v23, 0, -1, vcc_lo
	v_cmp_le_u32_e32 vcc_lo, s27, v20
	v_cndmask_b32_e64 v24, 0, -1, vcc_lo
	v_cmp_le_u32_e32 vcc_lo, s26, v17
	;; [unrolled: 2-line block ×3, first 2 shown]
	v_cndmask_b32_e64 v25, 0, -1, vcc_lo
	v_cmp_eq_u32_e32 vcc_lo, s27, v20
	s_delay_alu instid0(VALU_DEP_2) | instskip(SKIP_3) | instid1(VALU_DEP_3)
	v_cndmask_b32_e64 v17, v25, v17, s1
	v_cndmask_b32_e32 v20, v24, v23, vcc_lo
	v_add_co_u32 v23, vcc_lo, v3, 1
	v_add_co_ci_u32_e32 v24, vcc_lo, 0, v19, vcc_lo
	v_cmp_ne_u32_e32 vcc_lo, 0, v20
	s_delay_alu instid0(VALU_DEP_3) | instskip(NEXT) | instid1(VALU_DEP_3)
	v_cndmask_b32_e32 v20, v23, v21, vcc_lo
	v_cndmask_b32_e32 v18, v24, v22, vcc_lo
	v_cmp_ne_u32_e32 vcc_lo, 0, v17
	s_delay_alu instid0(VALU_DEP_3) | instskip(NEXT) | instid1(VALU_DEP_3)
	v_cndmask_b32_e32 v17, v3, v20, vcc_lo
	v_cndmask_b32_e32 v18, v19, v18, vcc_lo
.LBB109_25:                             ;   in Loop: Header=BB109_23 Depth=2
	s_and_not1_saveexec_b32 s1, s44
	s_cbranch_execz .LBB109_27
; %bb.26:                               ;   in Loop: Header=BB109_23 Depth=2
	v_cvt_f32_u32_e32 v3, s26
	s_sub_i32 s44, 0, s26
	s_delay_alu instid0(VALU_DEP_1) | instskip(SKIP_2) | instid1(VALU_DEP_1)
	v_rcp_iflag_f32_e32 v3, v3
	s_waitcnt_depctr 0xfff
	v_mul_f32_e32 v3, 0x4f7ffffe, v3
	v_cvt_u32_f32_e32 v3, v3
	s_delay_alu instid0(VALU_DEP_1) | instskip(NEXT) | instid1(VALU_DEP_1)
	v_mul_lo_u32 v17, s44, v3
	v_mul_hi_u32 v17, v3, v17
	s_delay_alu instid0(VALU_DEP_1) | instskip(NEXT) | instid1(VALU_DEP_1)
	v_add_nc_u32_e32 v3, v3, v17
	v_mul_hi_u32 v3, v9, v3
	s_delay_alu instid0(VALU_DEP_1) | instskip(SKIP_1) | instid1(VALU_DEP_2)
	v_mul_lo_u32 v17, v3, s26
	v_add_nc_u32_e32 v18, 1, v3
	v_sub_nc_u32_e32 v17, v9, v17
	s_delay_alu instid0(VALU_DEP_1) | instskip(SKIP_1) | instid1(VALU_DEP_2)
	v_subrev_nc_u32_e32 v19, s26, v17
	v_cmp_le_u32_e32 vcc_lo, s26, v17
	v_cndmask_b32_e32 v17, v17, v19, vcc_lo
	v_cndmask_b32_e32 v3, v3, v18, vcc_lo
	s_delay_alu instid0(VALU_DEP_2) | instskip(NEXT) | instid1(VALU_DEP_2)
	v_cmp_le_u32_e32 vcc_lo, s26, v17
	v_add_nc_u32_e32 v18, 1, v3
	s_delay_alu instid0(VALU_DEP_1)
	v_dual_cndmask_b32 v17, v3, v18 :: v_dual_mov_b32 v18, v2
.LBB109_27:                             ;   in Loop: Header=BB109_23 Depth=2
	s_or_b32 exec_lo, exec_lo, s1
	s_load_b64 s[44:45], s[24:25], 0xc8
	s_delay_alu instid0(VALU_DEP_1) | instskip(NEXT) | instid1(VALU_DEP_2)
	v_mul_lo_u32 v3, v18, s26
	v_mul_lo_u32 v21, v17, s27
	v_mad_u64_u32 v[19:20], null, v17, s26, 0
	s_add_i32 s43, s43, -1
	s_add_u32 s24, s24, -8
	s_addc_u32 s25, s25, -1
	s_cmp_gt_u32 s43, 2
	s_delay_alu instid0(VALU_DEP_1) | instskip(NEXT) | instid1(VALU_DEP_2)
	v_add3_u32 v3, v20, v21, v3
	v_sub_co_u32 v19, vcc_lo, v9, v19
	s_delay_alu instid0(VALU_DEP_2) | instskip(SKIP_1) | instid1(VALU_DEP_2)
	v_sub_co_ci_u32_e32 v3, vcc_lo, v10, v3, vcc_lo
	s_waitcnt lgkmcnt(0)
	v_mul_lo_u32 v20, s45, v19
	s_delay_alu instid0(VALU_DEP_2) | instskip(SKIP_1) | instid1(VALU_DEP_1)
	v_mul_lo_u32 v3, s44, v3
	v_mad_u64_u32 v[9:10], null, s44, v19, v[15:16]
	v_add3_u32 v16, v20, v10, v3
	s_delay_alu instid0(VALU_DEP_2)
	v_mov_b32_e32 v15, v9
	s_cbranch_scc0 .LBB109_29
; %bb.28:                               ;   in Loop: Header=BB109_23 Depth=2
	v_dual_mov_b32 v9, v17 :: v_dual_mov_b32 v10, v18
	s_branch .LBB109_23
.LBB109_29:                             ;   in Loop: Header=BB109_3 Depth=1
	s_delay_alu instid0(VALU_DEP_1) | instskip(SKIP_2) | instid1(VALU_DEP_1)
	v_mad_u64_u32 v[9:10], null, s14, v17, v[15:16]
	v_mul_lo_u32 v3, s14, v18
	v_mul_lo_u32 v15, s15, v17
	v_add3_u32 v10, v15, v10, v3
.LBB109_30:                             ;   in Loop: Header=BB109_3 Depth=1
	s_or_b32 exec_lo, exec_lo, s42
	v_mov_b32_e32 v15, 0
	v_mov_b32_e32 v16, 0
	s_and_saveexec_b32 s1, s0
	s_cbranch_execz .LBB109_33
; %bb.31:                               ;   in Loop: Header=BB109_3 Depth=1
	v_mov_b32_e32 v17, 0
	v_mov_b32_e32 v18, 0
	s_and_not1_b32 vcc_lo, exec_lo, s29
	s_mov_b64 s[24:25], s[22:23]
	s_mov_b32 s42, s34
	s_cbranch_vccz .LBB109_42
.LBB109_32:                             ;   in Loop: Header=BB109_3 Depth=1
	s_delay_alu instid0(VALU_DEP_1) | instskip(NEXT) | instid1(VALU_DEP_2)
	v_mad_u64_u32 v[15:16], null, s2, v13, v[17:18]
	v_mul_lo_u32 v3, s2, v14
	v_mul_lo_u32 v13, s3, v13
	s_delay_alu instid0(VALU_DEP_1)
	v_add3_u32 v16, v13, v16, v3
.LBB109_33:                             ;   in Loop: Header=BB109_3 Depth=1
	s_or_b32 exec_lo, exec_lo, s1
	v_dual_mov_b32 v18, v5 :: v_dual_mov_b32 v13, 0
	v_or_b32_e32 v17, 2, v4
	v_mov_b32_e32 v14, 0
	v_cmp_lt_i32_e64 s0, 2, v32
	s_delay_alu instid0(VALU_DEP_1)
	s_and_saveexec_b32 s42, s0
	s_cbranch_execz .LBB109_47
; %bb.34:                               ;   in Loop: Header=BB109_3 Depth=1
	v_mov_b32_e32 v19, 0
	v_dual_mov_b32 v20, 0 :: v_dual_mov_b32 v13, v17
	v_mov_b32_e32 v14, v18
	v_dual_mov_b32 v22, v18 :: v_dual_mov_b32 v21, v17
	s_and_not1_b32 vcc_lo, exec_lo, s28
	s_mov_b64 s[24:25], s[20:21]
	s_mov_b32 s43, s33
	s_cbranch_vccnz .LBB109_46
.LBB109_35:                             ;   Parent Loop BB109_3 Depth=1
                                        ; =>  This Inner Loop Header: Depth=2
	s_load_b64 s[26:27], s[24:25], 0x0
                                        ; implicit-def: $vgpr21_vgpr22
	s_mov_b32 s1, exec_lo
	s_waitcnt lgkmcnt(0)
	v_or_b32_e32 v3, s27, v14
	s_delay_alu instid0(VALU_DEP_1)
	v_cmpx_ne_u64_e32 0, v[2:3]
	s_xor_b32 s44, exec_lo, s1
	s_cbranch_execz .LBB109_37
; %bb.36:                               ;   in Loop: Header=BB109_35 Depth=2
	v_cvt_f32_u32_e32 v3, s26
	v_cvt_f32_u32_e32 v21, s27
	s_sub_u32 s1, 0, s26
	s_subb_u32 s45, 0, s27
	s_delay_alu instid0(VALU_DEP_1) | instskip(NEXT) | instid1(VALU_DEP_1)
	v_fmac_f32_e32 v3, 0x4f800000, v21
	v_rcp_f32_e32 v3, v3
	s_waitcnt_depctr 0xfff
	v_mul_f32_e32 v3, 0x5f7ffffc, v3
	s_delay_alu instid0(VALU_DEP_1) | instskip(NEXT) | instid1(VALU_DEP_1)
	v_mul_f32_e32 v21, 0x2f800000, v3
	v_trunc_f32_e32 v21, v21
	s_delay_alu instid0(VALU_DEP_1) | instskip(SKIP_1) | instid1(VALU_DEP_2)
	v_fmac_f32_e32 v3, 0xcf800000, v21
	v_cvt_u32_f32_e32 v21, v21
	v_cvt_u32_f32_e32 v3, v3
	s_delay_alu instid0(VALU_DEP_2) | instskip(NEXT) | instid1(VALU_DEP_2)
	v_mul_lo_u32 v22, s1, v21
	v_mul_hi_u32 v23, s1, v3
	v_mul_lo_u32 v24, s45, v3
	s_delay_alu instid0(VALU_DEP_2) | instskip(SKIP_1) | instid1(VALU_DEP_2)
	v_add_nc_u32_e32 v22, v23, v22
	v_mul_lo_u32 v23, s1, v3
	v_add_nc_u32_e32 v22, v22, v24
	s_delay_alu instid0(VALU_DEP_2) | instskip(NEXT) | instid1(VALU_DEP_2)
	v_mul_hi_u32 v24, v3, v23
	v_mul_lo_u32 v25, v3, v22
	v_mul_hi_u32 v26, v3, v22
	v_mul_hi_u32 v27, v21, v23
	v_mul_lo_u32 v23, v21, v23
	v_mul_hi_u32 v28, v21, v22
	v_mul_lo_u32 v22, v21, v22
	v_add_co_u32 v24, vcc_lo, v24, v25
	v_add_co_ci_u32_e32 v25, vcc_lo, 0, v26, vcc_lo
	s_delay_alu instid0(VALU_DEP_2) | instskip(NEXT) | instid1(VALU_DEP_2)
	v_add_co_u32 v23, vcc_lo, v24, v23
	v_add_co_ci_u32_e32 v23, vcc_lo, v25, v27, vcc_lo
	v_add_co_ci_u32_e32 v24, vcc_lo, 0, v28, vcc_lo
	s_delay_alu instid0(VALU_DEP_2) | instskip(NEXT) | instid1(VALU_DEP_2)
	v_add_co_u32 v22, vcc_lo, v23, v22
	v_add_co_ci_u32_e32 v23, vcc_lo, 0, v24, vcc_lo
	s_delay_alu instid0(VALU_DEP_2) | instskip(NEXT) | instid1(VALU_DEP_2)
	v_add_co_u32 v3, vcc_lo, v3, v22
	v_add_co_ci_u32_e32 v21, vcc_lo, v21, v23, vcc_lo
	s_delay_alu instid0(VALU_DEP_2) | instskip(SKIP_1) | instid1(VALU_DEP_3)
	v_mul_hi_u32 v22, s1, v3
	v_mul_lo_u32 v24, s45, v3
	v_mul_lo_u32 v23, s1, v21
	s_delay_alu instid0(VALU_DEP_1) | instskip(SKIP_1) | instid1(VALU_DEP_2)
	v_add_nc_u32_e32 v22, v22, v23
	v_mul_lo_u32 v23, s1, v3
	v_add_nc_u32_e32 v22, v22, v24
	s_delay_alu instid0(VALU_DEP_2) | instskip(NEXT) | instid1(VALU_DEP_2)
	v_mul_hi_u32 v24, v3, v23
	v_mul_lo_u32 v25, v3, v22
	v_mul_hi_u32 v26, v3, v22
	v_mul_hi_u32 v27, v21, v23
	v_mul_lo_u32 v23, v21, v23
	v_mul_hi_u32 v28, v21, v22
	v_mul_lo_u32 v22, v21, v22
	v_add_co_u32 v24, vcc_lo, v24, v25
	v_add_co_ci_u32_e32 v25, vcc_lo, 0, v26, vcc_lo
	s_delay_alu instid0(VALU_DEP_2) | instskip(NEXT) | instid1(VALU_DEP_2)
	v_add_co_u32 v23, vcc_lo, v24, v23
	v_add_co_ci_u32_e32 v23, vcc_lo, v25, v27, vcc_lo
	v_add_co_ci_u32_e32 v24, vcc_lo, 0, v28, vcc_lo
	s_delay_alu instid0(VALU_DEP_2) | instskip(NEXT) | instid1(VALU_DEP_2)
	v_add_co_u32 v22, vcc_lo, v23, v22
	v_add_co_ci_u32_e32 v23, vcc_lo, 0, v24, vcc_lo
	s_delay_alu instid0(VALU_DEP_2) | instskip(NEXT) | instid1(VALU_DEP_2)
	v_add_co_u32 v3, vcc_lo, v3, v22
	v_add_co_ci_u32_e32 v27, vcc_lo, v21, v23, vcc_lo
	s_delay_alu instid0(VALU_DEP_2) | instskip(SKIP_1) | instid1(VALU_DEP_3)
	v_mul_hi_u32 v28, v13, v3
	v_mad_u64_u32 v[23:24], null, v14, v3, 0
	v_mad_u64_u32 v[21:22], null, v13, v27, 0
	;; [unrolled: 1-line block ×3, first 2 shown]
	s_delay_alu instid0(VALU_DEP_2) | instskip(NEXT) | instid1(VALU_DEP_3)
	v_add_co_u32 v3, vcc_lo, v28, v21
	v_add_co_ci_u32_e32 v21, vcc_lo, 0, v22, vcc_lo
	s_delay_alu instid0(VALU_DEP_2) | instskip(NEXT) | instid1(VALU_DEP_2)
	v_add_co_u32 v3, vcc_lo, v3, v23
	v_add_co_ci_u32_e32 v3, vcc_lo, v21, v24, vcc_lo
	v_add_co_ci_u32_e32 v21, vcc_lo, 0, v26, vcc_lo
	s_delay_alu instid0(VALU_DEP_2) | instskip(NEXT) | instid1(VALU_DEP_2)
	v_add_co_u32 v3, vcc_lo, v3, v25
	v_add_co_ci_u32_e32 v23, vcc_lo, 0, v21, vcc_lo
	s_delay_alu instid0(VALU_DEP_2) | instskip(SKIP_1) | instid1(VALU_DEP_3)
	v_mul_lo_u32 v24, s27, v3
	v_mad_u64_u32 v[21:22], null, s26, v3, 0
	v_mul_lo_u32 v25, s26, v23
	s_delay_alu instid0(VALU_DEP_2) | instskip(NEXT) | instid1(VALU_DEP_2)
	v_sub_co_u32 v21, vcc_lo, v13, v21
	v_add3_u32 v22, v22, v25, v24
	s_delay_alu instid0(VALU_DEP_1) | instskip(NEXT) | instid1(VALU_DEP_1)
	v_sub_nc_u32_e32 v24, v14, v22
	v_subrev_co_ci_u32_e64 v24, s1, s27, v24, vcc_lo
	v_add_co_u32 v25, s1, v3, 2
	s_delay_alu instid0(VALU_DEP_1) | instskip(SKIP_3) | instid1(VALU_DEP_3)
	v_add_co_ci_u32_e64 v26, s1, 0, v23, s1
	v_sub_co_u32 v27, s1, v21, s26
	v_sub_co_ci_u32_e32 v22, vcc_lo, v14, v22, vcc_lo
	v_subrev_co_ci_u32_e64 v24, s1, 0, v24, s1
	v_cmp_le_u32_e32 vcc_lo, s26, v27
	s_delay_alu instid0(VALU_DEP_3) | instskip(SKIP_1) | instid1(VALU_DEP_4)
	v_cmp_eq_u32_e64 s1, s27, v22
	v_cndmask_b32_e64 v27, 0, -1, vcc_lo
	v_cmp_le_u32_e32 vcc_lo, s27, v24
	v_cndmask_b32_e64 v28, 0, -1, vcc_lo
	v_cmp_le_u32_e32 vcc_lo, s26, v21
	;; [unrolled: 2-line block ×3, first 2 shown]
	v_cndmask_b32_e64 v29, 0, -1, vcc_lo
	v_cmp_eq_u32_e32 vcc_lo, s27, v24
	s_delay_alu instid0(VALU_DEP_2) | instskip(SKIP_3) | instid1(VALU_DEP_3)
	v_cndmask_b32_e64 v21, v29, v21, s1
	v_cndmask_b32_e32 v24, v28, v27, vcc_lo
	v_add_co_u32 v27, vcc_lo, v3, 1
	v_add_co_ci_u32_e32 v28, vcc_lo, 0, v23, vcc_lo
	v_cmp_ne_u32_e32 vcc_lo, 0, v24
	s_delay_alu instid0(VALU_DEP_3) | instskip(NEXT) | instid1(VALU_DEP_3)
	v_cndmask_b32_e32 v24, v27, v25, vcc_lo
	v_cndmask_b32_e32 v22, v28, v26, vcc_lo
	v_cmp_ne_u32_e32 vcc_lo, 0, v21
	s_delay_alu instid0(VALU_DEP_3) | instskip(NEXT) | instid1(VALU_DEP_3)
	v_cndmask_b32_e32 v21, v3, v24, vcc_lo
	v_cndmask_b32_e32 v22, v23, v22, vcc_lo
.LBB109_37:                             ;   in Loop: Header=BB109_35 Depth=2
	s_and_not1_saveexec_b32 s1, s44
	s_cbranch_execz .LBB109_39
; %bb.38:                               ;   in Loop: Header=BB109_35 Depth=2
	v_cvt_f32_u32_e32 v3, s26
	s_sub_i32 s44, 0, s26
	s_delay_alu instid0(VALU_DEP_1) | instskip(SKIP_2) | instid1(VALU_DEP_1)
	v_rcp_iflag_f32_e32 v3, v3
	s_waitcnt_depctr 0xfff
	v_mul_f32_e32 v3, 0x4f7ffffe, v3
	v_cvt_u32_f32_e32 v3, v3
	s_delay_alu instid0(VALU_DEP_1) | instskip(NEXT) | instid1(VALU_DEP_1)
	v_mul_lo_u32 v21, s44, v3
	v_mul_hi_u32 v21, v3, v21
	s_delay_alu instid0(VALU_DEP_1) | instskip(NEXT) | instid1(VALU_DEP_1)
	v_add_nc_u32_e32 v3, v3, v21
	v_mul_hi_u32 v3, v13, v3
	s_delay_alu instid0(VALU_DEP_1) | instskip(SKIP_1) | instid1(VALU_DEP_2)
	v_mul_lo_u32 v21, v3, s26
	v_add_nc_u32_e32 v22, 1, v3
	v_sub_nc_u32_e32 v21, v13, v21
	s_delay_alu instid0(VALU_DEP_1) | instskip(SKIP_1) | instid1(VALU_DEP_2)
	v_subrev_nc_u32_e32 v23, s26, v21
	v_cmp_le_u32_e32 vcc_lo, s26, v21
	v_cndmask_b32_e32 v21, v21, v23, vcc_lo
	v_cndmask_b32_e32 v3, v3, v22, vcc_lo
	s_delay_alu instid0(VALU_DEP_2) | instskip(NEXT) | instid1(VALU_DEP_2)
	v_cmp_le_u32_e32 vcc_lo, s26, v21
	v_add_nc_u32_e32 v22, 1, v3
	s_delay_alu instid0(VALU_DEP_1)
	v_dual_cndmask_b32 v21, v3, v22 :: v_dual_mov_b32 v22, v2
.LBB109_39:                             ;   in Loop: Header=BB109_35 Depth=2
	s_or_b32 exec_lo, exec_lo, s1
	s_load_b64 s[44:45], s[24:25], 0xc8
	s_delay_alu instid0(VALU_DEP_1) | instskip(NEXT) | instid1(VALU_DEP_2)
	v_mul_lo_u32 v3, v22, s26
	v_mul_lo_u32 v25, v21, s27
	v_mad_u64_u32 v[23:24], null, v21, s26, 0
	s_add_i32 s43, s43, -1
	s_add_u32 s24, s24, -8
	s_addc_u32 s25, s25, -1
	s_cmp_gt_u32 s43, 2
	s_delay_alu instid0(VALU_DEP_1) | instskip(NEXT) | instid1(VALU_DEP_2)
	v_add3_u32 v3, v24, v25, v3
	v_sub_co_u32 v23, vcc_lo, v13, v23
	s_delay_alu instid0(VALU_DEP_2) | instskip(SKIP_1) | instid1(VALU_DEP_2)
	v_sub_co_ci_u32_e32 v3, vcc_lo, v14, v3, vcc_lo
	s_waitcnt lgkmcnt(0)
	v_mul_lo_u32 v24, s45, v23
	s_delay_alu instid0(VALU_DEP_2) | instskip(SKIP_1) | instid1(VALU_DEP_1)
	v_mul_lo_u32 v3, s44, v3
	v_mad_u64_u32 v[13:14], null, s44, v23, v[19:20]
	v_add3_u32 v20, v24, v14, v3
	s_delay_alu instid0(VALU_DEP_2)
	v_mov_b32_e32 v19, v13
	s_cbranch_scc0 .LBB109_46
; %bb.40:                               ;   in Loop: Header=BB109_35 Depth=2
	v_dual_mov_b32 v13, v21 :: v_dual_mov_b32 v14, v22
	s_branch .LBB109_35
.LBB109_41:                             ;   in Loop: Header=BB109_42 Depth=2
	s_or_b32 exec_lo, exec_lo, s0
	s_load_b64 s[44:45], s[24:25], 0xc8
	s_delay_alu instid0(VALU_DEP_1)
	v_mul_lo_u32 v3, v16, s26
	v_mul_lo_u32 v21, v15, s27
	v_mad_u64_u32 v[19:20], null, v15, s26, 0
	s_add_i32 s42, s42, -1
	s_add_u32 s24, s24, -8
	s_addc_u32 s25, s25, -1
	s_cmp_gt_u32 s42, 2
	s_delay_alu instid0(VALU_DEP_1) | instskip(NEXT) | instid1(VALU_DEP_2)
	v_add3_u32 v3, v20, v21, v3
	v_sub_co_u32 v19, vcc_lo, v13, v19
	s_delay_alu instid0(VALU_DEP_2) | instskip(SKIP_1) | instid1(VALU_DEP_2)
	v_sub_co_ci_u32_e32 v3, vcc_lo, v14, v3, vcc_lo
	s_waitcnt lgkmcnt(0)
	v_mul_lo_u32 v20, s45, v19
	s_delay_alu instid0(VALU_DEP_2) | instskip(SKIP_1) | instid1(VALU_DEP_1)
	v_mul_lo_u32 v3, s44, v3
	v_mad_u64_u32 v[13:14], null, s44, v19, v[17:18]
	v_add3_u32 v18, v20, v14, v3
	s_delay_alu instid0(VALU_DEP_2)
	v_mov_b32_e32 v17, v13
	v_dual_mov_b32 v13, v15 :: v_dual_mov_b32 v14, v16
	s_cbranch_scc0 .LBB109_32
.LBB109_42:                             ;   Parent Loop BB109_3 Depth=1
                                        ; =>  This Inner Loop Header: Depth=2
	s_load_b64 s[26:27], s[24:25], 0x0
                                        ; implicit-def: $vgpr15_vgpr16
	s_mov_b32 s0, exec_lo
	s_waitcnt lgkmcnt(0)
	v_or_b32_e32 v3, s27, v14
	s_delay_alu instid0(VALU_DEP_1)
	v_cmpx_ne_u64_e32 0, v[2:3]
	s_xor_b32 s43, exec_lo, s0
	s_cbranch_execz .LBB109_44
; %bb.43:                               ;   in Loop: Header=BB109_42 Depth=2
	v_cvt_f32_u32_e32 v3, s26
	v_cvt_f32_u32_e32 v15, s27
	s_sub_u32 s0, 0, s26
	s_subb_u32 s44, 0, s27
	s_delay_alu instid0(VALU_DEP_1) | instskip(NEXT) | instid1(VALU_DEP_1)
	v_fmac_f32_e32 v3, 0x4f800000, v15
	v_rcp_f32_e32 v3, v3
	s_waitcnt_depctr 0xfff
	v_mul_f32_e32 v3, 0x5f7ffffc, v3
	s_delay_alu instid0(VALU_DEP_1) | instskip(NEXT) | instid1(VALU_DEP_1)
	v_mul_f32_e32 v15, 0x2f800000, v3
	v_trunc_f32_e32 v15, v15
	s_delay_alu instid0(VALU_DEP_1) | instskip(SKIP_1) | instid1(VALU_DEP_2)
	v_fmac_f32_e32 v3, 0xcf800000, v15
	v_cvt_u32_f32_e32 v15, v15
	v_cvt_u32_f32_e32 v3, v3
	s_delay_alu instid0(VALU_DEP_2) | instskip(NEXT) | instid1(VALU_DEP_2)
	v_mul_lo_u32 v16, s0, v15
	v_mul_hi_u32 v19, s0, v3
	v_mul_lo_u32 v20, s44, v3
	s_delay_alu instid0(VALU_DEP_2) | instskip(SKIP_1) | instid1(VALU_DEP_2)
	v_add_nc_u32_e32 v16, v19, v16
	v_mul_lo_u32 v19, s0, v3
	v_add_nc_u32_e32 v16, v16, v20
	s_delay_alu instid0(VALU_DEP_2) | instskip(NEXT) | instid1(VALU_DEP_2)
	v_mul_hi_u32 v20, v3, v19
	v_mul_lo_u32 v21, v3, v16
	v_mul_hi_u32 v22, v3, v16
	v_mul_hi_u32 v23, v15, v19
	v_mul_lo_u32 v19, v15, v19
	v_mul_hi_u32 v24, v15, v16
	v_mul_lo_u32 v16, v15, v16
	v_add_co_u32 v20, vcc_lo, v20, v21
	v_add_co_ci_u32_e32 v21, vcc_lo, 0, v22, vcc_lo
	s_delay_alu instid0(VALU_DEP_2) | instskip(NEXT) | instid1(VALU_DEP_2)
	v_add_co_u32 v19, vcc_lo, v20, v19
	v_add_co_ci_u32_e32 v19, vcc_lo, v21, v23, vcc_lo
	v_add_co_ci_u32_e32 v20, vcc_lo, 0, v24, vcc_lo
	s_delay_alu instid0(VALU_DEP_2) | instskip(NEXT) | instid1(VALU_DEP_2)
	v_add_co_u32 v16, vcc_lo, v19, v16
	v_add_co_ci_u32_e32 v19, vcc_lo, 0, v20, vcc_lo
	s_delay_alu instid0(VALU_DEP_2) | instskip(NEXT) | instid1(VALU_DEP_2)
	v_add_co_u32 v3, vcc_lo, v3, v16
	v_add_co_ci_u32_e32 v15, vcc_lo, v15, v19, vcc_lo
	s_delay_alu instid0(VALU_DEP_2) | instskip(SKIP_1) | instid1(VALU_DEP_3)
	v_mul_hi_u32 v16, s0, v3
	v_mul_lo_u32 v20, s44, v3
	v_mul_lo_u32 v19, s0, v15
	s_delay_alu instid0(VALU_DEP_1) | instskip(SKIP_1) | instid1(VALU_DEP_2)
	v_add_nc_u32_e32 v16, v16, v19
	v_mul_lo_u32 v19, s0, v3
	v_add_nc_u32_e32 v16, v16, v20
	s_delay_alu instid0(VALU_DEP_2) | instskip(NEXT) | instid1(VALU_DEP_2)
	v_mul_hi_u32 v20, v3, v19
	v_mul_lo_u32 v21, v3, v16
	v_mul_hi_u32 v22, v3, v16
	v_mul_hi_u32 v23, v15, v19
	v_mul_lo_u32 v19, v15, v19
	v_mul_hi_u32 v24, v15, v16
	v_mul_lo_u32 v16, v15, v16
	v_add_co_u32 v20, vcc_lo, v20, v21
	v_add_co_ci_u32_e32 v21, vcc_lo, 0, v22, vcc_lo
	s_delay_alu instid0(VALU_DEP_2) | instskip(NEXT) | instid1(VALU_DEP_2)
	v_add_co_u32 v19, vcc_lo, v20, v19
	v_add_co_ci_u32_e32 v19, vcc_lo, v21, v23, vcc_lo
	v_add_co_ci_u32_e32 v20, vcc_lo, 0, v24, vcc_lo
	s_delay_alu instid0(VALU_DEP_2) | instskip(NEXT) | instid1(VALU_DEP_2)
	v_add_co_u32 v16, vcc_lo, v19, v16
	v_add_co_ci_u32_e32 v19, vcc_lo, 0, v20, vcc_lo
	s_delay_alu instid0(VALU_DEP_2) | instskip(NEXT) | instid1(VALU_DEP_2)
	v_add_co_u32 v3, vcc_lo, v3, v16
	v_add_co_ci_u32_e32 v23, vcc_lo, v15, v19, vcc_lo
	s_delay_alu instid0(VALU_DEP_2) | instskip(SKIP_1) | instid1(VALU_DEP_3)
	v_mul_hi_u32 v24, v13, v3
	v_mad_u64_u32 v[19:20], null, v14, v3, 0
	v_mad_u64_u32 v[15:16], null, v13, v23, 0
	;; [unrolled: 1-line block ×3, first 2 shown]
	s_delay_alu instid0(VALU_DEP_2) | instskip(NEXT) | instid1(VALU_DEP_3)
	v_add_co_u32 v3, vcc_lo, v24, v15
	v_add_co_ci_u32_e32 v15, vcc_lo, 0, v16, vcc_lo
	s_delay_alu instid0(VALU_DEP_2) | instskip(NEXT) | instid1(VALU_DEP_2)
	v_add_co_u32 v3, vcc_lo, v3, v19
	v_add_co_ci_u32_e32 v3, vcc_lo, v15, v20, vcc_lo
	v_add_co_ci_u32_e32 v15, vcc_lo, 0, v22, vcc_lo
	s_delay_alu instid0(VALU_DEP_2) | instskip(NEXT) | instid1(VALU_DEP_2)
	v_add_co_u32 v3, vcc_lo, v3, v21
	v_add_co_ci_u32_e32 v19, vcc_lo, 0, v15, vcc_lo
	s_delay_alu instid0(VALU_DEP_2) | instskip(SKIP_1) | instid1(VALU_DEP_3)
	v_mul_lo_u32 v20, s27, v3
	v_mad_u64_u32 v[15:16], null, s26, v3, 0
	v_mul_lo_u32 v21, s26, v19
	s_delay_alu instid0(VALU_DEP_2) | instskip(NEXT) | instid1(VALU_DEP_2)
	v_sub_co_u32 v15, vcc_lo, v13, v15
	v_add3_u32 v16, v16, v21, v20
	s_delay_alu instid0(VALU_DEP_1) | instskip(NEXT) | instid1(VALU_DEP_1)
	v_sub_nc_u32_e32 v20, v14, v16
	v_subrev_co_ci_u32_e64 v20, s0, s27, v20, vcc_lo
	v_add_co_u32 v21, s0, v3, 2
	s_delay_alu instid0(VALU_DEP_1) | instskip(SKIP_3) | instid1(VALU_DEP_3)
	v_add_co_ci_u32_e64 v22, s0, 0, v19, s0
	v_sub_co_u32 v23, s0, v15, s26
	v_sub_co_ci_u32_e32 v16, vcc_lo, v14, v16, vcc_lo
	v_subrev_co_ci_u32_e64 v20, s0, 0, v20, s0
	v_cmp_le_u32_e32 vcc_lo, s26, v23
	s_delay_alu instid0(VALU_DEP_3) | instskip(SKIP_1) | instid1(VALU_DEP_4)
	v_cmp_eq_u32_e64 s0, s27, v16
	v_cndmask_b32_e64 v23, 0, -1, vcc_lo
	v_cmp_le_u32_e32 vcc_lo, s27, v20
	v_cndmask_b32_e64 v24, 0, -1, vcc_lo
	v_cmp_le_u32_e32 vcc_lo, s26, v15
	v_cndmask_b32_e64 v15, 0, -1, vcc_lo
	v_cmp_le_u32_e32 vcc_lo, s27, v16
	v_cndmask_b32_e64 v25, 0, -1, vcc_lo
	v_cmp_eq_u32_e32 vcc_lo, s27, v20
	s_delay_alu instid0(VALU_DEP_2) | instskip(SKIP_3) | instid1(VALU_DEP_3)
	v_cndmask_b32_e64 v15, v25, v15, s0
	v_cndmask_b32_e32 v20, v24, v23, vcc_lo
	v_add_co_u32 v23, vcc_lo, v3, 1
	v_add_co_ci_u32_e32 v24, vcc_lo, 0, v19, vcc_lo
	v_cmp_ne_u32_e32 vcc_lo, 0, v20
	s_delay_alu instid0(VALU_DEP_2) | instskip(NEXT) | instid1(VALU_DEP_4)
	v_cndmask_b32_e32 v16, v24, v22, vcc_lo
	v_cndmask_b32_e32 v20, v23, v21, vcc_lo
	v_cmp_ne_u32_e32 vcc_lo, 0, v15
	s_delay_alu instid0(VALU_DEP_2) | instskip(NEXT) | instid1(VALU_DEP_4)
	v_cndmask_b32_e32 v15, v3, v20, vcc_lo
	v_cndmask_b32_e32 v16, v19, v16, vcc_lo
.LBB109_44:                             ;   in Loop: Header=BB109_42 Depth=2
	s_and_not1_saveexec_b32 s0, s43
	s_cbranch_execz .LBB109_41
; %bb.45:                               ;   in Loop: Header=BB109_42 Depth=2
	v_cvt_f32_u32_e32 v3, s26
	s_sub_i32 s43, 0, s26
	s_delay_alu instid0(VALU_DEP_1) | instskip(SKIP_2) | instid1(VALU_DEP_1)
	v_rcp_iflag_f32_e32 v3, v3
	s_waitcnt_depctr 0xfff
	v_mul_f32_e32 v3, 0x4f7ffffe, v3
	v_cvt_u32_f32_e32 v3, v3
	s_delay_alu instid0(VALU_DEP_1) | instskip(NEXT) | instid1(VALU_DEP_1)
	v_mul_lo_u32 v15, s43, v3
	v_mul_hi_u32 v15, v3, v15
	s_delay_alu instid0(VALU_DEP_1) | instskip(NEXT) | instid1(VALU_DEP_1)
	v_add_nc_u32_e32 v3, v3, v15
	v_mul_hi_u32 v3, v13, v3
	s_delay_alu instid0(VALU_DEP_1) | instskip(SKIP_1) | instid1(VALU_DEP_2)
	v_mul_lo_u32 v15, v3, s26
	v_add_nc_u32_e32 v16, 1, v3
	v_sub_nc_u32_e32 v15, v13, v15
	s_delay_alu instid0(VALU_DEP_1) | instskip(SKIP_1) | instid1(VALU_DEP_2)
	v_subrev_nc_u32_e32 v19, s26, v15
	v_cmp_le_u32_e32 vcc_lo, s26, v15
	v_cndmask_b32_e32 v15, v15, v19, vcc_lo
	v_cndmask_b32_e32 v3, v3, v16, vcc_lo
	s_delay_alu instid0(VALU_DEP_2) | instskip(NEXT) | instid1(VALU_DEP_2)
	v_cmp_le_u32_e32 vcc_lo, s26, v15
	v_add_nc_u32_e32 v16, 1, v3
	s_delay_alu instid0(VALU_DEP_1)
	v_dual_cndmask_b32 v15, v3, v16 :: v_dual_mov_b32 v16, v2
	s_branch .LBB109_41
.LBB109_46:                             ;   in Loop: Header=BB109_3 Depth=1
	s_delay_alu instid0(VALU_DEP_1) | instskip(SKIP_2) | instid1(VALU_DEP_1)
	v_mad_u64_u32 v[13:14], null, s14, v21, v[19:20]
	v_mul_lo_u32 v3, s14, v22
	v_mul_lo_u32 v19, s15, v21
	v_add3_u32 v14, v19, v14, v3
.LBB109_47:                             ;   in Loop: Header=BB109_3 Depth=1
	s_or_b32 exec_lo, exec_lo, s42
	v_mov_b32_e32 v19, 0
	v_mov_b32_e32 v20, 0
	s_and_saveexec_b32 s1, s0
	s_cbranch_execz .LBB109_50
; %bb.48:                               ;   in Loop: Header=BB109_3 Depth=1
	v_mov_b32_e32 v21, 0
	v_mov_b32_e32 v22, 0
	s_and_not1_b32 vcc_lo, exec_lo, s29
	s_mov_b64 s[24:25], s[22:23]
	s_mov_b32 s42, s34
	s_cbranch_vccz .LBB109_59
.LBB109_49:                             ;   in Loop: Header=BB109_3 Depth=1
	s_delay_alu instid0(VALU_DEP_1) | instskip(NEXT) | instid1(VALU_DEP_2)
	v_mad_u64_u32 v[19:20], null, s2, v17, v[21:22]
	v_mul_lo_u32 v3, s2, v18
	v_mul_lo_u32 v17, s3, v17
	s_delay_alu instid0(VALU_DEP_1)
	v_add3_u32 v20, v17, v20, v3
.LBB109_50:                             ;   in Loop: Header=BB109_3 Depth=1
	s_or_b32 exec_lo, exec_lo, s1
	v_dual_mov_b32 v22, v5 :: v_dual_mov_b32 v17, 0
	v_or_b32_e32 v21, 3, v4
	v_mov_b32_e32 v18, 0
	v_cmp_lt_i32_e64 s0, 3, v32
	s_delay_alu instid0(VALU_DEP_1)
	s_and_saveexec_b32 s42, s0
	s_cbranch_execz .LBB109_64
; %bb.51:                               ;   in Loop: Header=BB109_3 Depth=1
	v_mov_b32_e32 v23, 0
	v_dual_mov_b32 v24, 0 :: v_dual_mov_b32 v17, v21
	v_mov_b32_e32 v18, v22
	v_dual_mov_b32 v26, v22 :: v_dual_mov_b32 v25, v21
	s_and_not1_b32 vcc_lo, exec_lo, s28
	s_mov_b64 s[24:25], s[20:21]
	s_mov_b32 s43, s33
	s_cbranch_vccnz .LBB109_63
.LBB109_52:                             ;   Parent Loop BB109_3 Depth=1
                                        ; =>  This Inner Loop Header: Depth=2
	s_load_b64 s[26:27], s[24:25], 0x0
                                        ; implicit-def: $vgpr25_vgpr26
	s_mov_b32 s1, exec_lo
	s_waitcnt lgkmcnt(0)
	v_or_b32_e32 v3, s27, v18
	s_delay_alu instid0(VALU_DEP_1)
	v_cmpx_ne_u64_e32 0, v[2:3]
	s_xor_b32 s44, exec_lo, s1
	s_cbranch_execz .LBB109_54
; %bb.53:                               ;   in Loop: Header=BB109_52 Depth=2
	v_cvt_f32_u32_e32 v3, s26
	v_cvt_f32_u32_e32 v25, s27
	s_sub_u32 s1, 0, s26
	s_subb_u32 s45, 0, s27
	s_delay_alu instid0(VALU_DEP_1) | instskip(NEXT) | instid1(VALU_DEP_1)
	v_fmac_f32_e32 v3, 0x4f800000, v25
	v_rcp_f32_e32 v3, v3
	s_waitcnt_depctr 0xfff
	v_mul_f32_e32 v3, 0x5f7ffffc, v3
	s_delay_alu instid0(VALU_DEP_1) | instskip(NEXT) | instid1(VALU_DEP_1)
	v_mul_f32_e32 v25, 0x2f800000, v3
	v_trunc_f32_e32 v25, v25
	s_delay_alu instid0(VALU_DEP_1) | instskip(SKIP_1) | instid1(VALU_DEP_2)
	v_fmac_f32_e32 v3, 0xcf800000, v25
	v_cvt_u32_f32_e32 v25, v25
	v_cvt_u32_f32_e32 v3, v3
	s_delay_alu instid0(VALU_DEP_2) | instskip(NEXT) | instid1(VALU_DEP_2)
	v_mul_lo_u32 v26, s1, v25
	v_mul_hi_u32 v27, s1, v3
	v_mul_lo_u32 v28, s45, v3
	s_delay_alu instid0(VALU_DEP_2) | instskip(SKIP_1) | instid1(VALU_DEP_2)
	v_add_nc_u32_e32 v26, v27, v26
	v_mul_lo_u32 v27, s1, v3
	v_add_nc_u32_e32 v26, v26, v28
	s_delay_alu instid0(VALU_DEP_2) | instskip(NEXT) | instid1(VALU_DEP_2)
	v_mul_hi_u32 v28, v3, v27
	v_mul_lo_u32 v29, v3, v26
	v_mul_hi_u32 v30, v3, v26
	v_mul_hi_u32 v31, v25, v27
	v_mul_lo_u32 v27, v25, v27
	v_mul_hi_u32 v33, v25, v26
	v_mul_lo_u32 v26, v25, v26
	v_add_co_u32 v28, vcc_lo, v28, v29
	v_add_co_ci_u32_e32 v29, vcc_lo, 0, v30, vcc_lo
	s_delay_alu instid0(VALU_DEP_2) | instskip(NEXT) | instid1(VALU_DEP_2)
	v_add_co_u32 v27, vcc_lo, v28, v27
	v_add_co_ci_u32_e32 v27, vcc_lo, v29, v31, vcc_lo
	v_add_co_ci_u32_e32 v28, vcc_lo, 0, v33, vcc_lo
	s_delay_alu instid0(VALU_DEP_2) | instskip(NEXT) | instid1(VALU_DEP_2)
	v_add_co_u32 v26, vcc_lo, v27, v26
	v_add_co_ci_u32_e32 v27, vcc_lo, 0, v28, vcc_lo
	s_delay_alu instid0(VALU_DEP_2) | instskip(NEXT) | instid1(VALU_DEP_2)
	v_add_co_u32 v3, vcc_lo, v3, v26
	v_add_co_ci_u32_e32 v25, vcc_lo, v25, v27, vcc_lo
	s_delay_alu instid0(VALU_DEP_2) | instskip(SKIP_1) | instid1(VALU_DEP_3)
	v_mul_hi_u32 v26, s1, v3
	v_mul_lo_u32 v28, s45, v3
	v_mul_lo_u32 v27, s1, v25
	s_delay_alu instid0(VALU_DEP_1) | instskip(SKIP_1) | instid1(VALU_DEP_2)
	v_add_nc_u32_e32 v26, v26, v27
	v_mul_lo_u32 v27, s1, v3
	v_add_nc_u32_e32 v26, v26, v28
	s_delay_alu instid0(VALU_DEP_2) | instskip(NEXT) | instid1(VALU_DEP_2)
	v_mul_hi_u32 v28, v3, v27
	v_mul_lo_u32 v29, v3, v26
	v_mul_hi_u32 v30, v3, v26
	v_mul_hi_u32 v31, v25, v27
	v_mul_lo_u32 v27, v25, v27
	v_mul_hi_u32 v33, v25, v26
	v_mul_lo_u32 v26, v25, v26
	v_add_co_u32 v28, vcc_lo, v28, v29
	v_add_co_ci_u32_e32 v29, vcc_lo, 0, v30, vcc_lo
	s_delay_alu instid0(VALU_DEP_2) | instskip(NEXT) | instid1(VALU_DEP_2)
	v_add_co_u32 v27, vcc_lo, v28, v27
	v_add_co_ci_u32_e32 v27, vcc_lo, v29, v31, vcc_lo
	v_add_co_ci_u32_e32 v28, vcc_lo, 0, v33, vcc_lo
	s_delay_alu instid0(VALU_DEP_2) | instskip(NEXT) | instid1(VALU_DEP_2)
	v_add_co_u32 v26, vcc_lo, v27, v26
	v_add_co_ci_u32_e32 v27, vcc_lo, 0, v28, vcc_lo
	s_delay_alu instid0(VALU_DEP_2) | instskip(NEXT) | instid1(VALU_DEP_2)
	v_add_co_u32 v3, vcc_lo, v3, v26
	v_add_co_ci_u32_e32 v31, vcc_lo, v25, v27, vcc_lo
	s_delay_alu instid0(VALU_DEP_2) | instskip(SKIP_1) | instid1(VALU_DEP_3)
	v_mul_hi_u32 v33, v17, v3
	v_mad_u64_u32 v[27:28], null, v18, v3, 0
	v_mad_u64_u32 v[25:26], null, v17, v31, 0
	;; [unrolled: 1-line block ×3, first 2 shown]
	s_delay_alu instid0(VALU_DEP_2) | instskip(NEXT) | instid1(VALU_DEP_3)
	v_add_co_u32 v3, vcc_lo, v33, v25
	v_add_co_ci_u32_e32 v25, vcc_lo, 0, v26, vcc_lo
	s_delay_alu instid0(VALU_DEP_2) | instskip(NEXT) | instid1(VALU_DEP_2)
	v_add_co_u32 v3, vcc_lo, v3, v27
	v_add_co_ci_u32_e32 v3, vcc_lo, v25, v28, vcc_lo
	v_add_co_ci_u32_e32 v25, vcc_lo, 0, v30, vcc_lo
	s_delay_alu instid0(VALU_DEP_2) | instskip(NEXT) | instid1(VALU_DEP_2)
	v_add_co_u32 v3, vcc_lo, v3, v29
	v_add_co_ci_u32_e32 v27, vcc_lo, 0, v25, vcc_lo
	s_delay_alu instid0(VALU_DEP_2) | instskip(SKIP_1) | instid1(VALU_DEP_3)
	v_mul_lo_u32 v28, s27, v3
	v_mad_u64_u32 v[25:26], null, s26, v3, 0
	v_mul_lo_u32 v29, s26, v27
	s_delay_alu instid0(VALU_DEP_2) | instskip(NEXT) | instid1(VALU_DEP_2)
	v_sub_co_u32 v25, vcc_lo, v17, v25
	v_add3_u32 v26, v26, v29, v28
	s_delay_alu instid0(VALU_DEP_1) | instskip(NEXT) | instid1(VALU_DEP_1)
	v_sub_nc_u32_e32 v28, v18, v26
	v_subrev_co_ci_u32_e64 v28, s1, s27, v28, vcc_lo
	v_add_co_u32 v29, s1, v3, 2
	s_delay_alu instid0(VALU_DEP_1) | instskip(SKIP_3) | instid1(VALU_DEP_3)
	v_add_co_ci_u32_e64 v30, s1, 0, v27, s1
	v_sub_co_u32 v31, s1, v25, s26
	v_sub_co_ci_u32_e32 v26, vcc_lo, v18, v26, vcc_lo
	v_subrev_co_ci_u32_e64 v28, s1, 0, v28, s1
	v_cmp_le_u32_e32 vcc_lo, s26, v31
	s_delay_alu instid0(VALU_DEP_3) | instskip(SKIP_1) | instid1(VALU_DEP_4)
	v_cmp_eq_u32_e64 s1, s27, v26
	v_cndmask_b32_e64 v31, 0, -1, vcc_lo
	v_cmp_le_u32_e32 vcc_lo, s27, v28
	v_cndmask_b32_e64 v33, 0, -1, vcc_lo
	v_cmp_le_u32_e32 vcc_lo, s26, v25
	;; [unrolled: 2-line block ×3, first 2 shown]
	v_cndmask_b32_e64 v34, 0, -1, vcc_lo
	v_cmp_eq_u32_e32 vcc_lo, s27, v28
	s_delay_alu instid0(VALU_DEP_2) | instskip(SKIP_3) | instid1(VALU_DEP_3)
	v_cndmask_b32_e64 v25, v34, v25, s1
	v_cndmask_b32_e32 v28, v33, v31, vcc_lo
	v_add_co_u32 v31, vcc_lo, v3, 1
	v_add_co_ci_u32_e32 v33, vcc_lo, 0, v27, vcc_lo
	v_cmp_ne_u32_e32 vcc_lo, 0, v28
	s_delay_alu instid0(VALU_DEP_3) | instskip(NEXT) | instid1(VALU_DEP_3)
	v_cndmask_b32_e32 v28, v31, v29, vcc_lo
	v_cndmask_b32_e32 v26, v33, v30, vcc_lo
	v_cmp_ne_u32_e32 vcc_lo, 0, v25
	s_delay_alu instid0(VALU_DEP_3) | instskip(NEXT) | instid1(VALU_DEP_3)
	v_cndmask_b32_e32 v25, v3, v28, vcc_lo
	v_cndmask_b32_e32 v26, v27, v26, vcc_lo
.LBB109_54:                             ;   in Loop: Header=BB109_52 Depth=2
	s_and_not1_saveexec_b32 s1, s44
	s_cbranch_execz .LBB109_56
; %bb.55:                               ;   in Loop: Header=BB109_52 Depth=2
	v_cvt_f32_u32_e32 v3, s26
	s_sub_i32 s44, 0, s26
	s_delay_alu instid0(VALU_DEP_1) | instskip(SKIP_2) | instid1(VALU_DEP_1)
	v_rcp_iflag_f32_e32 v3, v3
	s_waitcnt_depctr 0xfff
	v_mul_f32_e32 v3, 0x4f7ffffe, v3
	v_cvt_u32_f32_e32 v3, v3
	s_delay_alu instid0(VALU_DEP_1) | instskip(NEXT) | instid1(VALU_DEP_1)
	v_mul_lo_u32 v25, s44, v3
	v_mul_hi_u32 v25, v3, v25
	s_delay_alu instid0(VALU_DEP_1) | instskip(NEXT) | instid1(VALU_DEP_1)
	v_add_nc_u32_e32 v3, v3, v25
	v_mul_hi_u32 v3, v17, v3
	s_delay_alu instid0(VALU_DEP_1) | instskip(SKIP_1) | instid1(VALU_DEP_2)
	v_mul_lo_u32 v25, v3, s26
	v_add_nc_u32_e32 v26, 1, v3
	v_sub_nc_u32_e32 v25, v17, v25
	s_delay_alu instid0(VALU_DEP_1) | instskip(SKIP_1) | instid1(VALU_DEP_2)
	v_subrev_nc_u32_e32 v27, s26, v25
	v_cmp_le_u32_e32 vcc_lo, s26, v25
	v_cndmask_b32_e32 v25, v25, v27, vcc_lo
	v_cndmask_b32_e32 v3, v3, v26, vcc_lo
	s_delay_alu instid0(VALU_DEP_2) | instskip(NEXT) | instid1(VALU_DEP_2)
	v_cmp_le_u32_e32 vcc_lo, s26, v25
	v_add_nc_u32_e32 v26, 1, v3
	s_delay_alu instid0(VALU_DEP_1)
	v_dual_cndmask_b32 v25, v3, v26 :: v_dual_mov_b32 v26, v2
.LBB109_56:                             ;   in Loop: Header=BB109_52 Depth=2
	s_or_b32 exec_lo, exec_lo, s1
	s_load_b64 s[44:45], s[24:25], 0xc8
	s_delay_alu instid0(VALU_DEP_1) | instskip(NEXT) | instid1(VALU_DEP_2)
	v_mul_lo_u32 v3, v26, s26
	v_mul_lo_u32 v29, v25, s27
	v_mad_u64_u32 v[27:28], null, v25, s26, 0
	s_add_i32 s43, s43, -1
	s_add_u32 s24, s24, -8
	s_addc_u32 s25, s25, -1
	s_cmp_gt_u32 s43, 2
	s_delay_alu instid0(VALU_DEP_1) | instskip(NEXT) | instid1(VALU_DEP_2)
	v_add3_u32 v3, v28, v29, v3
	v_sub_co_u32 v27, vcc_lo, v17, v27
	s_delay_alu instid0(VALU_DEP_2) | instskip(SKIP_1) | instid1(VALU_DEP_2)
	v_sub_co_ci_u32_e32 v3, vcc_lo, v18, v3, vcc_lo
	s_waitcnt lgkmcnt(0)
	v_mul_lo_u32 v28, s45, v27
	s_delay_alu instid0(VALU_DEP_2) | instskip(SKIP_1) | instid1(VALU_DEP_1)
	v_mul_lo_u32 v3, s44, v3
	v_mad_u64_u32 v[17:18], null, s44, v27, v[23:24]
	v_add3_u32 v24, v28, v18, v3
	s_delay_alu instid0(VALU_DEP_2)
	v_mov_b32_e32 v23, v17
	s_cbranch_scc0 .LBB109_63
; %bb.57:                               ;   in Loop: Header=BB109_52 Depth=2
	v_dual_mov_b32 v17, v25 :: v_dual_mov_b32 v18, v26
	s_branch .LBB109_52
.LBB109_58:                             ;   in Loop: Header=BB109_59 Depth=2
	s_or_b32 exec_lo, exec_lo, s0
	s_load_b64 s[44:45], s[24:25], 0xc8
	s_delay_alu instid0(VALU_DEP_1)
	v_mul_lo_u32 v3, v20, s26
	v_mul_lo_u32 v25, v19, s27
	v_mad_u64_u32 v[23:24], null, v19, s26, 0
	s_add_i32 s42, s42, -1
	s_add_u32 s24, s24, -8
	s_addc_u32 s25, s25, -1
	s_cmp_gt_u32 s42, 2
	s_delay_alu instid0(VALU_DEP_1) | instskip(NEXT) | instid1(VALU_DEP_2)
	v_add3_u32 v3, v24, v25, v3
	v_sub_co_u32 v23, vcc_lo, v17, v23
	s_delay_alu instid0(VALU_DEP_2) | instskip(SKIP_1) | instid1(VALU_DEP_2)
	v_sub_co_ci_u32_e32 v3, vcc_lo, v18, v3, vcc_lo
	s_waitcnt lgkmcnt(0)
	v_mul_lo_u32 v24, s45, v23
	s_delay_alu instid0(VALU_DEP_2) | instskip(SKIP_1) | instid1(VALU_DEP_1)
	v_mul_lo_u32 v3, s44, v3
	v_mad_u64_u32 v[17:18], null, s44, v23, v[21:22]
	v_add3_u32 v22, v24, v18, v3
	s_delay_alu instid0(VALU_DEP_2)
	v_mov_b32_e32 v21, v17
	v_dual_mov_b32 v17, v19 :: v_dual_mov_b32 v18, v20
	s_cbranch_scc0 .LBB109_49
.LBB109_59:                             ;   Parent Loop BB109_3 Depth=1
                                        ; =>  This Inner Loop Header: Depth=2
	s_load_b64 s[26:27], s[24:25], 0x0
                                        ; implicit-def: $vgpr19_vgpr20
	s_mov_b32 s0, exec_lo
	s_waitcnt lgkmcnt(0)
	v_or_b32_e32 v3, s27, v18
	s_delay_alu instid0(VALU_DEP_1)
	v_cmpx_ne_u64_e32 0, v[2:3]
	s_xor_b32 s43, exec_lo, s0
	s_cbranch_execz .LBB109_61
; %bb.60:                               ;   in Loop: Header=BB109_59 Depth=2
	v_cvt_f32_u32_e32 v3, s26
	v_cvt_f32_u32_e32 v19, s27
	s_sub_u32 s0, 0, s26
	s_subb_u32 s44, 0, s27
	s_delay_alu instid0(VALU_DEP_1) | instskip(NEXT) | instid1(VALU_DEP_1)
	v_fmac_f32_e32 v3, 0x4f800000, v19
	v_rcp_f32_e32 v3, v3
	s_waitcnt_depctr 0xfff
	v_mul_f32_e32 v3, 0x5f7ffffc, v3
	s_delay_alu instid0(VALU_DEP_1) | instskip(NEXT) | instid1(VALU_DEP_1)
	v_mul_f32_e32 v19, 0x2f800000, v3
	v_trunc_f32_e32 v19, v19
	s_delay_alu instid0(VALU_DEP_1) | instskip(SKIP_1) | instid1(VALU_DEP_2)
	v_fmac_f32_e32 v3, 0xcf800000, v19
	v_cvt_u32_f32_e32 v19, v19
	v_cvt_u32_f32_e32 v3, v3
	s_delay_alu instid0(VALU_DEP_2) | instskip(NEXT) | instid1(VALU_DEP_2)
	v_mul_lo_u32 v20, s0, v19
	v_mul_hi_u32 v23, s0, v3
	v_mul_lo_u32 v24, s44, v3
	s_delay_alu instid0(VALU_DEP_2) | instskip(SKIP_1) | instid1(VALU_DEP_2)
	v_add_nc_u32_e32 v20, v23, v20
	v_mul_lo_u32 v23, s0, v3
	v_add_nc_u32_e32 v20, v20, v24
	s_delay_alu instid0(VALU_DEP_2) | instskip(NEXT) | instid1(VALU_DEP_2)
	v_mul_hi_u32 v24, v3, v23
	v_mul_lo_u32 v25, v3, v20
	v_mul_hi_u32 v26, v3, v20
	v_mul_hi_u32 v27, v19, v23
	v_mul_lo_u32 v23, v19, v23
	v_mul_hi_u32 v28, v19, v20
	v_mul_lo_u32 v20, v19, v20
	v_add_co_u32 v24, vcc_lo, v24, v25
	v_add_co_ci_u32_e32 v25, vcc_lo, 0, v26, vcc_lo
	s_delay_alu instid0(VALU_DEP_2) | instskip(NEXT) | instid1(VALU_DEP_2)
	v_add_co_u32 v23, vcc_lo, v24, v23
	v_add_co_ci_u32_e32 v23, vcc_lo, v25, v27, vcc_lo
	v_add_co_ci_u32_e32 v24, vcc_lo, 0, v28, vcc_lo
	s_delay_alu instid0(VALU_DEP_2) | instskip(NEXT) | instid1(VALU_DEP_2)
	v_add_co_u32 v20, vcc_lo, v23, v20
	v_add_co_ci_u32_e32 v23, vcc_lo, 0, v24, vcc_lo
	s_delay_alu instid0(VALU_DEP_2) | instskip(NEXT) | instid1(VALU_DEP_2)
	v_add_co_u32 v3, vcc_lo, v3, v20
	v_add_co_ci_u32_e32 v19, vcc_lo, v19, v23, vcc_lo
	s_delay_alu instid0(VALU_DEP_2) | instskip(SKIP_1) | instid1(VALU_DEP_3)
	v_mul_hi_u32 v20, s0, v3
	v_mul_lo_u32 v24, s44, v3
	v_mul_lo_u32 v23, s0, v19
	s_delay_alu instid0(VALU_DEP_1) | instskip(SKIP_1) | instid1(VALU_DEP_2)
	v_add_nc_u32_e32 v20, v20, v23
	v_mul_lo_u32 v23, s0, v3
	v_add_nc_u32_e32 v20, v20, v24
	s_delay_alu instid0(VALU_DEP_2) | instskip(NEXT) | instid1(VALU_DEP_2)
	v_mul_hi_u32 v24, v3, v23
	v_mul_lo_u32 v25, v3, v20
	v_mul_hi_u32 v26, v3, v20
	v_mul_hi_u32 v27, v19, v23
	v_mul_lo_u32 v23, v19, v23
	v_mul_hi_u32 v28, v19, v20
	v_mul_lo_u32 v20, v19, v20
	v_add_co_u32 v24, vcc_lo, v24, v25
	v_add_co_ci_u32_e32 v25, vcc_lo, 0, v26, vcc_lo
	s_delay_alu instid0(VALU_DEP_2) | instskip(NEXT) | instid1(VALU_DEP_2)
	v_add_co_u32 v23, vcc_lo, v24, v23
	v_add_co_ci_u32_e32 v23, vcc_lo, v25, v27, vcc_lo
	v_add_co_ci_u32_e32 v24, vcc_lo, 0, v28, vcc_lo
	s_delay_alu instid0(VALU_DEP_2) | instskip(NEXT) | instid1(VALU_DEP_2)
	v_add_co_u32 v20, vcc_lo, v23, v20
	v_add_co_ci_u32_e32 v23, vcc_lo, 0, v24, vcc_lo
	s_delay_alu instid0(VALU_DEP_2) | instskip(NEXT) | instid1(VALU_DEP_2)
	v_add_co_u32 v3, vcc_lo, v3, v20
	v_add_co_ci_u32_e32 v27, vcc_lo, v19, v23, vcc_lo
	s_delay_alu instid0(VALU_DEP_2) | instskip(SKIP_1) | instid1(VALU_DEP_3)
	v_mul_hi_u32 v28, v17, v3
	v_mad_u64_u32 v[23:24], null, v18, v3, 0
	v_mad_u64_u32 v[19:20], null, v17, v27, 0
	;; [unrolled: 1-line block ×3, first 2 shown]
	s_delay_alu instid0(VALU_DEP_2) | instskip(NEXT) | instid1(VALU_DEP_3)
	v_add_co_u32 v3, vcc_lo, v28, v19
	v_add_co_ci_u32_e32 v19, vcc_lo, 0, v20, vcc_lo
	s_delay_alu instid0(VALU_DEP_2) | instskip(NEXT) | instid1(VALU_DEP_2)
	v_add_co_u32 v3, vcc_lo, v3, v23
	v_add_co_ci_u32_e32 v3, vcc_lo, v19, v24, vcc_lo
	v_add_co_ci_u32_e32 v19, vcc_lo, 0, v26, vcc_lo
	s_delay_alu instid0(VALU_DEP_2) | instskip(NEXT) | instid1(VALU_DEP_2)
	v_add_co_u32 v3, vcc_lo, v3, v25
	v_add_co_ci_u32_e32 v23, vcc_lo, 0, v19, vcc_lo
	s_delay_alu instid0(VALU_DEP_2) | instskip(SKIP_1) | instid1(VALU_DEP_3)
	v_mul_lo_u32 v24, s27, v3
	v_mad_u64_u32 v[19:20], null, s26, v3, 0
	v_mul_lo_u32 v25, s26, v23
	s_delay_alu instid0(VALU_DEP_2) | instskip(NEXT) | instid1(VALU_DEP_2)
	v_sub_co_u32 v19, vcc_lo, v17, v19
	v_add3_u32 v20, v20, v25, v24
	s_delay_alu instid0(VALU_DEP_1) | instskip(NEXT) | instid1(VALU_DEP_1)
	v_sub_nc_u32_e32 v24, v18, v20
	v_subrev_co_ci_u32_e64 v24, s0, s27, v24, vcc_lo
	v_add_co_u32 v25, s0, v3, 2
	s_delay_alu instid0(VALU_DEP_1) | instskip(SKIP_3) | instid1(VALU_DEP_3)
	v_add_co_ci_u32_e64 v26, s0, 0, v23, s0
	v_sub_co_u32 v27, s0, v19, s26
	v_sub_co_ci_u32_e32 v20, vcc_lo, v18, v20, vcc_lo
	v_subrev_co_ci_u32_e64 v24, s0, 0, v24, s0
	v_cmp_le_u32_e32 vcc_lo, s26, v27
	s_delay_alu instid0(VALU_DEP_3) | instskip(SKIP_1) | instid1(VALU_DEP_4)
	v_cmp_eq_u32_e64 s0, s27, v20
	v_cndmask_b32_e64 v27, 0, -1, vcc_lo
	v_cmp_le_u32_e32 vcc_lo, s27, v24
	v_cndmask_b32_e64 v28, 0, -1, vcc_lo
	v_cmp_le_u32_e32 vcc_lo, s26, v19
	;; [unrolled: 2-line block ×3, first 2 shown]
	v_cndmask_b32_e64 v29, 0, -1, vcc_lo
	v_cmp_eq_u32_e32 vcc_lo, s27, v24
	s_delay_alu instid0(VALU_DEP_2) | instskip(SKIP_3) | instid1(VALU_DEP_3)
	v_cndmask_b32_e64 v19, v29, v19, s0
	v_cndmask_b32_e32 v24, v28, v27, vcc_lo
	v_add_co_u32 v27, vcc_lo, v3, 1
	v_add_co_ci_u32_e32 v28, vcc_lo, 0, v23, vcc_lo
	v_cmp_ne_u32_e32 vcc_lo, 0, v24
	s_delay_alu instid0(VALU_DEP_2) | instskip(NEXT) | instid1(VALU_DEP_4)
	v_cndmask_b32_e32 v20, v28, v26, vcc_lo
	v_cndmask_b32_e32 v24, v27, v25, vcc_lo
	v_cmp_ne_u32_e32 vcc_lo, 0, v19
	s_delay_alu instid0(VALU_DEP_2) | instskip(NEXT) | instid1(VALU_DEP_4)
	v_cndmask_b32_e32 v19, v3, v24, vcc_lo
	v_cndmask_b32_e32 v20, v23, v20, vcc_lo
.LBB109_61:                             ;   in Loop: Header=BB109_59 Depth=2
	s_and_not1_saveexec_b32 s0, s43
	s_cbranch_execz .LBB109_58
; %bb.62:                               ;   in Loop: Header=BB109_59 Depth=2
	v_cvt_f32_u32_e32 v3, s26
	s_sub_i32 s43, 0, s26
	s_delay_alu instid0(VALU_DEP_1) | instskip(SKIP_2) | instid1(VALU_DEP_1)
	v_rcp_iflag_f32_e32 v3, v3
	s_waitcnt_depctr 0xfff
	v_mul_f32_e32 v3, 0x4f7ffffe, v3
	v_cvt_u32_f32_e32 v3, v3
	s_delay_alu instid0(VALU_DEP_1) | instskip(NEXT) | instid1(VALU_DEP_1)
	v_mul_lo_u32 v19, s43, v3
	v_mul_hi_u32 v19, v3, v19
	s_delay_alu instid0(VALU_DEP_1) | instskip(NEXT) | instid1(VALU_DEP_1)
	v_add_nc_u32_e32 v3, v3, v19
	v_mul_hi_u32 v3, v17, v3
	s_delay_alu instid0(VALU_DEP_1) | instskip(SKIP_1) | instid1(VALU_DEP_2)
	v_mul_lo_u32 v19, v3, s26
	v_add_nc_u32_e32 v20, 1, v3
	v_sub_nc_u32_e32 v19, v17, v19
	s_delay_alu instid0(VALU_DEP_1) | instskip(SKIP_1) | instid1(VALU_DEP_2)
	v_subrev_nc_u32_e32 v23, s26, v19
	v_cmp_le_u32_e32 vcc_lo, s26, v19
	v_cndmask_b32_e32 v19, v19, v23, vcc_lo
	v_cndmask_b32_e32 v3, v3, v20, vcc_lo
	s_delay_alu instid0(VALU_DEP_2) | instskip(NEXT) | instid1(VALU_DEP_2)
	v_cmp_le_u32_e32 vcc_lo, s26, v19
	v_add_nc_u32_e32 v20, 1, v3
	s_delay_alu instid0(VALU_DEP_1)
	v_dual_cndmask_b32 v19, v3, v20 :: v_dual_mov_b32 v20, v2
	s_branch .LBB109_58
.LBB109_63:                             ;   in Loop: Header=BB109_3 Depth=1
	s_delay_alu instid0(VALU_DEP_1) | instskip(SKIP_2) | instid1(VALU_DEP_1)
	v_mad_u64_u32 v[17:18], null, s14, v25, v[23:24]
	v_mul_lo_u32 v3, s14, v26
	v_mul_lo_u32 v23, s15, v25
	v_add3_u32 v18, v23, v18, v3
.LBB109_64:                             ;   in Loop: Header=BB109_3 Depth=1
	s_or_b32 exec_lo, exec_lo, s42
	v_mov_b32_e32 v25, 0
	v_mov_b32_e32 v26, 0
	s_and_saveexec_b32 s1, s0
	s_cbranch_execz .LBB109_67
; %bb.65:                               ;   in Loop: Header=BB109_3 Depth=1
	v_mov_b32_e32 v23, 0
	v_mov_b32_e32 v24, 0
	s_and_not1_b32 vcc_lo, exec_lo, s29
	s_mov_b64 s[24:25], s[22:23]
	s_mov_b32 s42, s34
	s_cbranch_vccz .LBB109_97
.LBB109_66:                             ;   in Loop: Header=BB109_3 Depth=1
	s_delay_alu instid0(VALU_DEP_1) | instskip(NEXT) | instid1(VALU_DEP_2)
	v_mad_u64_u32 v[25:26], null, s2, v21, v[23:24]
	v_mul_lo_u32 v3, s2, v22
	v_mul_lo_u32 v21, s3, v21
	s_delay_alu instid0(VALU_DEP_1)
	v_add3_u32 v26, v21, v26, v3
.LBB109_67:                             ;   in Loop: Header=BB109_3 Depth=1
	s_or_b32 exec_lo, exec_lo, s1
	v_lshlrev_b64 v[11:12], 2, v[11:12]
	v_lshlrev_b64 v[15:16], 2, v[15:16]
	v_lshlrev_b64 v[19:20], 2, v[19:20]
	v_lshlrev_b64 v[21:22], 2, v[25:26]
	s_delay_alu instid0(VALU_DEP_4)
	v_add_co_u32 v11, vcc_lo, s12, v11
	v_add_co_ci_u32_e32 v12, vcc_lo, s13, v12, vcc_lo
	v_add_co_u32 v15, vcc_lo, s12, v15
	v_add_co_ci_u32_e32 v16, vcc_lo, s13, v16, vcc_lo
	;; [unrolled: 2-line block ×4, first 2 shown]
	s_clause 0x3
	global_load_b32 v3, v[11:12], off
	global_load_b32 v33, v[15:16], off
	;; [unrolled: 1-line block ×4, first 2 shown]
	v_dual_mov_b32 v20, s9 :: v_dual_mov_b32 v19, s8
	v_dual_mov_b32 v22, s7 :: v_dual_mov_b32 v21, s6
	s_and_not1_b32 vcc_lo, exec_lo, s30
	s_cbranch_vccnz .LBB109_69
; %bb.68:                               ;   in Loop: Header=BB109_3 Depth=1
	v_dual_mov_b32 v12, s9 :: v_dual_mov_b32 v11, s8
	v_dual_mov_b32 v16, s7 :: v_dual_mov_b32 v15, s6
	flat_load_b64 v[11:12], v[11:12]
	flat_load_b64 v[21:22], v[15:16]
	s_waitcnt vmcnt(1) lgkmcnt(1)
	v_add_co_u32 v19, vcc_lo, v11, s10
	v_add_co_ci_u32_e32 v20, vcc_lo, s11, v12, vcc_lo
.LBB109_69:                             ;   in Loop: Header=BB109_3 Depth=1
	s_delay_alu instid0(VALU_DEP_1)
	v_alignbit_b32 v23, v20, v19, 2
	v_lshrrev_b32_e32 v15, 2, v20
	s_waitcnt vmcnt(0) lgkmcnt(0)
	v_add_nc_u32_e32 v36, 0x9e3779b9, v21
	v_add_nc_u32_e32 v38, 0x3c6ef372, v21
	;; [unrolled: 1-line block ×3, first 2 shown]
	v_add_co_u32 v16, vcc_lo, v23, 1
	s_delay_alu instid0(VALU_DEP_1) | instskip(SKIP_4) | instid1(VALU_DEP_4)
	v_cndmask_b32_e64 v11, 0, 1, vcc_lo
	v_add_co_ci_u32_e32 v20, vcc_lo, 0, v15, vcc_lo
	v_xor3_b32 v25, v0, v21, v15
	v_add_nc_u32_e32 v40, 0x32370b8f, v22
	v_add_nc_u32_e32 v41, 0xed9eba14, v22
	v_cmp_eq_u32_e32 vcc_lo, 0, v20
	v_add_nc_u32_e32 v42, 0x646e171e, v22
	v_add_nc_u32_e32 v43, 0x1fd5c5a3, v22
	s_mov_b32 s0, exec_lo
	v_dual_cndmask_b32 v24, 0, v11 :: v_dual_add_nc_u32 v37, 0xbb67ae85, v22
	v_mad_u64_u32 v[11:12], null, 0xd2511f53, v16, 0
	v_mad_u64_u32 v[15:16], null, 0xd2511f53, v23, 0
	s_delay_alu instid0(VALU_DEP_3) | instskip(NEXT) | instid1(VALU_DEP_3)
	v_add_nc_u32_e32 v27, v24, v1
	v_xor_b32_e32 v12, v12, v22
	s_delay_alu instid0(VALU_DEP_2) | instskip(SKIP_1) | instid1(VALU_DEP_1)
	v_cmp_eq_u32_e32 vcc_lo, 0, v27
	v_cndmask_b32_e32 v24, 0, v24, vcc_lo
	v_xor_b32_e32 v12, v24, v12
	v_mad_u64_u32 v[23:24], null, 0xd2511f53, v25, 0
	v_mad_u64_u32 v[25:26], null, 0xcd9e8d57, v27, 0
	s_delay_alu instid0(VALU_DEP_3) | instskip(SKIP_1) | instid1(VALU_DEP_4)
	v_mad_u64_u32 v[27:28], null, 0xcd9e8d57, v12, 0
	v_xor_b32_e32 v12, v16, v22
	v_xor3_b32 v29, v37, v24, v15
	s_delay_alu instid0(VALU_DEP_2) | instskip(SKIP_2) | instid1(VALU_DEP_4)
	v_mad_u64_u32 v[15:16], null, 0xcd9e8d57, v12, 0
	v_xor3_b32 v12, v26, v21, v20
	v_xor3_b32 v20, v36, v28, v25
	v_mad_u64_u32 v[24:25], null, 0xcd9e8d57, v29, 0
	s_delay_alu instid0(VALU_DEP_3) | instskip(NEXT) | instid1(VALU_DEP_3)
	v_mad_u64_u32 v[28:29], null, 0xd2511f53, v12, 0
	v_mad_u64_u32 v[30:31], null, 0xd2511f53, v20, 0
	v_xor3_b32 v12, v6, v16, v36
	s_delay_alu instid0(VALU_DEP_4) | instskip(SKIP_2) | instid1(VALU_DEP_4)
	v_xor3_b32 v25, v38, v25, v15
	v_add_nc_u32_e32 v20, 0xdaa66d2b, v21
	v_xor3_b32 v29, v37, v29, v11
	v_mad_u64_u32 v[15:16], null, 0xd2511f53, v12, 0
	v_xor3_b32 v31, v39, v31, v28
	v_mad_u64_u32 v[11:12], null, 0xd2511f53, v25, 0
	s_delay_alu instid0(VALU_DEP_4) | instskip(NEXT) | instid1(VALU_DEP_3)
	v_mad_u64_u32 v[25:26], null, 0xcd9e8d57, v29, 0
	v_mad_u64_u32 v[28:29], null, 0xcd9e8d57, v31, 0
	v_xor3_b32 v23, v39, v16, v23
	v_add_nc_u32_e32 v31, 0x78dde6e4, v21
	v_xor3_b32 v12, v40, v12, v15
	s_delay_alu instid0(VALU_DEP_3) | instskip(SKIP_2) | instid1(VALU_DEP_4)
	v_mad_u64_u32 v[15:16], null, 0xcd9e8d57, v23, 0
	v_xor3_b32 v23, v38, v26, v27
	v_xor3_b32 v27, v20, v29, v25
	v_mad_u64_u32 v[25:26], null, 0xcd9e8d57, v12, 0
	s_delay_alu instid0(VALU_DEP_3) | instskip(NEXT) | instid1(VALU_DEP_3)
	v_mad_u64_u32 v[36:37], null, 0xd2511f53, v23, 0
	v_mad_u64_u32 v[38:39], null, 0xd2511f53, v27, 0
	v_xor3_b32 v12, v20, v16, v24
	s_delay_alu instid0(VALU_DEP_4) | instskip(SKIP_2) | instid1(VALU_DEP_4)
	v_xor3_b32 v23, v31, v26, v15
	v_add_nc_u32_e32 v20, 0x1715609d, v21
	v_add_nc_u32_e32 v27, 0xa9066899, v22
	v_mad_u64_u32 v[15:16], null, 0xd2511f53, v12, 0
	v_xor3_b32 v12, v40, v37, v30
	v_xor3_b32 v26, v41, v39, v36
	v_mad_u64_u32 v[29:30], null, 0xd2511f53, v23, 0
	s_delay_alu instid0(VALU_DEP_3) | instskip(NEXT) | instid1(VALU_DEP_3)
	v_mad_u64_u32 v[23:24], null, 0xcd9e8d57, v12, 0
	v_mad_u64_u32 v[36:37], null, 0xcd9e8d57, v26, 0
	v_xor3_b32 v16, v41, v16, v11
	s_delay_alu instid0(VALU_DEP_4) | instskip(SKIP_2) | instid1(VALU_DEP_4)
	v_xor3_b32 v26, v27, v30, v15
	v_add_nc_u32_e32 v41, 0xb54cda56, v21
	v_xor3_b32 v28, v31, v24, v28
	v_mad_u64_u32 v[11:12], null, 0xcd9e8d57, v16, 0
	v_xor3_b32 v30, v20, v37, v23
	v_mad_u64_u32 v[15:16], null, 0xcd9e8d57, v26, 0
	s_delay_alu instid0(VALU_DEP_4) | instskip(NEXT) | instid1(VALU_DEP_3)
	v_mad_u64_u32 v[23:24], null, 0xd2511f53, v28, 0
	v_mad_u64_u32 v[39:40], null, 0xd2511f53, v30, 0
	v_xor3_b32 v20, v20, v12, v25
	v_add_nc_u32_e32 v28, 0x5384540f, v21
	v_xor3_b32 v16, v41, v16, v11
	v_add_nc_u32_e32 v37, 0xdb3d7428, v22
	s_delay_alu instid0(VALU_DEP_4) | instskip(SKIP_4) | instid1(VALU_DEP_4)
	v_mad_u64_u32 v[11:12], null, 0xd2511f53, v20, 0
	v_xor3_b32 v20, v27, v24, v38
	v_xor3_b32 v25, v42, v40, v23
	v_mad_u64_u32 v[23:24], null, 0xd2511f53, v16, 0
	v_add_nc_u32_e32 v38, 0x96a522ad, v22
	v_mad_u64_u32 v[30:31], null, 0xcd9e8d57, v20, 0
	s_delay_alu instid0(VALU_DEP_4) | instskip(SKIP_3) | instid1(VALU_DEP_3)
	v_mad_u64_u32 v[26:27], null, 0xcd9e8d57, v25, 0
	v_xor3_b32 v16, v42, v12, v29
	v_xor3_b32 v29, v43, v24, v11
	v_add_co_u32 v20, null, 0xf1bbcdc8, v21
	v_mad_u64_u32 v[11:12], null, 0xcd9e8d57, v16, 0
	v_xor3_b32 v16, v41, v31, v36
	v_xor3_b32 v27, v28, v27, v30
	v_mad_u64_u32 v[24:25], null, 0xcd9e8d57, v29, 0
	v_and_b32_e32 v36, 3, v19
	s_delay_alu instid0(VALU_DEP_4) | instskip(NEXT) | instid1(VALU_DEP_4)
	v_mad_u64_u32 v[40:41], null, 0xd2511f53, v16, 0
	v_mad_u64_u32 v[29:30], null, 0xd2511f53, v27, 0
	v_xor3_b32 v12, v28, v12, v15
	v_xor3_b32 v15, v20, v25, v11
	s_delay_alu instid0(VALU_DEP_4) | instskip(NEXT) | instid1(VALU_DEP_3)
	v_xor3_b32 v16, v43, v41, v39
	v_mad_u64_u32 v[27:28], null, 0xd2511f53, v12, 0
	v_xor3_b32 v25, v37, v30, v40
	s_delay_alu instid0(VALU_DEP_4) | instskip(NEXT) | instid1(VALU_DEP_4)
	v_mad_u64_u32 v[11:12], null, 0xd2511f53, v15, 0
	v_mad_u64_u32 v[30:31], null, 0xcd9e8d57, v16, 0
	s_delay_alu instid0(VALU_DEP_3) | instskip(SKIP_1) | instid1(VALU_DEP_4)
	v_mad_u64_u32 v[15:16], null, 0xcd9e8d57, v25, 0
	v_add_nc_u32_e32 v25, 0x8ff34781, v21
                                        ; implicit-def: $vgpr21
	v_xor3_b32 v22, v12, v27, v38
	s_delay_alu instid0(VALU_DEP_2)
	v_xor3_b32 v12, v16, v30, v25
	v_cmpx_lt_i32_e32 1, v36
	s_xor_b32 s0, exec_lo, s0
	s_cbranch_execz .LBB109_75
; %bb.70:                               ;   in Loop: Header=BB109_3 Depth=1
	s_mov_b32 s1, exec_lo
                                        ; implicit-def: $vgpr21
	v_cmpx_lt_i32_e32 2, v36
	s_xor_b32 s1, exec_lo, s1
; %bb.71:                               ;   in Loop: Header=BB109_3 Depth=1
	v_xor3_b32 v16, v20, v31, v26
                                        ; implicit-def: $vgpr22
	s_delay_alu instid0(VALU_DEP_1) | instskip(NEXT) | instid1(VALU_DEP_1)
	v_mul_hi_u32 v16, 0xd2511f53, v16
	v_xor3_b32 v21, v16, v29, v38
; %bb.72:                               ;   in Loop: Header=BB109_3 Depth=1
	s_and_not1_saveexec_b32 s1, s1
; %bb.73:                               ;   in Loop: Header=BB109_3 Depth=1
	v_mov_b32_e32 v21, v15
	v_dual_mov_b32 v15, v12 :: v_dual_mov_b32 v12, v11
	v_mov_b32_e32 v11, v22
; %bb.74:                               ;   in Loop: Header=BB109_3 Depth=1
	s_or_b32 exec_lo, exec_lo, s1
                                        ; implicit-def: $vgpr23_vgpr24
                                        ; implicit-def: $vgpr36
                                        ; implicit-def: $vgpr22
                                        ; implicit-def: $vgpr37
                                        ; implicit-def: $vgpr27_vgpr28
                                        ; implicit-def: $vgpr24_vgpr25
                                        ; implicit-def: $vgpr25
.LBB109_75:                             ;   in Loop: Header=BB109_3 Depth=1
	s_and_not1_saveexec_b32 s0, s0
	s_cbranch_execz .LBB109_79
; %bb.76:                               ;   in Loop: Header=BB109_3 Depth=1
	v_xor3_b32 v15, v37, v28, v23
	v_mov_b32_e32 v21, v11
	s_mov_b32 s1, exec_lo
	s_delay_alu instid0(VALU_DEP_2) | instskip(NEXT) | instid1(VALU_DEP_1)
	v_mad_u64_u32 v[19:20], null, 0xcd9e8d57, v15, 0
	v_dual_mov_b32 v15, v22 :: v_dual_mov_b32 v16, v19
	s_delay_alu instid0(VALU_DEP_2)
	v_xor3_b32 v20, v20, v24, v25
	v_cmpx_eq_u32_e32 1, v36
; %bb.77:                               ;   in Loop: Header=BB109_3 Depth=1
	v_dual_mov_b32 v21, v12 :: v_dual_mov_b32 v16, v22
	v_mov_b32_e32 v15, v11
	v_mov_b32_e32 v20, v19
; %bb.78:                               ;   in Loop: Header=BB109_3 Depth=1
	s_or_b32 exec_lo, exec_lo, s1
	s_delay_alu instid0(VALU_DEP_1)
	v_mov_b32_e32 v11, v20
	v_mov_b32_e32 v12, v16
.LBB109_79:                             ;   in Loop: Header=BB109_3 Depth=1
	s_or_b32 exec_lo, exec_lo, s0
	v_min_i32_e32 v16, 4, v32
	s_mov_b32 s1, 0
	s_mov_b32 s43, 0
	;; [unrolled: 1-line block ×3, first 2 shown]
                                        ; implicit-def: $sgpr25
                                        ; implicit-def: $sgpr26
                                        ; implicit-def: $sgpr27
	s_mov_b32 s0, exec_lo
	v_cmpx_lt_i32_e32 2, v16
	s_xor_b32 s42, exec_lo, s0
	s_cbranch_execz .LBB109_91
; %bb.80:                               ;   in Loop: Header=BB109_3 Depth=1
	s_mov_b32 s0, -1
	s_mov_b32 s44, 0
	s_mov_b32 s26, exec_lo
                                        ; implicit-def: $sgpr24
                                        ; implicit-def: $sgpr25
	v_cmpx_lt_i32_e32 3, v16
	s_cbranch_execz .LBB109_86
; %bb.81:                               ;   in Loop: Header=BB109_3 Depth=1
	s_mov_b32 s0, 0
	s_mov_b32 s44, -1
	s_mov_b32 s27, exec_lo
                                        ; implicit-def: $sgpr24
                                        ; implicit-def: $sgpr25
	v_cmpx_eq_u32_e32 4, v16
	s_cbranch_execz .LBB109_85
; %bb.82:                               ;   in Loop: Header=BB109_3 Depth=1
	v_cmp_le_f32_e32 vcc_lo, 0, v35
	v_cmp_ge_f32_e64 s0, 1.0, v35
	s_mov_b32 s24, 0
	s_delay_alu instid0(VALU_DEP_1)
	s_and_b32 s44, vcc_lo, s0
	s_mov_b32 s0, 0
	s_and_saveexec_b32 s25, s44
	s_cbranch_execz .LBB109_84
; %bb.83:                               ;   in Loop: Header=BB109_3 Depth=1
	v_cvt_f32_u32_e32 v19, v21
	v_lshlrev_b64 v[17:18], 1, v[17:18]
	s_mov_b32 s0, exec_lo
	s_delay_alu instid0(VALU_DEP_2) | instskip(NEXT) | instid1(VALU_DEP_2)
	v_fmaak_f32 v19, 0x2f800000, v19, 0x2f800000
	v_add_co_u32 v17, vcc_lo, s16, v17
	s_delay_alu instid0(VALU_DEP_3) | instskip(NEXT) | instid1(VALU_DEP_3)
	v_add_co_ci_u32_e32 v18, vcc_lo, s17, v18, vcc_lo
	v_cmp_le_f32_e32 vcc_lo, v19, v35
	v_cndmask_b32_e64 v19, 0, 1.0, vcc_lo
	global_store_d16_hi_b16 v[17:18], v19, off
.LBB109_84:                             ;   in Loop: Header=BB109_3 Depth=1
	s_or_b32 exec_lo, exec_lo, s25
	s_mov_b32 s25, -1
	s_xor_b32 s44, exec_lo, -1
	s_and_b32 s0, s0, exec_lo
.LBB109_85:                             ;   in Loop: Header=BB109_3 Depth=1
	s_or_b32 exec_lo, exec_lo, s27
	s_delay_alu instid0(SALU_CYCLE_1)
	s_and_b32 s44, s44, exec_lo
	s_or_not1_b32 s0, s0, exec_lo
.LBB109_86:                             ;   in Loop: Header=BB109_3 Depth=1
	s_or_b32 exec_lo, exec_lo, s26
	s_mov_b32 s27, s24
	s_and_saveexec_b32 s26, s0
	s_cbranch_execz .LBB109_90
; %bb.87:                               ;   in Loop: Header=BB109_3 Depth=1
	v_cmp_le_f32_e32 vcc_lo, 0, v34
	v_cmp_ge_f32_e64 s0, 1.0, v34
	s_delay_alu instid0(VALU_DEP_1) | instskip(SKIP_2) | instid1(SALU_CYCLE_1)
	s_and_b32 s27, vcc_lo, s0
	s_mov_b32 s0, 0
	s_and_saveexec_b32 s43, s27
	s_xor_b32 s27, exec_lo, s43
	s_cbranch_execz .LBB109_89
; %bb.88:                               ;   in Loop: Header=BB109_3 Depth=1
	v_cvt_f32_u32_e32 v15, v15
	v_lshlrev_b64 v[13:14], 1, v[13:14]
	s_mov_b32 s0, exec_lo
	s_delay_alu instid0(VALU_DEP_2) | instskip(NEXT) | instid1(VALU_DEP_2)
	v_fmaak_f32 v15, 0x2f800000, v15, 0x2f800000
	v_add_co_u32 v13, vcc_lo, s16, v13
	s_delay_alu instid0(VALU_DEP_3) | instskip(NEXT) | instid1(VALU_DEP_3)
	v_add_co_ci_u32_e32 v14, vcc_lo, s17, v14, vcc_lo
	v_cmp_le_f32_e32 vcc_lo, v15, v34
	v_cndmask_b32_e64 v15, 0, 1.0, vcc_lo
	global_store_d16_hi_b16 v[13:14], v15, off
.LBB109_89:                             ;   in Loop: Header=BB109_3 Depth=1
	s_or_b32 exec_lo, exec_lo, s27
	s_delay_alu instid0(SALU_CYCLE_1)
	s_and_not1_b32 s27, s24, exec_lo
	s_or_b32 s24, s24, exec_lo
	s_and_not1_b32 s25, s25, exec_lo
	s_and_b32 s43, s0, exec_lo
.LBB109_90:                             ;   in Loop: Header=BB109_3 Depth=1
	s_or_b32 exec_lo, exec_lo, s26
	s_delay_alu instid0(SALU_CYCLE_1)
	s_and_b32 s27, s27, exec_lo
	s_and_b32 s26, s24, exec_lo
	;; [unrolled: 1-line block ×5, first 2 shown]
.LBB109_91:                             ;   in Loop: Header=BB109_3 Depth=1
	s_and_not1_saveexec_b32 s0, s42
; %bb.92:                               ;   in Loop: Header=BB109_3 Depth=1
	v_cmp_lt_i32_e32 vcc_lo, 1, v16
	s_and_not1_b32 s42, s43, exec_lo
	s_mov_b32 s1, exec_lo
	s_and_not1_b32 s27, s27, exec_lo
	s_and_not1_b32 s26, s26, exec_lo
	s_and_b32 s43, vcc_lo, exec_lo
	s_and_not1_b32 s25, s25, exec_lo
	s_or_b32 s43, s42, s43
; %bb.93:                               ;   in Loop: Header=BB109_3 Depth=1
	s_or_b32 exec_lo, exec_lo, s0
	s_mov_b32 s0, 0
	s_mov_b32 s42, s27
	s_and_saveexec_b32 s44, s43
	s_cbranch_execnz .LBB109_101
; %bb.94:                               ;   in Loop: Header=BB109_3 Depth=1
	s_or_b32 exec_lo, exec_lo, s44
	s_and_saveexec_b32 s43, s1
	s_cbranch_execnz .LBB109_104
.LBB109_95:                             ;   in Loop: Header=BB109_3 Depth=1
	s_or_b32 exec_lo, exec_lo, s43
	s_and_saveexec_b32 s1, s0
	s_cbranch_execnz .LBB109_105
	s_branch .LBB109_108
.LBB109_96:                             ;   in Loop: Header=BB109_97 Depth=2
	s_or_b32 exec_lo, exec_lo, s0
	s_load_b64 s[44:45], s[24:25], 0xc8
	s_delay_alu instid0(VALU_DEP_1)
	v_mul_lo_u32 v3, v26, s26
	v_mul_lo_u32 v29, v25, s27
	v_mad_u64_u32 v[27:28], null, v25, s26, 0
	s_add_i32 s42, s42, -1
	s_add_u32 s24, s24, -8
	s_addc_u32 s25, s25, -1
	s_cmp_gt_u32 s42, 2
	s_delay_alu instid0(VALU_DEP_1) | instskip(NEXT) | instid1(VALU_DEP_2)
	v_add3_u32 v3, v28, v29, v3
	v_sub_co_u32 v27, vcc_lo, v21, v27
	s_delay_alu instid0(VALU_DEP_2) | instskip(SKIP_1) | instid1(VALU_DEP_2)
	v_sub_co_ci_u32_e32 v3, vcc_lo, v22, v3, vcc_lo
	s_waitcnt lgkmcnt(0)
	v_mul_lo_u32 v28, s45, v27
	s_delay_alu instid0(VALU_DEP_2) | instskip(SKIP_1) | instid1(VALU_DEP_1)
	v_mul_lo_u32 v3, s44, v3
	v_mad_u64_u32 v[21:22], null, s44, v27, v[23:24]
	v_add3_u32 v24, v28, v22, v3
	s_delay_alu instid0(VALU_DEP_2)
	v_mov_b32_e32 v23, v21
	v_dual_mov_b32 v21, v25 :: v_dual_mov_b32 v22, v26
	s_cbranch_scc0 .LBB109_66
.LBB109_97:                             ;   Parent Loop BB109_3 Depth=1
                                        ; =>  This Inner Loop Header: Depth=2
	s_load_b64 s[26:27], s[24:25], 0x0
                                        ; implicit-def: $vgpr25_vgpr26
	s_mov_b32 s0, exec_lo
	s_waitcnt lgkmcnt(0)
	v_or_b32_e32 v3, s27, v22
	s_delay_alu instid0(VALU_DEP_1)
	v_cmpx_ne_u64_e32 0, v[2:3]
	s_xor_b32 s43, exec_lo, s0
	s_cbranch_execz .LBB109_99
; %bb.98:                               ;   in Loop: Header=BB109_97 Depth=2
	v_cvt_f32_u32_e32 v3, s26
	v_cvt_f32_u32_e32 v25, s27
	s_sub_u32 s0, 0, s26
	s_subb_u32 s44, 0, s27
	s_delay_alu instid0(VALU_DEP_1) | instskip(NEXT) | instid1(VALU_DEP_1)
	v_fmac_f32_e32 v3, 0x4f800000, v25
	v_rcp_f32_e32 v3, v3
	s_waitcnt_depctr 0xfff
	v_mul_f32_e32 v3, 0x5f7ffffc, v3
	s_delay_alu instid0(VALU_DEP_1) | instskip(NEXT) | instid1(VALU_DEP_1)
	v_mul_f32_e32 v25, 0x2f800000, v3
	v_trunc_f32_e32 v25, v25
	s_delay_alu instid0(VALU_DEP_1) | instskip(SKIP_1) | instid1(VALU_DEP_2)
	v_fmac_f32_e32 v3, 0xcf800000, v25
	v_cvt_u32_f32_e32 v25, v25
	v_cvt_u32_f32_e32 v3, v3
	s_delay_alu instid0(VALU_DEP_2) | instskip(NEXT) | instid1(VALU_DEP_2)
	v_mul_lo_u32 v26, s0, v25
	v_mul_hi_u32 v27, s0, v3
	v_mul_lo_u32 v28, s44, v3
	s_delay_alu instid0(VALU_DEP_2) | instskip(SKIP_1) | instid1(VALU_DEP_2)
	v_add_nc_u32_e32 v26, v27, v26
	v_mul_lo_u32 v27, s0, v3
	v_add_nc_u32_e32 v26, v26, v28
	s_delay_alu instid0(VALU_DEP_2) | instskip(NEXT) | instid1(VALU_DEP_2)
	v_mul_hi_u32 v28, v3, v27
	v_mul_lo_u32 v29, v3, v26
	v_mul_hi_u32 v30, v3, v26
	v_mul_hi_u32 v31, v25, v27
	v_mul_lo_u32 v27, v25, v27
	v_mul_hi_u32 v33, v25, v26
	v_mul_lo_u32 v26, v25, v26
	v_add_co_u32 v28, vcc_lo, v28, v29
	v_add_co_ci_u32_e32 v29, vcc_lo, 0, v30, vcc_lo
	s_delay_alu instid0(VALU_DEP_2) | instskip(NEXT) | instid1(VALU_DEP_2)
	v_add_co_u32 v27, vcc_lo, v28, v27
	v_add_co_ci_u32_e32 v27, vcc_lo, v29, v31, vcc_lo
	v_add_co_ci_u32_e32 v28, vcc_lo, 0, v33, vcc_lo
	s_delay_alu instid0(VALU_DEP_2) | instskip(NEXT) | instid1(VALU_DEP_2)
	v_add_co_u32 v26, vcc_lo, v27, v26
	v_add_co_ci_u32_e32 v27, vcc_lo, 0, v28, vcc_lo
	s_delay_alu instid0(VALU_DEP_2) | instskip(NEXT) | instid1(VALU_DEP_2)
	v_add_co_u32 v3, vcc_lo, v3, v26
	v_add_co_ci_u32_e32 v25, vcc_lo, v25, v27, vcc_lo
	s_delay_alu instid0(VALU_DEP_2) | instskip(SKIP_1) | instid1(VALU_DEP_3)
	v_mul_hi_u32 v26, s0, v3
	v_mul_lo_u32 v28, s44, v3
	v_mul_lo_u32 v27, s0, v25
	s_delay_alu instid0(VALU_DEP_1) | instskip(SKIP_1) | instid1(VALU_DEP_2)
	v_add_nc_u32_e32 v26, v26, v27
	v_mul_lo_u32 v27, s0, v3
	v_add_nc_u32_e32 v26, v26, v28
	s_delay_alu instid0(VALU_DEP_2) | instskip(NEXT) | instid1(VALU_DEP_2)
	v_mul_hi_u32 v28, v3, v27
	v_mul_lo_u32 v29, v3, v26
	v_mul_hi_u32 v30, v3, v26
	v_mul_hi_u32 v31, v25, v27
	v_mul_lo_u32 v27, v25, v27
	v_mul_hi_u32 v33, v25, v26
	v_mul_lo_u32 v26, v25, v26
	v_add_co_u32 v28, vcc_lo, v28, v29
	v_add_co_ci_u32_e32 v29, vcc_lo, 0, v30, vcc_lo
	s_delay_alu instid0(VALU_DEP_2) | instskip(NEXT) | instid1(VALU_DEP_2)
	v_add_co_u32 v27, vcc_lo, v28, v27
	v_add_co_ci_u32_e32 v27, vcc_lo, v29, v31, vcc_lo
	v_add_co_ci_u32_e32 v28, vcc_lo, 0, v33, vcc_lo
	s_delay_alu instid0(VALU_DEP_2) | instskip(NEXT) | instid1(VALU_DEP_2)
	v_add_co_u32 v26, vcc_lo, v27, v26
	v_add_co_ci_u32_e32 v27, vcc_lo, 0, v28, vcc_lo
	s_delay_alu instid0(VALU_DEP_2) | instskip(NEXT) | instid1(VALU_DEP_2)
	v_add_co_u32 v3, vcc_lo, v3, v26
	v_add_co_ci_u32_e32 v31, vcc_lo, v25, v27, vcc_lo
	s_delay_alu instid0(VALU_DEP_2) | instskip(SKIP_1) | instid1(VALU_DEP_3)
	v_mul_hi_u32 v33, v21, v3
	v_mad_u64_u32 v[27:28], null, v22, v3, 0
	v_mad_u64_u32 v[25:26], null, v21, v31, 0
	;; [unrolled: 1-line block ×3, first 2 shown]
	s_delay_alu instid0(VALU_DEP_2) | instskip(NEXT) | instid1(VALU_DEP_3)
	v_add_co_u32 v3, vcc_lo, v33, v25
	v_add_co_ci_u32_e32 v25, vcc_lo, 0, v26, vcc_lo
	s_delay_alu instid0(VALU_DEP_2) | instskip(NEXT) | instid1(VALU_DEP_2)
	v_add_co_u32 v3, vcc_lo, v3, v27
	v_add_co_ci_u32_e32 v3, vcc_lo, v25, v28, vcc_lo
	v_add_co_ci_u32_e32 v25, vcc_lo, 0, v30, vcc_lo
	s_delay_alu instid0(VALU_DEP_2) | instskip(NEXT) | instid1(VALU_DEP_2)
	v_add_co_u32 v3, vcc_lo, v3, v29
	v_add_co_ci_u32_e32 v27, vcc_lo, 0, v25, vcc_lo
	s_delay_alu instid0(VALU_DEP_2) | instskip(SKIP_1) | instid1(VALU_DEP_3)
	v_mul_lo_u32 v28, s27, v3
	v_mad_u64_u32 v[25:26], null, s26, v3, 0
	v_mul_lo_u32 v29, s26, v27
	s_delay_alu instid0(VALU_DEP_2) | instskip(NEXT) | instid1(VALU_DEP_2)
	v_sub_co_u32 v25, vcc_lo, v21, v25
	v_add3_u32 v26, v26, v29, v28
	s_delay_alu instid0(VALU_DEP_1) | instskip(NEXT) | instid1(VALU_DEP_1)
	v_sub_nc_u32_e32 v28, v22, v26
	v_subrev_co_ci_u32_e64 v28, s0, s27, v28, vcc_lo
	v_add_co_u32 v29, s0, v3, 2
	s_delay_alu instid0(VALU_DEP_1) | instskip(SKIP_3) | instid1(VALU_DEP_3)
	v_add_co_ci_u32_e64 v30, s0, 0, v27, s0
	v_sub_co_u32 v31, s0, v25, s26
	v_sub_co_ci_u32_e32 v26, vcc_lo, v22, v26, vcc_lo
	v_subrev_co_ci_u32_e64 v28, s0, 0, v28, s0
	v_cmp_le_u32_e32 vcc_lo, s26, v31
	s_delay_alu instid0(VALU_DEP_3) | instskip(SKIP_1) | instid1(VALU_DEP_4)
	v_cmp_eq_u32_e64 s0, s27, v26
	v_cndmask_b32_e64 v31, 0, -1, vcc_lo
	v_cmp_le_u32_e32 vcc_lo, s27, v28
	v_cndmask_b32_e64 v33, 0, -1, vcc_lo
	v_cmp_le_u32_e32 vcc_lo, s26, v25
	;; [unrolled: 2-line block ×3, first 2 shown]
	v_cndmask_b32_e64 v34, 0, -1, vcc_lo
	v_cmp_eq_u32_e32 vcc_lo, s27, v28
	s_delay_alu instid0(VALU_DEP_2) | instskip(SKIP_3) | instid1(VALU_DEP_3)
	v_cndmask_b32_e64 v25, v34, v25, s0
	v_cndmask_b32_e32 v28, v33, v31, vcc_lo
	v_add_co_u32 v31, vcc_lo, v3, 1
	v_add_co_ci_u32_e32 v33, vcc_lo, 0, v27, vcc_lo
	v_cmp_ne_u32_e32 vcc_lo, 0, v28
	s_delay_alu instid0(VALU_DEP_3) | instskip(NEXT) | instid1(VALU_DEP_3)
	v_cndmask_b32_e32 v28, v31, v29, vcc_lo
	v_cndmask_b32_e32 v26, v33, v30, vcc_lo
	v_cmp_ne_u32_e32 vcc_lo, 0, v25
	s_delay_alu instid0(VALU_DEP_3) | instskip(NEXT) | instid1(VALU_DEP_3)
	v_cndmask_b32_e32 v25, v3, v28, vcc_lo
	v_cndmask_b32_e32 v26, v27, v26, vcc_lo
.LBB109_99:                             ;   in Loop: Header=BB109_97 Depth=2
	s_and_not1_saveexec_b32 s0, s43
	s_cbranch_execz .LBB109_96
; %bb.100:                              ;   in Loop: Header=BB109_97 Depth=2
	v_cvt_f32_u32_e32 v3, s26
	s_sub_i32 s43, 0, s26
	s_delay_alu instid0(VALU_DEP_1) | instskip(SKIP_2) | instid1(VALU_DEP_1)
	v_rcp_iflag_f32_e32 v3, v3
	s_waitcnt_depctr 0xfff
	v_mul_f32_e32 v3, 0x4f7ffffe, v3
	v_cvt_u32_f32_e32 v3, v3
	s_delay_alu instid0(VALU_DEP_1) | instskip(NEXT) | instid1(VALU_DEP_1)
	v_mul_lo_u32 v25, s43, v3
	v_mul_hi_u32 v25, v3, v25
	s_delay_alu instid0(VALU_DEP_1) | instskip(NEXT) | instid1(VALU_DEP_1)
	v_add_nc_u32_e32 v3, v3, v25
	v_mul_hi_u32 v3, v21, v3
	s_delay_alu instid0(VALU_DEP_1) | instskip(SKIP_1) | instid1(VALU_DEP_2)
	v_mul_lo_u32 v25, v3, s26
	v_add_nc_u32_e32 v26, 1, v3
	v_sub_nc_u32_e32 v25, v21, v25
	s_delay_alu instid0(VALU_DEP_1) | instskip(SKIP_1) | instid1(VALU_DEP_2)
	v_subrev_nc_u32_e32 v27, s26, v25
	v_cmp_le_u32_e32 vcc_lo, s26, v25
	v_cndmask_b32_e32 v25, v25, v27, vcc_lo
	v_cndmask_b32_e32 v3, v3, v26, vcc_lo
	s_delay_alu instid0(VALU_DEP_2) | instskip(NEXT) | instid1(VALU_DEP_2)
	v_cmp_le_u32_e32 vcc_lo, s26, v25
	v_add_nc_u32_e32 v26, 1, v3
	s_delay_alu instid0(VALU_DEP_1)
	v_dual_cndmask_b32 v25, v3, v26 :: v_dual_mov_b32 v26, v2
	s_branch .LBB109_96
.LBB109_101:                            ;   in Loop: Header=BB109_3 Depth=1
	v_cmp_le_f32_e32 vcc_lo, 0, v33
	v_cmp_ge_f32_e64 s0, 1.0, v33
	s_delay_alu instid0(VALU_DEP_1) | instskip(SKIP_2) | instid1(SALU_CYCLE_1)
	s_and_b32 s42, vcc_lo, s0
	s_mov_b32 s0, 0
	s_and_saveexec_b32 s43, s42
	s_xor_b32 s42, exec_lo, s43
	s_cbranch_execz .LBB109_103
; %bb.102:                              ;   in Loop: Header=BB109_3 Depth=1
	v_cvt_f32_u32_e32 v12, v12
	v_lshlrev_b64 v[9:10], 1, v[9:10]
	s_mov_b32 s0, exec_lo
	s_delay_alu instid0(VALU_DEP_2) | instskip(NEXT) | instid1(VALU_DEP_2)
	v_fmaak_f32 v12, 0x2f800000, v12, 0x2f800000
	v_add_co_u32 v9, vcc_lo, s16, v9
	s_delay_alu instid0(VALU_DEP_3) | instskip(NEXT) | instid1(VALU_DEP_3)
	v_add_co_ci_u32_e32 v10, vcc_lo, s17, v10, vcc_lo
	v_cmp_le_f32_e32 vcc_lo, v12, v33
	v_cndmask_b32_e64 v12, 0, 1.0, vcc_lo
	global_store_d16_hi_b16 v[9:10], v12, off
.LBB109_103:                            ;   in Loop: Header=BB109_3 Depth=1
	s_or_b32 exec_lo, exec_lo, s42
	s_delay_alu instid0(SALU_CYCLE_1)
	s_and_not1_b32 s42, s27, exec_lo
	s_or_b32 s27, s27, exec_lo
	s_and_not1_b32 s26, s26, exec_lo
	s_and_not1_b32 s25, s25, exec_lo
	s_and_b32 s0, s0, exec_lo
	s_and_not1_b32 s1, s1, exec_lo
	s_or_b32 exec_lo, exec_lo, s44
	s_and_saveexec_b32 s43, s1
	s_cbranch_execz .LBB109_95
.LBB109_104:                            ;   in Loop: Header=BB109_3 Depth=1
	v_cmp_eq_u32_e32 vcc_lo, 1, v16
	s_and_not1_b32 s0, s0, exec_lo
	s_and_not1_b32 s42, s42, exec_lo
	;; [unrolled: 1-line block ×4, first 2 shown]
	s_and_b32 s1, vcc_lo, exec_lo
	s_and_not1_b32 s25, s25, exec_lo
	s_or_b32 s24, s24, exec_lo
	s_or_b32 s0, s0, s1
	s_or_b32 exec_lo, exec_lo, s43
	s_and_saveexec_b32 s1, s0
	s_cbranch_execz .LBB109_108
.LBB109_105:                            ;   in Loop: Header=BB109_3 Depth=1
	v_cmp_le_f32_e32 vcc_lo, 0, v3
	v_cmp_ge_f32_e64 s0, 1.0, v3
	s_delay_alu instid0(VALU_DEP_1)
	s_and_b32 s44, vcc_lo, s0
	s_mov_b32 s0, 0
	s_and_saveexec_b32 s43, s44
	s_cbranch_execz .LBB109_107
; %bb.106:                              ;   in Loop: Header=BB109_3 Depth=1
	v_cvt_f32_u32_e32 v9, v11
	v_lshlrev_b64 v[7:8], 1, v[7:8]
	s_mov_b32 s0, exec_lo
	s_delay_alu instid0(VALU_DEP_2) | instskip(NEXT) | instid1(VALU_DEP_2)
	v_fmaak_f32 v9, 0x2f800000, v9, 0x2f800000
	v_add_co_u32 v7, vcc_lo, s16, v7
	s_delay_alu instid0(VALU_DEP_3) | instskip(NEXT) | instid1(VALU_DEP_3)
	v_add_co_ci_u32_e32 v8, vcc_lo, s17, v8, vcc_lo
	v_cmp_le_f32_e32 vcc_lo, v9, v3
	v_cndmask_b32_e64 v3, 0, 1.0, vcc_lo
	global_store_d16_hi_b16 v[7:8], v3, off
.LBB109_107:                            ;   in Loop: Header=BB109_3 Depth=1
	s_or_b32 exec_lo, exec_lo, s43
	s_delay_alu instid0(SALU_CYCLE_1)
	s_and_not1_b32 s24, s24, exec_lo
	s_and_b32 s0, s0, exec_lo
	s_or_b32 s42, s42, exec_lo
	s_and_not1_b32 s27, s27, exec_lo
	s_and_not1_b32 s26, s26, exec_lo
	;; [unrolled: 1-line block ×3, first 2 shown]
	s_or_b32 s24, s24, s0
.LBB109_108:                            ;   in Loop: Header=BB109_3 Depth=1
	s_or_b32 exec_lo, exec_lo, s1
	s_delay_alu instid0(SALU_CYCLE_1)
	s_and_not1_b32 s1, s41, exec_lo
	s_and_b32 s41, s42, exec_lo
	s_and_not1_b32 s39, s39, exec_lo
	s_and_b32 s27, s27, exec_lo
	s_or_b32 s41, s1, s41
	s_or_b32 s39, s39, s27
	s_and_not1_b32 s1, s40, exec_lo
	s_and_b32 s26, s26, exec_lo
	s_and_not1_b32 s27, s38, exec_lo
	s_and_b32 s25, s25, exec_lo
	s_mov_b32 s0, -1
	s_or_b32 s40, s1, s26
	s_or_b32 s38, s27, s25
	s_and_saveexec_b32 s1, s24
	s_cbranch_execz .LBB109_2
; %bb.109:                              ;   in Loop: Header=BB109_3 Depth=1
	v_add_co_u32 v4, vcc_lo, v4, s31
	v_add_co_ci_u32_e32 v5, vcc_lo, 0, v5, vcc_lo
	s_and_not1_b32 s41, s41, exec_lo
	s_and_not1_b32 s39, s39, exec_lo
	;; [unrolled: 1-line block ×3, first 2 shown]
	s_delay_alu instid0(VALU_DEP_1)
	v_cmp_le_u64_e32 vcc_lo, s[4:5], v[4:5]
	s_and_not1_b32 s38, s38, exec_lo
	s_or_not1_b32 s0, vcc_lo, exec_lo
	s_branch .LBB109_2
.LBB109_110:
	s_or_b32 exec_lo, exec_lo, s19
	s_xor_b32 s3, s36, -1
	s_xor_b32 s4, s37, -1
	;; [unrolled: 1-line block ×3, first 2 shown]
	s_mov_b32 s1, 0
	s_and_saveexec_b32 s2, s0
	s_delay_alu instid0(SALU_CYCLE_1)
	s_xor_b32 s0, exec_lo, s2
	s_cbranch_execz .LBB109_119
; %bb.111:
	s_mov_b32 s2, 0
	s_and_saveexec_b32 s1, s4
	s_delay_alu instid0(SALU_CYCLE_1)
	s_xor_b32 s1, exec_lo, s1
	s_cbranch_execz .LBB109_117
; %bb.112:
	s_and_saveexec_b32 s4, s3
	s_delay_alu instid0(SALU_CYCLE_1)
	s_xor_b32 s3, exec_lo, s4
	s_cbranch_execz .LBB109_115
; %bb.113:
	s_and_saveexec_b32 s4, s18
	s_delay_alu instid0(SALU_CYCLE_1)
	s_xor_b32 s4, exec_lo, s4
	s_cbranch_execnz .LBB109_133
.LBB109_114:
	s_or_b32 exec_lo, exec_lo, s4
	s_delay_alu instid0(SALU_CYCLE_1)
	s_and_b32 s2, s2, exec_lo
.LBB109_115:
	s_and_not1_saveexec_b32 s3, s3
	s_cbranch_execnz .LBB109_129
.LBB109_116:
	s_or_b32 exec_lo, exec_lo, s3
	s_delay_alu instid0(SALU_CYCLE_1)
	s_and_b32 s2, s2, exec_lo
.LBB109_117:
	s_and_not1_saveexec_b32 s1, s1
	s_cbranch_execnz .LBB109_125
.LBB109_118:
	s_or_b32 exec_lo, exec_lo, s1
	s_delay_alu instid0(SALU_CYCLE_1)
	s_and_b32 s1, s2, exec_lo
.LBB109_119:
	s_and_not1_saveexec_b32 s0, s0
	s_cbranch_execnz .LBB109_123
; %bb.120:
	s_or_b32 exec_lo, exec_lo, s0
	s_delay_alu instid0(SALU_CYCLE_1)
	s_and_b32 exec_lo, exec_lo, s1
.LBB109_121:
	; divergent unreachable
.LBB109_122:
	s_nop 0
	s_sendmsg sendmsg(MSG_DEALLOC_VGPRS)
	s_endpgm
.LBB109_123:
	s_cbranch_execnz .LBB109_127
; %bb.124:
	s_or_b32 s1, s1, exec_lo
	s_or_b32 exec_lo, exec_lo, s0
	s_delay_alu instid0(SALU_CYCLE_1)
	s_and_b32 exec_lo, exec_lo, s1
	s_cbranch_execnz .LBB109_121
	s_branch .LBB109_122
.LBB109_125:
	s_cbranch_execnz .LBB109_131
; %bb.126:
	s_or_b32 s2, s2, exec_lo
	s_branch .LBB109_118
.LBB109_127:
	s_trap 2
	s_sendmsg_rtn_b32 s0, sendmsg(MSG_RTN_GET_DOORBELL)
	s_mov_b32 ttmp2, m0
	s_waitcnt lgkmcnt(0)
	s_and_b32 s0, s0, 0x3ff
	s_delay_alu instid0(SALU_CYCLE_1) | instskip(NEXT) | instid1(SALU_CYCLE_1)
	s_bitset1_b32 s0, 10
	s_mov_b32 m0, s0
	s_sendmsg sendmsg(MSG_INTERRUPT)
	s_mov_b32 m0, ttmp2
.LBB109_128:                            ; =>This Inner Loop Header: Depth=1
	s_sethalt 5
	s_branch .LBB109_128
.LBB109_129:
	s_cbranch_execnz .LBB109_135
; %bb.130:
	s_or_b32 s2, s2, exec_lo
	s_branch .LBB109_116
.LBB109_131:
	s_trap 2
	s_sendmsg_rtn_b32 s0, sendmsg(MSG_RTN_GET_DOORBELL)
	s_mov_b32 ttmp2, m0
	s_waitcnt lgkmcnt(0)
	s_and_b32 s0, s0, 0x3ff
	s_delay_alu instid0(SALU_CYCLE_1) | instskip(NEXT) | instid1(SALU_CYCLE_1)
	s_bitset1_b32 s0, 10
	s_mov_b32 m0, s0
	s_sendmsg sendmsg(MSG_INTERRUPT)
	s_mov_b32 m0, ttmp2
.LBB109_132:                            ; =>This Inner Loop Header: Depth=1
	s_sethalt 5
	s_branch .LBB109_132
.LBB109_133:
	s_cbranch_execnz .LBB109_137
; %bb.134:
	s_mov_b32 s2, exec_lo
	s_branch .LBB109_114
.LBB109_135:
	s_trap 2
	s_sendmsg_rtn_b32 s0, sendmsg(MSG_RTN_GET_DOORBELL)
	s_mov_b32 ttmp2, m0
	s_waitcnt lgkmcnt(0)
	s_and_b32 s0, s0, 0x3ff
	s_delay_alu instid0(SALU_CYCLE_1) | instskip(NEXT) | instid1(SALU_CYCLE_1)
	s_bitset1_b32 s0, 10
	s_mov_b32 m0, s0
	s_sendmsg sendmsg(MSG_INTERRUPT)
	s_mov_b32 m0, ttmp2
.LBB109_136:                            ; =>This Inner Loop Header: Depth=1
	s_sethalt 5
	s_branch .LBB109_136
.LBB109_137:
	s_trap 2
	s_sendmsg_rtn_b32 s0, sendmsg(MSG_RTN_GET_DOORBELL)
	s_mov_b32 ttmp2, m0
	s_waitcnt lgkmcnt(0)
	s_and_b32 s0, s0, 0x3ff
	s_delay_alu instid0(SALU_CYCLE_1) | instskip(NEXT) | instid1(SALU_CYCLE_1)
	s_bitset1_b32 s0, 10
	s_mov_b32 m0, s0
	s_sendmsg sendmsg(MSG_INTERRUPT)
	s_mov_b32 m0, ttmp2
.LBB109_138:                            ; =>This Inner Loop Header: Depth=1
	s_sethalt 5
	s_branch .LBB109_138
	.section	.rodata,"a",@progbits
	.p2align	6, 0x0
	.amdhsa_kernel _ZN2at4cuda12_GLOBAL__N_121kernelPointwiseApply2IZNS_6native9templates4cuda28bernoulli_tensor_cuda_kernelIN3c108BFloat16EfEEvRKNS_10TensorBaseESB_NS_15PhiloxCudaStateEEUliRS8_SD_SD_SD_RKfSF_SF_SF_E_S8_SE_mLin1ELin1ELi4ELi512ELi2EEEvNS0_6detail10TensorInfoIT0_T2_EENSI_IT1_SK_EESK_T_
		.amdhsa_group_segment_fixed_size 0
		.amdhsa_private_segment_fixed_size 0
		.amdhsa_kernarg_size 1128
		.amdhsa_user_sgpr_count 15
		.amdhsa_user_sgpr_dispatch_ptr 0
		.amdhsa_user_sgpr_queue_ptr 0
		.amdhsa_user_sgpr_kernarg_segment_ptr 1
		.amdhsa_user_sgpr_dispatch_id 0
		.amdhsa_user_sgpr_private_segment_size 0
		.amdhsa_wavefront_size32 1
		.amdhsa_uses_dynamic_stack 0
		.amdhsa_enable_private_segment 0
		.amdhsa_system_sgpr_workgroup_id_x 1
		.amdhsa_system_sgpr_workgroup_id_y 0
		.amdhsa_system_sgpr_workgroup_id_z 0
		.amdhsa_system_sgpr_workgroup_info 0
		.amdhsa_system_vgpr_workitem_id 0
		.amdhsa_next_free_vgpr 44
		.amdhsa_next_free_sgpr 46
		.amdhsa_reserve_vcc 1
		.amdhsa_float_round_mode_32 0
		.amdhsa_float_round_mode_16_64 0
		.amdhsa_float_denorm_mode_32 3
		.amdhsa_float_denorm_mode_16_64 3
		.amdhsa_dx10_clamp 1
		.amdhsa_ieee_mode 1
		.amdhsa_fp16_overflow 0
		.amdhsa_workgroup_processor_mode 1
		.amdhsa_memory_ordered 1
		.amdhsa_forward_progress 0
		.amdhsa_shared_vgpr_count 0
		.amdhsa_exception_fp_ieee_invalid_op 0
		.amdhsa_exception_fp_denorm_src 0
		.amdhsa_exception_fp_ieee_div_zero 0
		.amdhsa_exception_fp_ieee_overflow 0
		.amdhsa_exception_fp_ieee_underflow 0
		.amdhsa_exception_fp_ieee_inexact 0
		.amdhsa_exception_int_div_zero 0
	.end_amdhsa_kernel
	.section	.text._ZN2at4cuda12_GLOBAL__N_121kernelPointwiseApply2IZNS_6native9templates4cuda28bernoulli_tensor_cuda_kernelIN3c108BFloat16EfEEvRKNS_10TensorBaseESB_NS_15PhiloxCudaStateEEUliRS8_SD_SD_SD_RKfSF_SF_SF_E_S8_SE_mLin1ELin1ELi4ELi512ELi2EEEvNS0_6detail10TensorInfoIT0_T2_EENSI_IT1_SK_EESK_T_,"axG",@progbits,_ZN2at4cuda12_GLOBAL__N_121kernelPointwiseApply2IZNS_6native9templates4cuda28bernoulli_tensor_cuda_kernelIN3c108BFloat16EfEEvRKNS_10TensorBaseESB_NS_15PhiloxCudaStateEEUliRS8_SD_SD_SD_RKfSF_SF_SF_E_S8_SE_mLin1ELin1ELi4ELi512ELi2EEEvNS0_6detail10TensorInfoIT0_T2_EENSI_IT1_SK_EESK_T_,comdat
.Lfunc_end109:
	.size	_ZN2at4cuda12_GLOBAL__N_121kernelPointwiseApply2IZNS_6native9templates4cuda28bernoulli_tensor_cuda_kernelIN3c108BFloat16EfEEvRKNS_10TensorBaseESB_NS_15PhiloxCudaStateEEUliRS8_SD_SD_SD_RKfSF_SF_SF_E_S8_SE_mLin1ELin1ELi4ELi512ELi2EEEvNS0_6detail10TensorInfoIT0_T2_EENSI_IT1_SK_EESK_T_, .Lfunc_end109-_ZN2at4cuda12_GLOBAL__N_121kernelPointwiseApply2IZNS_6native9templates4cuda28bernoulli_tensor_cuda_kernelIN3c108BFloat16EfEEvRKNS_10TensorBaseESB_NS_15PhiloxCudaStateEEUliRS8_SD_SD_SD_RKfSF_SF_SF_E_S8_SE_mLin1ELin1ELi4ELi512ELi2EEEvNS0_6detail10TensorInfoIT0_T2_EENSI_IT1_SK_EESK_T_
                                        ; -- End function
	.section	.AMDGPU.csdata,"",@progbits
; Kernel info:
; codeLenInByte = 12420
; NumSgprs: 48
; NumVgprs: 44
; ScratchSize: 0
; MemoryBound: 0
; FloatMode: 240
; IeeeMode: 1
; LDSByteSize: 0 bytes/workgroup (compile time only)
; SGPRBlocks: 5
; VGPRBlocks: 5
; NumSGPRsForWavesPerEU: 48
; NumVGPRsForWavesPerEU: 44
; Occupancy: 16
; WaveLimiterHint : 1
; COMPUTE_PGM_RSRC2:SCRATCH_EN: 0
; COMPUTE_PGM_RSRC2:USER_SGPR: 15
; COMPUTE_PGM_RSRC2:TRAP_HANDLER: 0
; COMPUTE_PGM_RSRC2:TGID_X_EN: 1
; COMPUTE_PGM_RSRC2:TGID_Y_EN: 0
; COMPUTE_PGM_RSRC2:TGID_Z_EN: 0
; COMPUTE_PGM_RSRC2:TIDIG_COMP_CNT: 0
	.section	.text._ZN2at4cuda12_GLOBAL__N_121kernelPointwiseApply2IZNS_6native9templates4cuda28bernoulli_tensor_cuda_kernelIbfEEvRKNS_10TensorBaseES9_NS_15PhiloxCudaStateEEUliRbSB_SB_SB_RKfSD_SD_SD_E_bSC_jLi1ELi1ELi4ELi512ELi2EEEvNS0_6detail10TensorInfoIT0_T2_EENSG_IT1_SI_EESI_T_,"axG",@progbits,_ZN2at4cuda12_GLOBAL__N_121kernelPointwiseApply2IZNS_6native9templates4cuda28bernoulli_tensor_cuda_kernelIbfEEvRKNS_10TensorBaseES9_NS_15PhiloxCudaStateEEUliRbSB_SB_SB_RKfSD_SD_SD_E_bSC_jLi1ELi1ELi4ELi512ELi2EEEvNS0_6detail10TensorInfoIT0_T2_EENSG_IT1_SI_EESI_T_,comdat
	.globl	_ZN2at4cuda12_GLOBAL__N_121kernelPointwiseApply2IZNS_6native9templates4cuda28bernoulli_tensor_cuda_kernelIbfEEvRKNS_10TensorBaseES9_NS_15PhiloxCudaStateEEUliRbSB_SB_SB_RKfSD_SD_SD_E_bSC_jLi1ELi1ELi4ELi512ELi2EEEvNS0_6detail10TensorInfoIT0_T2_EENSG_IT1_SI_EESI_T_ ; -- Begin function _ZN2at4cuda12_GLOBAL__N_121kernelPointwiseApply2IZNS_6native9templates4cuda28bernoulli_tensor_cuda_kernelIbfEEvRKNS_10TensorBaseES9_NS_15PhiloxCudaStateEEUliRbSB_SB_SB_RKfSD_SD_SD_E_bSC_jLi1ELi1ELi4ELi512ELi2EEEvNS0_6detail10TensorInfoIT0_T2_EENSG_IT1_SI_EESI_T_
	.p2align	8
	.type	_ZN2at4cuda12_GLOBAL__N_121kernelPointwiseApply2IZNS_6native9templates4cuda28bernoulli_tensor_cuda_kernelIbfEEvRKNS_10TensorBaseES9_NS_15PhiloxCudaStateEEUliRbSB_SB_SB_RKfSD_SD_SD_E_bSC_jLi1ELi1ELi4ELi512ELi2EEEvNS0_6detail10TensorInfoIT0_T2_EENSG_IT1_SI_EESI_T_,@function
_ZN2at4cuda12_GLOBAL__N_121kernelPointwiseApply2IZNS_6native9templates4cuda28bernoulli_tensor_cuda_kernelIbfEEvRKNS_10TensorBaseES9_NS_15PhiloxCudaStateEEUliRbSB_SB_SB_RKfSD_SD_SD_E_bSC_jLi1ELi1ELi4ELi512ELi2EEEvNS0_6detail10TensorInfoIT0_T2_EENSG_IT1_SI_EESI_T_: ; @_ZN2at4cuda12_GLOBAL__N_121kernelPointwiseApply2IZNS_6native9templates4cuda28bernoulli_tensor_cuda_kernelIbfEEvRKNS_10TensorBaseES9_NS_15PhiloxCudaStateEEUliRbSB_SB_SB_RKfSD_SD_SD_E_bSC_jLi1ELi1ELi4ELi512ELi2EEEvNS0_6detail10TensorInfoIT0_T2_EENSG_IT1_SI_EESI_T_
; %bb.0:
	s_clause 0x1
	s_load_b32 s4, s[0:1], 0x1e4
	s_load_b32 s5, s[0:1], 0x1b0
	s_add_u32 s2, s0, 0x1d8
	s_addc_u32 s3, s1, 0
	s_mov_b32 s6, exec_lo
	s_waitcnt lgkmcnt(0)
	s_and_b32 s4, s4, 0xffff
	s_delay_alu instid0(SALU_CYCLE_1) | instskip(NEXT) | instid1(VALU_DEP_1)
	v_mad_u64_u32 v[1:2], null, s15, s4, v[0:1]
	v_lshlrev_b32_e32 v0, 2, v1
	s_delay_alu instid0(VALU_DEP_1)
	v_cmpx_gt_u32_e64 s5, v0
	s_cbranch_execz .LBB110_51
; %bb.1:
	s_load_b32 s3, s[2:3], 0x0
	s_clause 0x4
	s_load_b32 s17, s[0:1], 0x1d0
	s_load_b32 s2, s[0:1], 0x6c
	;; [unrolled: 1-line block ×3, first 2 shown]
	s_load_b64 s[6:7], s[0:1], 0x0
	s_load_b64 s[12:13], s[0:1], 0xd8
	v_mad_u64_u32 v[2:3], null, 0xcd9e8d57, v1, 0
	s_clause 0x1
	s_load_b64 s[14:15], s[0:1], 0x1c8
	s_load_b128 s[8:11], s[0:1], 0x1b8
	v_dual_mov_b32 v4, 0 :: v_dual_add_nc_u32 v9, 3, v0
	v_add_nc_u32_e32 v8, 2, v0
	v_sub_nc_u32_e32 v24, s5, v0
	s_mov_b32 s16, 0
	v_mov_b32_e32 v25, v3
	s_mov_b32 s24, 0
                                        ; implicit-def: $sgpr26
                                        ; implicit-def: $sgpr25
                                        ; implicit-def: $sgpr27
                                        ; implicit-def: $sgpr29
                                        ; implicit-def: $sgpr28
                                        ; implicit-def: $sgpr30
	s_waitcnt lgkmcnt(0)
	s_mul_i32 s0, s3, s4
	s_bitcmp1_b32 s17, 0
	v_mul_lo_u32 v3, s2, v1
	v_mul_lo_u32 v10, s22, v1
	v_mad_u64_u32 v[5:6], null, s2, v0, s[2:3]
	v_mul_lo_u32 v26, s2, v8
	v_mul_lo_u32 v27, s2, v9
	v_mad_u64_u32 v[6:7], null, s22, v0, s[22:23]
	v_mul_lo_u32 v29, s22, v8
	v_mul_lo_u32 v30, s22, v9
	v_lshlrev_b32_e32 v28, 2, v3
	v_lshlrev_b32_e32 v31, 2, v10
	s_mul_i32 s1, s0, s2
	s_cselect_b32 s18, -1, 0
	s_lshl_b32 s19, s0, 2
	s_mul_i32 s0, s0, s22
	s_lshl_b32 s20, s1, 2
	s_lshl_b32 s21, s0, 2
	s_mov_b32 s22, 0
                                        ; implicit-def: $sgpr23
                                        ; implicit-def: $sgpr17
	s_branch .LBB110_3
.LBB110_2:                              ;   in Loop: Header=BB110_3 Depth=1
	s_or_b32 exec_lo, exec_lo, s1
	s_delay_alu instid0(SALU_CYCLE_1) | instskip(NEXT) | instid1(SALU_CYCLE_1)
	s_and_b32 s0, exec_lo, s0
	s_or_b32 s16, s0, s16
	s_and_not1_b32 s0, s17, exec_lo
	s_and_b32 s1, s30, exec_lo
	s_and_not1_b32 s2, s25, exec_lo
	s_and_b32 s3, s28, exec_lo
	s_or_b32 s17, s0, s1
	s_or_b32 s25, s2, s3
	s_and_not1_b32 s0, s26, exec_lo
	s_and_b32 s1, s29, exec_lo
	s_and_not1_b32 s2, s23, exec_lo
	s_and_b32 s3, s27, exec_lo
	s_or_b32 s26, s0, s1
	s_or_b32 s23, s2, s3
	s_and_not1_b32 exec_lo, exec_lo, s16
	s_cbranch_execz .LBB110_39
.LBB110_3:                              ; =>This Inner Loop Header: Depth=1
	v_add_nc_u32_e32 v3, s22, v31
	v_cmp_lt_i32_e64 s0, 0, v24
	v_add_nc_u32_e32 v9, s22, v6
	v_cmp_lt_i32_e64 s1, 1, v24
	;; [unrolled: 2-line block ×3, first 2 shown]
	v_cndmask_b32_e64 v3, 0, v3, s0
	v_add_nc_u32_e32 v13, s22, v30
	v_cmp_lt_i32_e64 s3, 3, v24
	s_delay_alu instid0(VALU_DEP_3) | instskip(SKIP_1) | instid1(VALU_DEP_1)
	v_lshlrev_b64 v[7:8], 2, v[3:4]
	v_cndmask_b32_e64 v3, 0, v9, s1
	v_lshlrev_b64 v[9:10], 2, v[3:4]
	v_cndmask_b32_e64 v3, 0, v11, s2
	s_delay_alu instid0(VALU_DEP_4) | instskip(SKIP_1) | instid1(VALU_DEP_3)
	v_add_co_u32 v7, vcc_lo, s12, v7
	v_add_co_ci_u32_e32 v8, vcc_lo, s13, v8, vcc_lo
	v_lshlrev_b64 v[11:12], 2, v[3:4]
	v_cndmask_b32_e64 v3, 0, v13, s3
	v_add_co_u32 v9, vcc_lo, s12, v9
	v_add_co_ci_u32_e32 v10, vcc_lo, s13, v10, vcc_lo
	s_delay_alu instid0(VALU_DEP_3) | instskip(SKIP_2) | instid1(VALU_DEP_3)
	v_lshlrev_b64 v[13:14], 2, v[3:4]
	v_add_co_u32 v11, vcc_lo, s12, v11
	v_add_co_ci_u32_e32 v12, vcc_lo, s13, v12, vcc_lo
	v_add_co_u32 v13, vcc_lo, s12, v13
	s_delay_alu instid0(VALU_DEP_4)
	v_add_co_ci_u32_e32 v14, vcc_lo, s13, v14, vcc_lo
	s_clause 0x3
	global_load_b32 v3, v[7:8], off
	global_load_b32 v32, v[9:10], off
	;; [unrolled: 1-line block ×4, first 2 shown]
	v_mov_b32_e32 v14, s9
	v_dual_mov_b32 v12, s11 :: v_dual_mov_b32 v11, s10
	v_mov_b32_e32 v13, s8
	s_and_not1_b32 vcc_lo, exec_lo, s18
	s_cbranch_vccnz .LBB110_5
; %bb.4:                                ;   in Loop: Header=BB110_3 Depth=1
	v_dual_mov_b32 v7, s10 :: v_dual_mov_b32 v8, s11
	v_dual_mov_b32 v10, s9 :: v_dual_mov_b32 v9, s8
	flat_load_b64 v[7:8], v[7:8]
	flat_load_b64 v[13:14], v[9:10]
	s_waitcnt vmcnt(1) lgkmcnt(1)
	v_add_co_u32 v11, vcc_lo, v7, s14
	v_add_co_ci_u32_e32 v12, vcc_lo, s15, v8, vcc_lo
.LBB110_5:                              ;   in Loop: Header=BB110_3 Depth=1
	s_delay_alu instid0(VALU_DEP_1)
	v_alignbit_b32 v10, v12, v11, 2
	v_lshrrev_b32_e32 v9, 2, v12
	s_waitcnt vmcnt(0) lgkmcnt(0)
	v_add_nc_u32_e32 v35, 0x9e3779b9, v13
	v_add_nc_u32_e32 v37, 0x76cf5d0a, v14
	;; [unrolled: 1-line block ×3, first 2 shown]
	v_add_co_u32 v12, vcc_lo, v10, 1
	s_delay_alu instid0(VALU_DEP_1) | instskip(SKIP_4) | instid1(VALU_DEP_4)
	v_cndmask_b32_e64 v7, 0, 1, vcc_lo
	v_add_co_ci_u32_e32 v21, vcc_lo, 0, v9, vcc_lo
	v_xor3_b32 v17, v25, v13, v9
	v_add_nc_u32_e32 v39, 0x32370b8f, v14
	v_add_nc_u32_e32 v40, 0xed9eba14, v14
	v_cmp_eq_u32_e32 vcc_lo, 0, v21
	v_add_nc_u32_e32 v41, 0x1715609d, v13
	v_add_nc_u32_e32 v42, 0xa9066899, v14
	s_mov_b32 s4, exec_lo
	v_dual_cndmask_b32 v15, 0, v7 :: v_dual_add_nc_u32 v36, 0xbb67ae85, v14
	v_mad_u64_u32 v[7:8], null, 0xd2511f53, v12, 0
	s_delay_alu instid0(VALU_DEP_2) | instskip(NEXT) | instid1(VALU_DEP_2)
	v_add_nc_u32_e32 v12, v15, v1
	v_xor_b32_e32 v16, v8, v14
	s_delay_alu instid0(VALU_DEP_2) | instskip(SKIP_2) | instid1(VALU_DEP_1)
	v_cmp_eq_u32_e32 vcc_lo, 0, v12
	v_mad_u64_u32 v[8:9], null, 0xd2511f53, v10, 0
	v_cndmask_b32_e32 v15, 0, v15, vcc_lo
	v_xor_b32_e32 v10, v15, v16
	v_mad_u64_u32 v[15:16], null, 0xd2511f53, v17, 0
	v_mad_u64_u32 v[17:18], null, 0xcd9e8d57, v12, 0
	s_delay_alu instid0(VALU_DEP_3) | instskip(SKIP_3) | instid1(VALU_DEP_3)
	v_mad_u64_u32 v[19:20], null, 0xcd9e8d57, v10, 0
	v_xor_b32_e32 v10, v9, v14
	v_add_nc_u32_e32 v12, 0x3c6ef372, v13
	v_xor3_b32 v22, v36, v16, v8
	v_mad_u64_u32 v[8:9], null, 0xcd9e8d57, v10, 0
	v_xor3_b32 v10, v18, v13, v21
	v_xor3_b32 v18, v35, v20, v17
	s_delay_alu instid0(VALU_DEP_4) | instskip(NEXT) | instid1(VALU_DEP_3)
	v_mad_u64_u32 v[16:17], null, 0xcd9e8d57, v22, 0
	v_mad_u64_u32 v[20:21], null, 0xd2511f53, v10, 0
	s_delay_alu instid0(VALU_DEP_3) | instskip(SKIP_1) | instid1(VALU_DEP_4)
	v_mad_u64_u32 v[22:23], null, 0xd2511f53, v18, 0
	v_xor3_b32 v10, v2, v9, v35
	v_xor3_b32 v35, v12, v17, v8
	s_delay_alu instid0(VALU_DEP_4) | instskip(NEXT) | instid1(VALU_DEP_3)
	v_xor3_b32 v7, v36, v21, v7
	v_mad_u64_u32 v[8:9], null, 0xd2511f53, v10, 0
	v_xor3_b32 v10, v37, v23, v20
	s_delay_alu instid0(VALU_DEP_4) | instskip(NEXT) | instid1(VALU_DEP_4)
	v_mad_u64_u32 v[17:18], null, 0xd2511f53, v35, 0
	v_mad_u64_u32 v[20:21], null, 0xcd9e8d57, v7, 0
	s_delay_alu instid0(VALU_DEP_3) | instskip(SKIP_4) | instid1(VALU_DEP_4)
	v_mad_u64_u32 v[35:36], null, 0xcd9e8d57, v10, 0
	v_xor3_b32 v9, v37, v9, v15
	v_add_nc_u32_e32 v23, 0x78dde6e4, v13
	v_xor3_b32 v15, v39, v18, v8
	v_xor3_b32 v12, v12, v21, v19
	v_mad_u64_u32 v[7:8], null, 0xcd9e8d57, v9, 0
	v_xor3_b32 v36, v38, v36, v20
	s_delay_alu instid0(VALU_DEP_4) | instskip(NEXT) | instid1(VALU_DEP_4)
	v_mad_u64_u32 v[9:10], null, 0xcd9e8d57, v15, 0
	v_mad_u64_u32 v[18:19], null, 0xd2511f53, v12, 0
	s_delay_alu instid0(VALU_DEP_3) | instskip(SKIP_1) | instid1(VALU_DEP_4)
	v_mad_u64_u32 v[20:21], null, 0xd2511f53, v36, 0
	v_xor3_b32 v12, v38, v8, v16
	v_xor3_b32 v10, v23, v10, v7
	s_delay_alu instid0(VALU_DEP_2) | instskip(SKIP_2) | instid1(VALU_DEP_4)
	v_mad_u64_u32 v[7:8], null, 0xd2511f53, v12, 0
	v_xor3_b32 v12, v39, v19, v22
	v_xor3_b32 v18, v40, v21, v18
	v_mad_u64_u32 v[21:22], null, 0xd2511f53, v10, 0
	s_delay_alu instid0(VALU_DEP_3) | instskip(NEXT) | instid1(VALU_DEP_3)
	v_mad_u64_u32 v[15:16], null, 0xcd9e8d57, v12, 0
	v_mad_u64_u32 v[36:37], null, 0xcd9e8d57, v18, 0
	v_xor3_b32 v10, v40, v8, v17
	s_delay_alu instid0(VALU_DEP_4) | instskip(SKIP_2) | instid1(VALU_DEP_4)
	v_xor3_b32 v18, v42, v22, v7
	v_add_nc_u32_e32 v12, 0xb54cda56, v13
	v_add_nc_u32_e32 v17, 0x646e171e, v14
	v_mad_u64_u32 v[7:8], null, 0xcd9e8d57, v10, 0
	v_xor3_b32 v10, v23, v16, v35
	v_xor3_b32 v19, v41, v37, v15
	v_mad_u64_u32 v[37:38], null, 0xcd9e8d57, v18, 0
	v_add_nc_u32_e32 v23, 0x5384540f, v13
	s_delay_alu instid0(VALU_DEP_4) | instskip(NEXT) | instid1(VALU_DEP_4)
	v_mad_u64_u32 v[15:16], null, 0xd2511f53, v10, 0
	v_mad_u64_u32 v[39:40], null, 0xd2511f53, v19, 0
	v_xor3_b32 v9, v41, v8, v9
	v_xor3_b32 v10, v12, v38, v7
	v_add_nc_u32_e32 v41, 0x1fd5c5a3, v14
	v_add_co_u32 v35, null, 0xf1bbcdc8, v13
	v_xor3_b32 v18, v42, v16, v20
	v_xor3_b32 v20, v17, v40, v15
	v_mad_u64_u32 v[7:8], null, 0xd2511f53, v9, 0
	v_mad_u64_u32 v[15:16], null, 0xd2511f53, v10, 0
	s_delay_alu instid0(VALU_DEP_4) | instskip(NEXT) | instid1(VALU_DEP_4)
	v_mad_u64_u32 v[9:10], null, 0xcd9e8d57, v18, 0
	v_mad_u64_u32 v[18:19], null, 0xcd9e8d57, v20, 0
	s_delay_alu instid0(VALU_DEP_4) | instskip(NEXT) | instid1(VALU_DEP_4)
	v_xor3_b32 v17, v17, v8, v21
	v_xor3_b32 v20, v41, v16, v7
	s_delay_alu instid0(VALU_DEP_4) | instskip(NEXT) | instid1(VALU_DEP_3)
	v_xor3_b32 v12, v12, v10, v36
	v_mad_u64_u32 v[7:8], null, 0xcd9e8d57, v17, 0
	v_xor3_b32 v19, v23, v19, v9
	s_delay_alu instid0(VALU_DEP_4) | instskip(NEXT) | instid1(VALU_DEP_4)
	v_mad_u64_u32 v[16:17], null, 0xcd9e8d57, v20, 0
	v_mad_u64_u32 v[9:10], null, 0xd2511f53, v12, 0
	s_delay_alu instid0(VALU_DEP_3)
	v_mad_u64_u32 v[21:22], null, 0xd2511f53, v19, 0
	v_add_nc_u32_e32 v36, 0xdb3d7428, v14
	v_xor3_b32 v8, v23, v8, v37
	v_xor3_b32 v12, v35, v17, v7
	v_add_nc_u32_e32 v37, 0x96a522ad, v14
	v_xor3_b32 v10, v41, v10, v39
	v_and_b32_e32 v14, 3, v11
	v_xor3_b32 v17, v36, v22, v9
	v_mad_u64_u32 v[19:20], null, 0xd2511f53, v8, 0
	v_mad_u64_u32 v[7:8], null, 0xd2511f53, v12, 0
	;; [unrolled: 1-line block ×3, first 2 shown]
	s_delay_alu instid0(VALU_DEP_4) | instskip(SKIP_1) | instid1(VALU_DEP_4)
	v_mad_u64_u32 v[9:10], null, 0xcd9e8d57, v17, 0
	v_add_nc_u32_e32 v17, 0x8ff34781, v13
                                        ; implicit-def: $vgpr12
	v_xor3_b32 v13, v8, v19, v37
	s_delay_alu instid0(VALU_DEP_2)
	v_xor3_b32 v8, v10, v22, v17
	v_cmpx_lt_i32_e32 1, v14
	s_xor_b32 s4, exec_lo, s4
	s_cbranch_execz .LBB110_11
; %bb.6:                                ;   in Loop: Header=BB110_3 Depth=1
	s_mov_b32 s31, exec_lo
                                        ; implicit-def: $vgpr12
	v_cmpx_lt_i32_e32 2, v14
	s_xor_b32 s31, exec_lo, s31
; %bb.7:                                ;   in Loop: Header=BB110_3 Depth=1
	v_xor3_b32 v10, v35, v23, v18
                                        ; implicit-def: $vgpr13
	s_delay_alu instid0(VALU_DEP_1) | instskip(NEXT) | instid1(VALU_DEP_1)
	v_mul_hi_u32 v10, 0xd2511f53, v10
	v_xor3_b32 v12, v10, v21, v37
; %bb.8:                                ;   in Loop: Header=BB110_3 Depth=1
	s_and_not1_saveexec_b32 s31, s31
; %bb.9:                                ;   in Loop: Header=BB110_3 Depth=1
	v_dual_mov_b32 v12, v9 :: v_dual_mov_b32 v9, v8
	v_dual_mov_b32 v8, v7 :: v_dual_mov_b32 v7, v13
; %bb.10:                               ;   in Loop: Header=BB110_3 Depth=1
	s_or_b32 exec_lo, exec_lo, s31
                                        ; implicit-def: $vgpr15_vgpr16
                                        ; implicit-def: $vgpr14
                                        ; implicit-def: $vgpr13
                                        ; implicit-def: $vgpr36
                                        ; implicit-def: $vgpr19_vgpr20
                                        ; implicit-def: $vgpr16_vgpr17
                                        ; implicit-def: $vgpr17
.LBB110_11:                             ;   in Loop: Header=BB110_3 Depth=1
	s_and_not1_saveexec_b32 s4, s4
	s_cbranch_execz .LBB110_15
; %bb.12:                               ;   in Loop: Header=BB110_3 Depth=1
	v_xor3_b32 v9, v36, v20, v15
	v_cmp_eq_u32_e32 vcc_lo, 1, v14
	v_mov_b32_e32 v12, v7
	s_delay_alu instid0(VALU_DEP_3) | instskip(SKIP_1) | instid1(VALU_DEP_2)
	v_mad_u64_u32 v[10:11], null, 0xcd9e8d57, v9, 0
	v_mov_b32_e32 v9, v13
	v_xor3_b32 v14, v11, v16, v17
	s_delay_alu instid0(VALU_DEP_3)
	v_mov_b32_e32 v11, v10
	s_and_saveexec_b32 s31, vcc_lo
; %bb.13:                               ;   in Loop: Header=BB110_3 Depth=1
	v_dual_mov_b32 v12, v8 :: v_dual_mov_b32 v9, v7
	v_dual_mov_b32 v11, v13 :: v_dual_mov_b32 v14, v10
; %bb.14:                               ;   in Loop: Header=BB110_3 Depth=1
	s_or_b32 exec_lo, exec_lo, s31
	s_delay_alu instid0(VALU_DEP_1)
	v_dual_mov_b32 v7, v14 :: v_dual_mov_b32 v8, v11
.LBB110_15:                             ;   in Loop: Header=BB110_3 Depth=1
	s_or_b32 exec_lo, exec_lo, s4
	v_min_i32_e32 v10, 4, v24
	s_mov_b32 s31, 0
	s_mov_b32 s36, 0
	s_mov_b32 s35, exec_lo
                                        ; implicit-def: $sgpr4
                                        ; implicit-def: $sgpr33
                                        ; implicit-def: $sgpr34
	s_delay_alu instid0(VALU_DEP_1)
	v_cmpx_lt_i32_e32 2, v10
	s_xor_b32 s35, exec_lo, s35
	s_cbranch_execz .LBB110_25
; %bb.16:                               ;   in Loop: Header=BB110_3 Depth=1
	s_mov_b32 s36, -1
	s_mov_b32 s34, exec_lo
                                        ; implicit-def: $sgpr33
                                        ; implicit-def: $sgpr4
	v_cmpx_lt_i32_e32 3, v10
	s_cbranch_execz .LBB110_20
; %bb.17:                               ;   in Loop: Header=BB110_3 Depth=1
	v_cmp_le_f32_e32 vcc_lo, 0, v34
	v_cmp_ge_f32_e64 s4, 1.0, v34
	s_mov_b32 s33, 0
	s_mov_b32 s36, 0
	s_delay_alu instid0(VALU_DEP_1) | instskip(NEXT) | instid1(SALU_CYCLE_1)
	s_and_b32 s37, vcc_lo, s4
	s_and_saveexec_b32 s4, s37
	s_cbranch_execz .LBB110_19
; %bb.18:                               ;   in Loop: Header=BB110_3 Depth=1
	v_cvt_f32_u32_e32 v11, v12
	v_add_nc_u32_e32 v12, s24, v27
	s_mov_b32 s36, exec_lo
	s_delay_alu instid0(VALU_DEP_2) | instskip(NEXT) | instid1(VALU_DEP_2)
	v_fmaak_f32 v11, 0x2f800000, v11, 0x2f800000
	v_cndmask_b32_e64 v12, 0, v12, s3
	s_delay_alu instid0(VALU_DEP_2)
	v_cmp_le_f32_e32 vcc_lo, v11, v34
	v_cndmask_b32_e64 v11, 0, 1, vcc_lo
	global_store_b8 v12, v11, s[6:7]
.LBB110_19:                             ;   in Loop: Header=BB110_3 Depth=1
	s_or_b32 exec_lo, exec_lo, s4
	s_mov_b32 s4, -1
	s_or_not1_b32 s36, s36, exec_lo
.LBB110_20:                             ;   in Loop: Header=BB110_3 Depth=1
	s_or_b32 exec_lo, exec_lo, s34
	s_mov_b32 s3, 0
	s_mov_b32 s37, s33
	s_and_saveexec_b32 s34, s36
	s_cbranch_execz .LBB110_24
; %bb.21:                               ;   in Loop: Header=BB110_3 Depth=1
	v_cmp_le_f32_e32 vcc_lo, 0, v33
	v_cmp_ge_f32_e64 s3, 1.0, v33
	s_delay_alu instid0(VALU_DEP_1) | instskip(SKIP_2) | instid1(SALU_CYCLE_1)
	s_and_b32 s36, vcc_lo, s3
	s_mov_b32 s3, 0
	s_and_saveexec_b32 s37, s36
	s_xor_b32 s36, exec_lo, s37
	s_cbranch_execz .LBB110_23
; %bb.22:                               ;   in Loop: Header=BB110_3 Depth=1
	v_cvt_f32_u32_e32 v9, v9
	v_add_nc_u32_e32 v11, s24, v26
	s_mov_b32 s3, exec_lo
	s_delay_alu instid0(VALU_DEP_2) | instskip(NEXT) | instid1(VALU_DEP_2)
	v_fmaak_f32 v9, 0x2f800000, v9, 0x2f800000
	v_cndmask_b32_e64 v11, 0, v11, s2
	s_delay_alu instid0(VALU_DEP_2)
	v_cmp_le_f32_e32 vcc_lo, v9, v33
	v_cndmask_b32_e64 v9, 0, 1, vcc_lo
	global_store_b8 v11, v9, s[6:7]
.LBB110_23:                             ;   in Loop: Header=BB110_3 Depth=1
	s_or_b32 exec_lo, exec_lo, s36
	s_delay_alu instid0(SALU_CYCLE_1)
	s_and_not1_b32 s37, s33, exec_lo
	s_or_b32 s33, s33, exec_lo
	s_and_not1_b32 s4, s4, exec_lo
	s_and_b32 s3, s3, exec_lo
.LBB110_24:                             ;   in Loop: Header=BB110_3 Depth=1
	s_or_b32 exec_lo, exec_lo, s34
	s_delay_alu instid0(SALU_CYCLE_1)
	s_and_b32 s34, s37, exec_lo
	s_and_b32 s33, s33, exec_lo
	;; [unrolled: 1-line block ×4, first 2 shown]
.LBB110_25:                             ;   in Loop: Header=BB110_3 Depth=1
	s_and_not1_saveexec_b32 s2, s35
; %bb.26:                               ;   in Loop: Header=BB110_3 Depth=1
	v_cmp_lt_i32_e32 vcc_lo, 1, v10
	s_and_not1_b32 s3, s36, exec_lo
	s_mov_b32 s31, exec_lo
	s_and_not1_b32 s34, s34, exec_lo
	s_and_not1_b32 s33, s33, exec_lo
	s_and_b32 s35, vcc_lo, exec_lo
	s_and_not1_b32 s4, s4, exec_lo
	s_or_b32 s36, s3, s35
; %bb.27:                               ;   in Loop: Header=BB110_3 Depth=1
	s_or_b32 exec_lo, exec_lo, s2
	s_mov_b32 s3, 0
	s_mov_b32 s35, 0
	;; [unrolled: 1-line block ×3, first 2 shown]
	s_and_saveexec_b32 s37, s36
	s_cbranch_execnz .LBB110_30
; %bb.28:                               ;   in Loop: Header=BB110_3 Depth=1
	s_or_b32 exec_lo, exec_lo, s37
	s_and_saveexec_b32 s1, s31
	s_cbranch_execnz .LBB110_33
.LBB110_29:                             ;   in Loop: Header=BB110_3 Depth=1
	s_or_b32 exec_lo, exec_lo, s1
	s_and_saveexec_b32 s31, s35
	s_cbranch_execnz .LBB110_34
	s_branch .LBB110_37
.LBB110_30:                             ;   in Loop: Header=BB110_3 Depth=1
	v_cmp_le_f32_e32 vcc_lo, 0, v32
	v_cmp_ge_f32_e64 s2, 1.0, v32
	s_delay_alu instid0(VALU_DEP_1) | instskip(NEXT) | instid1(SALU_CYCLE_1)
	s_and_b32 s2, vcc_lo, s2
	s_and_saveexec_b32 s36, s2
	s_delay_alu instid0(SALU_CYCLE_1)
	s_xor_b32 s2, exec_lo, s36
	s_cbranch_execz .LBB110_32
; %bb.31:                               ;   in Loop: Header=BB110_3 Depth=1
	v_cvt_f32_u32_e32 v8, v8
	v_add_nc_u32_e32 v9, s24, v5
	s_mov_b32 s35, exec_lo
	s_delay_alu instid0(VALU_DEP_2) | instskip(NEXT) | instid1(VALU_DEP_2)
	v_fmaak_f32 v8, 0x2f800000, v8, 0x2f800000
	v_cndmask_b32_e64 v9, 0, v9, s1
	s_delay_alu instid0(VALU_DEP_2)
	v_cmp_le_f32_e32 vcc_lo, v8, v32
	v_cndmask_b32_e64 v8, 0, 1, vcc_lo
	global_store_b8 v9, v8, s[6:7]
.LBB110_32:                             ;   in Loop: Header=BB110_3 Depth=1
	s_or_b32 exec_lo, exec_lo, s2
	s_delay_alu instid0(SALU_CYCLE_1)
	s_and_not1_b32 s2, s34, exec_lo
	s_or_b32 s34, s34, exec_lo
	s_and_not1_b32 s33, s33, exec_lo
	s_and_not1_b32 s4, s4, exec_lo
	s_and_b32 s35, s35, exec_lo
	s_and_not1_b32 s31, s31, exec_lo
	s_or_b32 exec_lo, exec_lo, s37
	s_and_saveexec_b32 s1, s31
	s_cbranch_execz .LBB110_29
.LBB110_33:                             ;   in Loop: Header=BB110_3 Depth=1
	v_cmp_eq_u32_e32 vcc_lo, 1, v10
	s_and_not1_b32 s31, s35, exec_lo
	s_mov_b32 s3, exec_lo
	s_and_not1_b32 s2, s2, exec_lo
	s_and_not1_b32 s34, s34, exec_lo
	s_and_b32 s35, vcc_lo, exec_lo
	s_and_not1_b32 s33, s33, exec_lo
	s_and_not1_b32 s4, s4, exec_lo
	s_or_b32 s35, s31, s35
	s_or_b32 exec_lo, exec_lo, s1
	s_and_saveexec_b32 s31, s35
	s_cbranch_execz .LBB110_37
.LBB110_34:                             ;   in Loop: Header=BB110_3 Depth=1
	v_cmp_le_f32_e32 vcc_lo, 0, v3
	v_cmp_ge_f32_e64 s1, 1.0, v3
	s_delay_alu instid0(VALU_DEP_1)
	s_and_b32 s36, vcc_lo, s1
	s_mov_b32 s1, 0
	s_and_saveexec_b32 s35, s36
	s_cbranch_execz .LBB110_36
; %bb.35:                               ;   in Loop: Header=BB110_3 Depth=1
	v_cvt_f32_u32_e32 v7, v7
	v_add_nc_u32_e32 v8, s24, v28
	s_mov_b32 s1, exec_lo
	s_delay_alu instid0(VALU_DEP_2) | instskip(NEXT) | instid1(VALU_DEP_2)
	v_fmaak_f32 v7, 0x2f800000, v7, 0x2f800000
	v_cndmask_b32_e64 v8, 0, v8, s0
	s_delay_alu instid0(VALU_DEP_2)
	v_cmp_le_f32_e32 vcc_lo, v7, v3
	v_cndmask_b32_e64 v3, 0, 1, vcc_lo
	global_store_b8 v8, v3, s[6:7]
.LBB110_36:                             ;   in Loop: Header=BB110_3 Depth=1
	s_or_b32 exec_lo, exec_lo, s35
	s_delay_alu instid0(SALU_CYCLE_1)
	s_and_not1_b32 s0, s3, exec_lo
	s_and_b32 s1, s1, exec_lo
	s_or_b32 s2, s2, exec_lo
	s_and_not1_b32 s34, s34, exec_lo
	s_and_not1_b32 s33, s33, exec_lo
	;; [unrolled: 1-line block ×3, first 2 shown]
	s_or_b32 s3, s0, s1
.LBB110_37:                             ;   in Loop: Header=BB110_3 Depth=1
	s_or_b32 exec_lo, exec_lo, s31
	s_delay_alu instid0(SALU_CYCLE_1)
	s_and_not1_b32 s1, s30, exec_lo
	s_and_b32 s2, s2, exec_lo
	s_and_not1_b32 s28, s28, exec_lo
	s_and_b32 s31, s34, exec_lo
	s_or_b32 s30, s1, s2
	s_and_not1_b32 s1, s29, exec_lo
	s_and_b32 s2, s33, exec_lo
	s_and_not1_b32 s27, s27, exec_lo
	s_and_b32 s4, s4, exec_lo
	s_mov_b32 s0, -1
	s_or_b32 s28, s28, s31
	s_or_b32 s29, s1, s2
	;; [unrolled: 1-line block ×3, first 2 shown]
	s_and_saveexec_b32 s1, s3
	s_cbranch_execz .LBB110_2
; %bb.38:                               ;   in Loop: Header=BB110_3 Depth=1
	v_add_nc_u32_e32 v0, s19, v0
	v_subrev_nc_u32_e32 v24, s19, v24
	s_add_i32 s24, s24, s20
	s_add_i32 s22, s22, s21
	s_and_not1_b32 s30, s30, exec_lo
	v_cmp_le_u32_e32 vcc_lo, s5, v0
	s_and_not1_b32 s28, s28, exec_lo
	s_and_not1_b32 s29, s29, exec_lo
	;; [unrolled: 1-line block ×3, first 2 shown]
	s_or_not1_b32 s0, vcc_lo, exec_lo
	s_branch .LBB110_2
.LBB110_39:
	s_or_b32 exec_lo, exec_lo, s16
	s_xor_b32 s3, s25, -1
	s_xor_b32 s4, s26, -1
	;; [unrolled: 1-line block ×3, first 2 shown]
	s_mov_b32 s1, 0
	s_and_saveexec_b32 s2, s0
	s_delay_alu instid0(SALU_CYCLE_1)
	s_xor_b32 s0, exec_lo, s2
	s_cbranch_execz .LBB110_48
; %bb.40:
	s_mov_b32 s2, 0
	s_and_saveexec_b32 s1, s4
	s_delay_alu instid0(SALU_CYCLE_1)
	s_xor_b32 s1, exec_lo, s1
	s_cbranch_execz .LBB110_46
; %bb.41:
	s_and_saveexec_b32 s4, s3
	s_delay_alu instid0(SALU_CYCLE_1)
	s_xor_b32 s3, exec_lo, s4
	s_cbranch_execz .LBB110_44
; %bb.42:
	s_and_saveexec_b32 s4, s17
	s_delay_alu instid0(SALU_CYCLE_1)
	s_xor_b32 s4, exec_lo, s4
	s_cbranch_execnz .LBB110_62
.LBB110_43:
	s_or_b32 exec_lo, exec_lo, s4
	s_delay_alu instid0(SALU_CYCLE_1)
	s_and_b32 s2, s2, exec_lo
.LBB110_44:
	s_and_not1_saveexec_b32 s3, s3
	s_cbranch_execnz .LBB110_58
.LBB110_45:
	s_or_b32 exec_lo, exec_lo, s3
	s_delay_alu instid0(SALU_CYCLE_1)
	s_and_b32 s2, s2, exec_lo
.LBB110_46:
	s_and_not1_saveexec_b32 s1, s1
	s_cbranch_execnz .LBB110_54
.LBB110_47:
	s_or_b32 exec_lo, exec_lo, s1
	s_delay_alu instid0(SALU_CYCLE_1)
	s_and_b32 s1, s2, exec_lo
.LBB110_48:
	s_and_not1_saveexec_b32 s0, s0
	s_cbranch_execnz .LBB110_52
; %bb.49:
	s_or_b32 exec_lo, exec_lo, s0
	s_delay_alu instid0(SALU_CYCLE_1)
	s_and_b32 exec_lo, exec_lo, s1
.LBB110_50:
	; divergent unreachable
.LBB110_51:
	s_nop 0
	s_sendmsg sendmsg(MSG_DEALLOC_VGPRS)
	s_endpgm
.LBB110_52:
	s_cbranch_execnz .LBB110_56
; %bb.53:
	s_or_b32 s1, s1, exec_lo
	s_or_b32 exec_lo, exec_lo, s0
	s_delay_alu instid0(SALU_CYCLE_1)
	s_and_b32 exec_lo, exec_lo, s1
	s_cbranch_execnz .LBB110_50
	s_branch .LBB110_51
.LBB110_54:
	s_cbranch_execnz .LBB110_60
; %bb.55:
	s_or_b32 s2, s2, exec_lo
	s_branch .LBB110_47
.LBB110_56:
	s_trap 2
	s_sendmsg_rtn_b32 s0, sendmsg(MSG_RTN_GET_DOORBELL)
	s_mov_b32 ttmp2, m0
	s_waitcnt lgkmcnt(0)
	s_and_b32 s0, s0, 0x3ff
	s_delay_alu instid0(SALU_CYCLE_1) | instskip(NEXT) | instid1(SALU_CYCLE_1)
	s_bitset1_b32 s0, 10
	s_mov_b32 m0, s0
	s_sendmsg sendmsg(MSG_INTERRUPT)
	s_mov_b32 m0, ttmp2
.LBB110_57:                             ; =>This Inner Loop Header: Depth=1
	s_sethalt 5
	s_branch .LBB110_57
.LBB110_58:
	s_cbranch_execnz .LBB110_64
; %bb.59:
	s_or_b32 s2, s2, exec_lo
	s_branch .LBB110_45
.LBB110_60:
	s_trap 2
	s_sendmsg_rtn_b32 s0, sendmsg(MSG_RTN_GET_DOORBELL)
	s_mov_b32 ttmp2, m0
	s_waitcnt lgkmcnt(0)
	s_and_b32 s0, s0, 0x3ff
	s_delay_alu instid0(SALU_CYCLE_1) | instskip(NEXT) | instid1(SALU_CYCLE_1)
	s_bitset1_b32 s0, 10
	s_mov_b32 m0, s0
	s_sendmsg sendmsg(MSG_INTERRUPT)
	s_mov_b32 m0, ttmp2
.LBB110_61:                             ; =>This Inner Loop Header: Depth=1
	s_sethalt 5
	s_branch .LBB110_61
.LBB110_62:
	s_cbranch_execnz .LBB110_66
; %bb.63:
	s_mov_b32 s2, exec_lo
	s_branch .LBB110_43
.LBB110_64:
	s_trap 2
	s_sendmsg_rtn_b32 s0, sendmsg(MSG_RTN_GET_DOORBELL)
	s_mov_b32 ttmp2, m0
	s_waitcnt lgkmcnt(0)
	s_and_b32 s0, s0, 0x3ff
	s_delay_alu instid0(SALU_CYCLE_1) | instskip(NEXT) | instid1(SALU_CYCLE_1)
	s_bitset1_b32 s0, 10
	s_mov_b32 m0, s0
	s_sendmsg sendmsg(MSG_INTERRUPT)
	s_mov_b32 m0, ttmp2
.LBB110_65:                             ; =>This Inner Loop Header: Depth=1
	s_sethalt 5
	s_branch .LBB110_65
.LBB110_66:
	s_trap 2
	s_sendmsg_rtn_b32 s0, sendmsg(MSG_RTN_GET_DOORBELL)
	s_mov_b32 ttmp2, m0
	s_waitcnt lgkmcnt(0)
	s_and_b32 s0, s0, 0x3ff
	s_delay_alu instid0(SALU_CYCLE_1) | instskip(NEXT) | instid1(SALU_CYCLE_1)
	s_bitset1_b32 s0, 10
	s_mov_b32 m0, s0
	s_sendmsg sendmsg(MSG_INTERRUPT)
	s_mov_b32 m0, ttmp2
.LBB110_67:                             ; =>This Inner Loop Header: Depth=1
	s_sethalt 5
	s_branch .LBB110_67
	.section	.rodata,"a",@progbits
	.p2align	6, 0x0
	.amdhsa_kernel _ZN2at4cuda12_GLOBAL__N_121kernelPointwiseApply2IZNS_6native9templates4cuda28bernoulli_tensor_cuda_kernelIbfEEvRKNS_10TensorBaseES9_NS_15PhiloxCudaStateEEUliRbSB_SB_SB_RKfSD_SD_SD_E_bSC_jLi1ELi1ELi4ELi512ELi2EEEvNS0_6detail10TensorInfoIT0_T2_EENSG_IT1_SI_EESI_T_
		.amdhsa_group_segment_fixed_size 0
		.amdhsa_private_segment_fixed_size 0
		.amdhsa_kernarg_size 728
		.amdhsa_user_sgpr_count 15
		.amdhsa_user_sgpr_dispatch_ptr 0
		.amdhsa_user_sgpr_queue_ptr 0
		.amdhsa_user_sgpr_kernarg_segment_ptr 1
		.amdhsa_user_sgpr_dispatch_id 0
		.amdhsa_user_sgpr_private_segment_size 0
		.amdhsa_wavefront_size32 1
		.amdhsa_uses_dynamic_stack 0
		.amdhsa_enable_private_segment 0
		.amdhsa_system_sgpr_workgroup_id_x 1
		.amdhsa_system_sgpr_workgroup_id_y 0
		.amdhsa_system_sgpr_workgroup_id_z 0
		.amdhsa_system_sgpr_workgroup_info 0
		.amdhsa_system_vgpr_workitem_id 0
		.amdhsa_next_free_vgpr 43
		.amdhsa_next_free_sgpr 38
		.amdhsa_reserve_vcc 1
		.amdhsa_float_round_mode_32 0
		.amdhsa_float_round_mode_16_64 0
		.amdhsa_float_denorm_mode_32 3
		.amdhsa_float_denorm_mode_16_64 3
		.amdhsa_dx10_clamp 1
		.amdhsa_ieee_mode 1
		.amdhsa_fp16_overflow 0
		.amdhsa_workgroup_processor_mode 1
		.amdhsa_memory_ordered 1
		.amdhsa_forward_progress 0
		.amdhsa_shared_vgpr_count 0
		.amdhsa_exception_fp_ieee_invalid_op 0
		.amdhsa_exception_fp_denorm_src 0
		.amdhsa_exception_fp_ieee_div_zero 0
		.amdhsa_exception_fp_ieee_overflow 0
		.amdhsa_exception_fp_ieee_underflow 0
		.amdhsa_exception_fp_ieee_inexact 0
		.amdhsa_exception_int_div_zero 0
	.end_amdhsa_kernel
	.section	.text._ZN2at4cuda12_GLOBAL__N_121kernelPointwiseApply2IZNS_6native9templates4cuda28bernoulli_tensor_cuda_kernelIbfEEvRKNS_10TensorBaseES9_NS_15PhiloxCudaStateEEUliRbSB_SB_SB_RKfSD_SD_SD_E_bSC_jLi1ELi1ELi4ELi512ELi2EEEvNS0_6detail10TensorInfoIT0_T2_EENSG_IT1_SI_EESI_T_,"axG",@progbits,_ZN2at4cuda12_GLOBAL__N_121kernelPointwiseApply2IZNS_6native9templates4cuda28bernoulli_tensor_cuda_kernelIbfEEvRKNS_10TensorBaseES9_NS_15PhiloxCudaStateEEUliRbSB_SB_SB_RKfSD_SD_SD_E_bSC_jLi1ELi1ELi4ELi512ELi2EEEvNS0_6detail10TensorInfoIT0_T2_EENSG_IT1_SI_EESI_T_,comdat
.Lfunc_end110:
	.size	_ZN2at4cuda12_GLOBAL__N_121kernelPointwiseApply2IZNS_6native9templates4cuda28bernoulli_tensor_cuda_kernelIbfEEvRKNS_10TensorBaseES9_NS_15PhiloxCudaStateEEUliRbSB_SB_SB_RKfSD_SD_SD_E_bSC_jLi1ELi1ELi4ELi512ELi2EEEvNS0_6detail10TensorInfoIT0_T2_EENSG_IT1_SI_EESI_T_, .Lfunc_end110-_ZN2at4cuda12_GLOBAL__N_121kernelPointwiseApply2IZNS_6native9templates4cuda28bernoulli_tensor_cuda_kernelIbfEEvRKNS_10TensorBaseES9_NS_15PhiloxCudaStateEEUliRbSB_SB_SB_RKfSD_SD_SD_E_bSC_jLi1ELi1ELi4ELi512ELi2EEEvNS0_6detail10TensorInfoIT0_T2_EENSG_IT1_SI_EESI_T_
                                        ; -- End function
	.section	.AMDGPU.csdata,"",@progbits
; Kernel info:
; codeLenInByte = 3140
; NumSgprs: 40
; NumVgprs: 43
; ScratchSize: 0
; MemoryBound: 0
; FloatMode: 240
; IeeeMode: 1
; LDSByteSize: 0 bytes/workgroup (compile time only)
; SGPRBlocks: 4
; VGPRBlocks: 5
; NumSGPRsForWavesPerEU: 40
; NumVGPRsForWavesPerEU: 43
; Occupancy: 16
; WaveLimiterHint : 1
; COMPUTE_PGM_RSRC2:SCRATCH_EN: 0
; COMPUTE_PGM_RSRC2:USER_SGPR: 15
; COMPUTE_PGM_RSRC2:TRAP_HANDLER: 0
; COMPUTE_PGM_RSRC2:TGID_X_EN: 1
; COMPUTE_PGM_RSRC2:TGID_Y_EN: 0
; COMPUTE_PGM_RSRC2:TGID_Z_EN: 0
; COMPUTE_PGM_RSRC2:TIDIG_COMP_CNT: 0
	.section	.text._ZN2at4cuda12_GLOBAL__N_121kernelPointwiseApply2IZNS_6native9templates4cuda28bernoulli_tensor_cuda_kernelIbfEEvRKNS_10TensorBaseES9_NS_15PhiloxCudaStateEEUliRbSB_SB_SB_RKfSD_SD_SD_E_bSC_jLi1ELi2ELi4ELi512ELi2EEEvNS0_6detail10TensorInfoIT0_T2_EENSG_IT1_SI_EESI_T_,"axG",@progbits,_ZN2at4cuda12_GLOBAL__N_121kernelPointwiseApply2IZNS_6native9templates4cuda28bernoulli_tensor_cuda_kernelIbfEEvRKNS_10TensorBaseES9_NS_15PhiloxCudaStateEEUliRbSB_SB_SB_RKfSD_SD_SD_E_bSC_jLi1ELi2ELi4ELi512ELi2EEEvNS0_6detail10TensorInfoIT0_T2_EENSG_IT1_SI_EESI_T_,comdat
	.globl	_ZN2at4cuda12_GLOBAL__N_121kernelPointwiseApply2IZNS_6native9templates4cuda28bernoulli_tensor_cuda_kernelIbfEEvRKNS_10TensorBaseES9_NS_15PhiloxCudaStateEEUliRbSB_SB_SB_RKfSD_SD_SD_E_bSC_jLi1ELi2ELi4ELi512ELi2EEEvNS0_6detail10TensorInfoIT0_T2_EENSG_IT1_SI_EESI_T_ ; -- Begin function _ZN2at4cuda12_GLOBAL__N_121kernelPointwiseApply2IZNS_6native9templates4cuda28bernoulli_tensor_cuda_kernelIbfEEvRKNS_10TensorBaseES9_NS_15PhiloxCudaStateEEUliRbSB_SB_SB_RKfSD_SD_SD_E_bSC_jLi1ELi2ELi4ELi512ELi2EEEvNS0_6detail10TensorInfoIT0_T2_EENSG_IT1_SI_EESI_T_
	.p2align	8
	.type	_ZN2at4cuda12_GLOBAL__N_121kernelPointwiseApply2IZNS_6native9templates4cuda28bernoulli_tensor_cuda_kernelIbfEEvRKNS_10TensorBaseES9_NS_15PhiloxCudaStateEEUliRbSB_SB_SB_RKfSD_SD_SD_E_bSC_jLi1ELi2ELi4ELi512ELi2EEEvNS0_6detail10TensorInfoIT0_T2_EENSG_IT1_SI_EESI_T_,@function
_ZN2at4cuda12_GLOBAL__N_121kernelPointwiseApply2IZNS_6native9templates4cuda28bernoulli_tensor_cuda_kernelIbfEEvRKNS_10TensorBaseES9_NS_15PhiloxCudaStateEEUliRbSB_SB_SB_RKfSD_SD_SD_E_bSC_jLi1ELi2ELi4ELi512ELi2EEEvNS0_6detail10TensorInfoIT0_T2_EENSG_IT1_SI_EESI_T_: ; @_ZN2at4cuda12_GLOBAL__N_121kernelPointwiseApply2IZNS_6native9templates4cuda28bernoulli_tensor_cuda_kernelIbfEEvRKNS_10TensorBaseES9_NS_15PhiloxCudaStateEEUliRbSB_SB_SB_RKfSD_SD_SD_E_bSC_jLi1ELi2ELi4ELi512ELi2EEEvNS0_6detail10TensorInfoIT0_T2_EENSG_IT1_SI_EESI_T_
; %bb.0:
	s_clause 0x1
	s_load_b32 s4, s[0:1], 0x1e4
	s_load_b32 s16, s[0:1], 0x1b0
	s_add_u32 s2, s0, 0x1d8
	s_addc_u32 s3, s1, 0
	s_waitcnt lgkmcnt(0)
	s_and_b32 s20, s4, 0xffff
	s_mov_b32 s4, exec_lo
	v_mad_u64_u32 v[1:2], null, s15, s20, v[0:1]
	s_delay_alu instid0(VALU_DEP_1) | instskip(NEXT) | instid1(VALU_DEP_1)
	v_lshlrev_b32_e32 v0, 2, v1
	v_cmpx_gt_u32_e64 s16, v0
	s_cbranch_execz .LBB111_59
; %bb.1:
	s_clause 0x3
	s_load_b32 s17, s[0:1], 0xe4
	s_load_b32 s4, s[0:1], 0x1d0
	s_load_b32 s23, s[0:1], 0x6c
	s_load_b64 s[8:9], s[0:1], 0x0
	s_load_b32 s2, s[2:3], 0x0
	s_clause 0x1
	s_load_b64 s[10:11], s[0:1], 0xd8
	s_load_b64 s[12:13], s[0:1], 0x1c8
	v_add_nc_u32_e32 v8, 3, v0
	v_sub_nc_u32_e32 v25, s16, v0
	s_mov_b32 s22, 0
	s_mov_b32 s25, 0
                                        ; implicit-def: $sgpr24
                                        ; implicit-def: $sgpr27
                                        ; implicit-def: $sgpr26
                                        ; implicit-def: $sgpr28
                                        ; implicit-def: $sgpr30
                                        ; implicit-def: $sgpr29
                                        ; implicit-def: $sgpr31
	v_add_nc_u32_e32 v7, 2, v0
	s_waitcnt lgkmcnt(0)
	v_cvt_f32_u32_e32 v2, s17
	s_bitcmp1_b32 s4, 0
	s_clause 0x1
	s_load_b64 s[14:15], s[0:1], 0x144
	s_load_b128 s[4:7], s[0:1], 0x1b8
	s_cselect_b32 s18, -1, 0
	s_sub_i32 s19, 0, s17
	v_rcp_iflag_f32_e32 v2, v2
	v_mul_lo_u32 v24, v0, s23
	v_mul_lo_u32 v28, s23, v8
	s_mul_i32 s2, s2, s20
	v_mov_b32_e32 v4, 0
	s_lshl_b32 s21, s2, 2
                                        ; implicit-def: $sgpr20
	v_mul_lo_u32 v27, s23, v7
	s_waitcnt_depctr 0xfff
	v_dual_mul_f32 v2, 0x4f7ffffe, v2 :: v_dual_add_nc_u32 v29, s23, v24
	s_mul_i32 s23, s21, s23
	s_delay_alu instid0(VALU_DEP_1) | instskip(SKIP_1) | instid1(VALU_DEP_2)
	v_cvt_u32_f32_e32 v5, v2
	v_mad_u64_u32 v[2:3], null, 0xcd9e8d57, v1, 0
	v_mul_lo_u32 v6, s19, v5
	s_delay_alu instid0(VALU_DEP_2) | instskip(NEXT) | instid1(VALU_DEP_2)
	v_mov_b32_e32 v26, v3
	v_mul_hi_u32 v6, v5, v6
	s_delay_alu instid0(VALU_DEP_1)
	v_add_nc_u32_e32 v30, v5, v6
	s_branch .LBB111_3
.LBB111_2:                              ;   in Loop: Header=BB111_3 Depth=1
	s_or_b32 exec_lo, exec_lo, s1
	s_delay_alu instid0(SALU_CYCLE_1) | instskip(NEXT) | instid1(SALU_CYCLE_1)
	s_and_b32 s0, exec_lo, s0
	s_or_b32 s22, s0, s22
	s_and_not1_b32 s0, s20, exec_lo
	s_and_b32 s1, s31, exec_lo
	s_and_not1_b32 s2, s26, exec_lo
	s_and_b32 s3, s29, exec_lo
	s_or_b32 s20, s0, s1
	s_or_b32 s26, s2, s3
	s_and_not1_b32 s0, s27, exec_lo
	s_and_b32 s1, s30, exec_lo
	s_and_not1_b32 s2, s24, exec_lo
	s_and_b32 s3, s28, exec_lo
	s_or_b32 s27, s0, s1
	s_or_b32 s24, s2, s3
	s_and_not1_b32 exec_lo, exec_lo, s22
	s_cbranch_execz .LBB111_47
.LBB111_3:                              ; =>This Inner Loop Header: Depth=1
	v_mov_b32_e32 v7, 0
	v_mov_b32_e32 v8, 0
	v_cmp_lt_i32_e64 s0, 0, v25
	s_delay_alu instid0(VALU_DEP_2) | instskip(NEXT) | instid1(VALU_DEP_2)
	v_dual_mov_b32 v10, v8 :: v_dual_mov_b32 v9, v7
	s_and_saveexec_b32 s1, s0
	s_cbranch_execz .LBB111_5
; %bb.4:                                ;   in Loop: Header=BB111_3 Depth=1
	v_mul_hi_u32 v3, v30, v0
	s_delay_alu instid0(VALU_DEP_1) | instskip(SKIP_1) | instid1(VALU_DEP_2)
	v_not_b32_e32 v11, v3
	v_mad_u64_u32 v[5:6], null, s19, v3, v[0:1]
	v_mad_u64_u32 v[9:10], null, s17, v11, v[0:1]
	s_delay_alu instid0(VALU_DEP_2) | instskip(NEXT) | instid1(VALU_DEP_2)
	v_cmp_le_u32_e32 vcc_lo, s17, v5
	v_dual_cndmask_b32 v5, v5, v9 :: v_dual_add_nc_u32 v6, 1, v3
	s_delay_alu instid0(VALU_DEP_1) | instskip(NEXT) | instid1(VALU_DEP_2)
	v_cndmask_b32_e32 v3, v3, v6, vcc_lo
	v_cmp_le_u32_e32 vcc_lo, s17, v5
	s_delay_alu instid0(VALU_DEP_2) | instskip(NEXT) | instid1(VALU_DEP_1)
	v_add_nc_u32_e32 v6, 1, v3
	v_cndmask_b32_e32 v11, v3, v6, vcc_lo
	s_delay_alu instid0(VALU_DEP_1) | instskip(SKIP_1) | instid1(VALU_DEP_1)
	v_mad_u64_u32 v[5:6], null, s19, v11, v[0:1]
	s_waitcnt lgkmcnt(0)
	v_mul_lo_u32 v3, v5, s15
	s_delay_alu instid0(VALU_DEP_1)
	v_mad_u64_u32 v[9:10], null, v11, s14, v[3:4]
	v_mov_b32_e32 v10, v4
.LBB111_5:                              ;   in Loop: Header=BB111_3 Depth=1
	s_or_b32 exec_lo, exec_lo, s1
	v_cmp_lt_i32_e64 s1, 1, v25
	s_delay_alu instid0(VALU_DEP_1)
	s_and_saveexec_b32 s2, s1
	s_cbranch_execz .LBB111_7
; %bb.6:                                ;   in Loop: Header=BB111_3 Depth=1
	v_add_nc_u32_e32 v3, 1, v0
	s_delay_alu instid0(VALU_DEP_1) | instskip(NEXT) | instid1(VALU_DEP_1)
	v_mul_hi_u32 v5, v3, v30
	v_mul_lo_u32 v6, v5, s17
	s_delay_alu instid0(VALU_DEP_1) | instskip(NEXT) | instid1(VALU_DEP_1)
	v_sub_nc_u32_e32 v6, v3, v6
	v_subrev_nc_u32_e32 v8, s17, v6
	v_cmp_le_u32_e32 vcc_lo, s17, v6
	s_delay_alu instid0(VALU_DEP_2) | instskip(NEXT) | instid1(VALU_DEP_1)
	v_dual_cndmask_b32 v6, v6, v8 :: v_dual_add_nc_u32 v7, 1, v5
	v_cndmask_b32_e32 v5, v5, v7, vcc_lo
	s_delay_alu instid0(VALU_DEP_2) | instskip(NEXT) | instid1(VALU_DEP_2)
	v_cmp_le_u32_e32 vcc_lo, s17, v6
	v_add_nc_u32_e32 v7, 1, v5
	s_delay_alu instid0(VALU_DEP_1) | instskip(NEXT) | instid1(VALU_DEP_1)
	v_cndmask_b32_e32 v5, v5, v7, vcc_lo
	v_mul_lo_u32 v6, v5, s17
	s_delay_alu instid0(VALU_DEP_1) | instskip(SKIP_1) | instid1(VALU_DEP_1)
	v_sub_nc_u32_e32 v3, v3, v6
	s_waitcnt lgkmcnt(0)
	v_mul_lo_u32 v3, v3, s15
	s_delay_alu instid0(VALU_DEP_1)
	v_mad_u64_u32 v[7:8], null, v5, s14, v[3:4]
	v_mov_b32_e32 v8, v4
.LBB111_7:                              ;   in Loop: Header=BB111_3 Depth=1
	s_or_b32 exec_lo, exec_lo, s2
	v_mov_b32_e32 v5, 0
	v_mov_b32_e32 v6, 0
	v_cmp_lt_i32_e64 s2, 2, v25
	s_delay_alu instid0(VALU_DEP_2) | instskip(NEXT) | instid1(VALU_DEP_2)
	v_dual_mov_b32 v12, v6 :: v_dual_mov_b32 v11, v5
	s_and_saveexec_b32 s3, s2
	s_cbranch_execz .LBB111_9
; %bb.8:                                ;   in Loop: Header=BB111_3 Depth=1
	v_add_nc_u32_e32 v3, 2, v0
	s_delay_alu instid0(VALU_DEP_1) | instskip(NEXT) | instid1(VALU_DEP_1)
	v_mul_hi_u32 v11, v3, v30
	v_mul_lo_u32 v12, v11, s17
	v_add_nc_u32_e32 v13, 1, v11
	s_delay_alu instid0(VALU_DEP_2) | instskip(NEXT) | instid1(VALU_DEP_1)
	v_sub_nc_u32_e32 v12, v3, v12
	v_subrev_nc_u32_e32 v14, s17, v12
	v_cmp_le_u32_e32 vcc_lo, s17, v12
	s_delay_alu instid0(VALU_DEP_2) | instskip(NEXT) | instid1(VALU_DEP_1)
	v_dual_cndmask_b32 v11, v11, v13 :: v_dual_cndmask_b32 v12, v12, v14
	v_add_nc_u32_e32 v13, 1, v11
	s_delay_alu instid0(VALU_DEP_2) | instskip(NEXT) | instid1(VALU_DEP_2)
	v_cmp_le_u32_e32 vcc_lo, s17, v12
	v_cndmask_b32_e32 v13, v11, v13, vcc_lo
	s_delay_alu instid0(VALU_DEP_1) | instskip(NEXT) | instid1(VALU_DEP_1)
	v_mul_lo_u32 v11, v13, s17
	v_sub_nc_u32_e32 v3, v3, v11
	s_waitcnt lgkmcnt(0)
	s_delay_alu instid0(VALU_DEP_1) | instskip(NEXT) | instid1(VALU_DEP_1)
	v_mul_lo_u32 v3, v3, s15
	v_mad_u64_u32 v[11:12], null, v13, s14, v[3:4]
	v_mov_b32_e32 v12, v4
.LBB111_9:                              ;   in Loop: Header=BB111_3 Depth=1
	s_or_b32 exec_lo, exec_lo, s3
	v_dual_mov_b32 v14, v6 :: v_dual_mov_b32 v13, v5
	s_mov_b32 s3, exec_lo
	v_cmpx_lt_i32_e32 3, v25
	s_cbranch_execz .LBB111_11
; %bb.10:                               ;   in Loop: Header=BB111_3 Depth=1
	v_add_nc_u32_e32 v3, 3, v0
	s_delay_alu instid0(VALU_DEP_1) | instskip(NEXT) | instid1(VALU_DEP_1)
	v_mul_hi_u32 v5, v3, v30
	v_mul_lo_u32 v6, v5, s17
	v_add_nc_u32_e32 v13, 1, v5
	s_delay_alu instid0(VALU_DEP_2) | instskip(NEXT) | instid1(VALU_DEP_1)
	v_sub_nc_u32_e32 v6, v3, v6
	v_subrev_nc_u32_e32 v14, s17, v6
	v_cmp_le_u32_e32 vcc_lo, s17, v6
	s_delay_alu instid0(VALU_DEP_2) | instskip(NEXT) | instid1(VALU_DEP_1)
	v_dual_cndmask_b32 v5, v5, v13 :: v_dual_cndmask_b32 v6, v6, v14
	v_add_nc_u32_e32 v13, 1, v5
	s_delay_alu instid0(VALU_DEP_2) | instskip(NEXT) | instid1(VALU_DEP_2)
	v_cmp_le_u32_e32 vcc_lo, s17, v6
	v_cndmask_b32_e32 v6, v5, v13, vcc_lo
	s_delay_alu instid0(VALU_DEP_1) | instskip(NEXT) | instid1(VALU_DEP_1)
	v_mul_lo_u32 v5, v6, s17
	v_sub_nc_u32_e32 v3, v3, v5
	s_waitcnt lgkmcnt(0)
	s_delay_alu instid0(VALU_DEP_1) | instskip(SKIP_1) | instid1(VALU_DEP_2)
	v_mul_lo_u32 v5, v3, s15
	v_add_nc_u32_e32 v3, s25, v28
	v_mad_u64_u32 v[13:14], null, v6, s14, v[5:6]
	v_mov_b32_e32 v6, v4
	s_delay_alu instid0(VALU_DEP_3)
	v_dual_mov_b32 v14, v4 :: v_dual_mov_b32 v5, v3
.LBB111_11:                             ;   in Loop: Header=BB111_3 Depth=1
	s_or_b32 exec_lo, exec_lo, s3
	v_lshlrev_b64 v[9:10], 2, v[9:10]
	v_lshlrev_b64 v[7:8], 2, v[7:8]
	;; [unrolled: 1-line block ×4, first 2 shown]
	s_delay_alu instid0(VALU_DEP_4)
	v_add_co_u32 v9, vcc_lo, s10, v9
	v_add_co_ci_u32_e32 v10, vcc_lo, s11, v10, vcc_lo
	v_add_co_u32 v7, vcc_lo, s10, v7
	v_add_co_ci_u32_e32 v8, vcc_lo, s11, v8, vcc_lo
	;; [unrolled: 2-line block ×4, first 2 shown]
	s_clause 0x3
	global_load_b32 v3, v[9:10], off
	global_load_b32 v31, v[7:8], off
	;; [unrolled: 1-line block ×4, first 2 shown]
	s_waitcnt lgkmcnt(0)
	v_dual_mov_b32 v12, s7 :: v_dual_mov_b32 v11, s6
	v_dual_mov_b32 v14, s5 :: v_dual_mov_b32 v13, s4
	s_and_not1_b32 vcc_lo, exec_lo, s18
	s_cbranch_vccnz .LBB111_13
; %bb.12:                               ;   in Loop: Header=BB111_3 Depth=1
	v_dual_mov_b32 v8, s7 :: v_dual_mov_b32 v7, s6
	v_dual_mov_b32 v10, s5 :: v_dual_mov_b32 v9, s4
	flat_load_b64 v[7:8], v[7:8]
	flat_load_b64 v[13:14], v[9:10]
	s_waitcnt vmcnt(1) lgkmcnt(1)
	v_add_co_u32 v11, vcc_lo, v7, s12
	v_add_co_ci_u32_e32 v12, vcc_lo, s13, v8, vcc_lo
.LBB111_13:                             ;   in Loop: Header=BB111_3 Depth=1
	s_delay_alu instid0(VALU_DEP_1)
	v_alignbit_b32 v10, v12, v11, 2
	v_lshrrev_b32_e32 v9, 2, v12
	s_waitcnt vmcnt(0) lgkmcnt(0)
	v_add_nc_u32_e32 v35, 0xbb67ae85, v14
	v_add_nc_u32_e32 v36, 0x76cf5d0a, v14
	;; [unrolled: 1-line block ×3, first 2 shown]
	v_add_co_u32 v12, vcc_lo, v10, 1
	s_delay_alu instid0(VALU_DEP_1) | instskip(SKIP_4) | instid1(VALU_DEP_4)
	v_cndmask_b32_e64 v7, 0, 1, vcc_lo
	v_add_co_ci_u32_e32 v21, vcc_lo, 0, v9, vcc_lo
	v_xor3_b32 v17, v26, v13, v9
	v_add_nc_u32_e32 v38, 0x32370b8f, v14
	v_add_nc_u32_e32 v39, 0xed9eba14, v14
	v_cmp_eq_u32_e32 vcc_lo, 0, v21
	v_add_nc_u32_e32 v40, 0x1715609d, v13
	v_add_nc_u32_e32 v41, 0xa9066899, v14
	s_mov_b32 s3, exec_lo
	v_dual_cndmask_b32 v15, 0, v7 :: v_dual_add_nc_u32 v34, 0x9e3779b9, v13
	v_mad_u64_u32 v[7:8], null, 0xd2511f53, v12, 0
	s_delay_alu instid0(VALU_DEP_2) | instskip(NEXT) | instid1(VALU_DEP_2)
	v_add_nc_u32_e32 v12, v15, v1
	v_xor_b32_e32 v16, v8, v14
	s_delay_alu instid0(VALU_DEP_2) | instskip(SKIP_2) | instid1(VALU_DEP_1)
	v_cmp_eq_u32_e32 vcc_lo, 0, v12
	v_mad_u64_u32 v[8:9], null, 0xd2511f53, v10, 0
	v_cndmask_b32_e32 v15, 0, v15, vcc_lo
	v_xor_b32_e32 v10, v15, v16
	v_mad_u64_u32 v[15:16], null, 0xd2511f53, v17, 0
	v_mad_u64_u32 v[17:18], null, 0xcd9e8d57, v12, 0
	s_delay_alu instid0(VALU_DEP_3) | instskip(SKIP_3) | instid1(VALU_DEP_3)
	v_mad_u64_u32 v[19:20], null, 0xcd9e8d57, v10, 0
	v_xor_b32_e32 v10, v9, v14
	v_add_nc_u32_e32 v12, 0x3c6ef372, v13
	v_xor3_b32 v22, v35, v16, v8
	v_mad_u64_u32 v[8:9], null, 0xcd9e8d57, v10, 0
	v_xor3_b32 v10, v18, v13, v21
	v_xor3_b32 v18, v34, v20, v17
	s_delay_alu instid0(VALU_DEP_4) | instskip(NEXT) | instid1(VALU_DEP_3)
	v_mad_u64_u32 v[16:17], null, 0xcd9e8d57, v22, 0
	v_mad_u64_u32 v[20:21], null, 0xd2511f53, v10, 0
	s_delay_alu instid0(VALU_DEP_3) | instskip(SKIP_1) | instid1(VALU_DEP_4)
	v_mad_u64_u32 v[22:23], null, 0xd2511f53, v18, 0
	v_xor3_b32 v10, v2, v9, v34
	v_xor3_b32 v34, v12, v17, v8
	s_delay_alu instid0(VALU_DEP_4) | instskip(NEXT) | instid1(VALU_DEP_3)
	v_xor3_b32 v7, v35, v21, v7
	v_mad_u64_u32 v[8:9], null, 0xd2511f53, v10, 0
	v_xor3_b32 v10, v36, v23, v20
	s_delay_alu instid0(VALU_DEP_4) | instskip(NEXT) | instid1(VALU_DEP_4)
	v_mad_u64_u32 v[17:18], null, 0xd2511f53, v34, 0
	v_mad_u64_u32 v[20:21], null, 0xcd9e8d57, v7, 0
	s_delay_alu instid0(VALU_DEP_3) | instskip(SKIP_4) | instid1(VALU_DEP_4)
	v_mad_u64_u32 v[34:35], null, 0xcd9e8d57, v10, 0
	v_xor3_b32 v9, v36, v9, v15
	v_add_nc_u32_e32 v23, 0x78dde6e4, v13
	v_xor3_b32 v15, v38, v18, v8
	v_xor3_b32 v12, v12, v21, v19
	v_mad_u64_u32 v[7:8], null, 0xcd9e8d57, v9, 0
	v_xor3_b32 v35, v37, v35, v20
	s_delay_alu instid0(VALU_DEP_4) | instskip(NEXT) | instid1(VALU_DEP_4)
	v_mad_u64_u32 v[9:10], null, 0xcd9e8d57, v15, 0
	v_mad_u64_u32 v[18:19], null, 0xd2511f53, v12, 0
	s_delay_alu instid0(VALU_DEP_3) | instskip(SKIP_1) | instid1(VALU_DEP_4)
	v_mad_u64_u32 v[20:21], null, 0xd2511f53, v35, 0
	v_xor3_b32 v12, v37, v8, v16
	v_xor3_b32 v10, v23, v10, v7
	s_delay_alu instid0(VALU_DEP_2) | instskip(SKIP_2) | instid1(VALU_DEP_4)
	v_mad_u64_u32 v[7:8], null, 0xd2511f53, v12, 0
	v_xor3_b32 v12, v38, v19, v22
	v_xor3_b32 v18, v39, v21, v18
	v_mad_u64_u32 v[21:22], null, 0xd2511f53, v10, 0
	s_delay_alu instid0(VALU_DEP_3) | instskip(NEXT) | instid1(VALU_DEP_3)
	v_mad_u64_u32 v[15:16], null, 0xcd9e8d57, v12, 0
	v_mad_u64_u32 v[35:36], null, 0xcd9e8d57, v18, 0
	v_xor3_b32 v10, v39, v8, v17
	s_delay_alu instid0(VALU_DEP_4) | instskip(SKIP_2) | instid1(VALU_DEP_4)
	v_xor3_b32 v18, v41, v22, v7
	v_add_nc_u32_e32 v12, 0xb54cda56, v13
	v_add_nc_u32_e32 v17, 0x646e171e, v14
	v_mad_u64_u32 v[7:8], null, 0xcd9e8d57, v10, 0
	v_xor3_b32 v10, v23, v16, v34
	v_xor3_b32 v19, v40, v36, v15
	v_mad_u64_u32 v[36:37], null, 0xcd9e8d57, v18, 0
	v_add_nc_u32_e32 v23, 0x5384540f, v13
	s_delay_alu instid0(VALU_DEP_4) | instskip(NEXT) | instid1(VALU_DEP_4)
	v_mad_u64_u32 v[15:16], null, 0xd2511f53, v10, 0
	v_mad_u64_u32 v[38:39], null, 0xd2511f53, v19, 0
	v_xor3_b32 v9, v40, v8, v9
	v_xor3_b32 v10, v12, v37, v7
	v_add_nc_u32_e32 v40, 0x1fd5c5a3, v14
	v_add_co_u32 v34, null, 0xf1bbcdc8, v13
	v_xor3_b32 v18, v41, v16, v20
	v_xor3_b32 v20, v17, v39, v15
	v_mad_u64_u32 v[7:8], null, 0xd2511f53, v9, 0
	v_mad_u64_u32 v[15:16], null, 0xd2511f53, v10, 0
	s_delay_alu instid0(VALU_DEP_4) | instskip(NEXT) | instid1(VALU_DEP_4)
	v_mad_u64_u32 v[9:10], null, 0xcd9e8d57, v18, 0
	v_mad_u64_u32 v[18:19], null, 0xcd9e8d57, v20, 0
	s_delay_alu instid0(VALU_DEP_4) | instskip(NEXT) | instid1(VALU_DEP_4)
	v_xor3_b32 v17, v17, v8, v21
	v_xor3_b32 v20, v40, v16, v7
	s_delay_alu instid0(VALU_DEP_4) | instskip(NEXT) | instid1(VALU_DEP_3)
	v_xor3_b32 v12, v12, v10, v35
	v_mad_u64_u32 v[7:8], null, 0xcd9e8d57, v17, 0
	v_xor3_b32 v19, v23, v19, v9
	s_delay_alu instid0(VALU_DEP_4) | instskip(NEXT) | instid1(VALU_DEP_4)
	v_mad_u64_u32 v[16:17], null, 0xcd9e8d57, v20, 0
	v_mad_u64_u32 v[9:10], null, 0xd2511f53, v12, 0
	s_delay_alu instid0(VALU_DEP_3)
	v_mad_u64_u32 v[21:22], null, 0xd2511f53, v19, 0
	v_add_nc_u32_e32 v35, 0xdb3d7428, v14
	v_xor3_b32 v8, v23, v8, v36
	v_xor3_b32 v12, v34, v17, v7
	v_add_nc_u32_e32 v36, 0x96a522ad, v14
	v_xor3_b32 v10, v40, v10, v38
	v_and_b32_e32 v14, 3, v11
	v_xor3_b32 v17, v35, v22, v9
	v_mad_u64_u32 v[19:20], null, 0xd2511f53, v8, 0
	v_mad_u64_u32 v[7:8], null, 0xd2511f53, v12, 0
	v_mad_u64_u32 v[22:23], null, 0xcd9e8d57, v10, 0
	s_delay_alu instid0(VALU_DEP_4) | instskip(SKIP_1) | instid1(VALU_DEP_4)
	v_mad_u64_u32 v[9:10], null, 0xcd9e8d57, v17, 0
	v_add_nc_u32_e32 v17, 0x8ff34781, v13
                                        ; implicit-def: $vgpr12
	v_xor3_b32 v13, v8, v19, v36
	s_delay_alu instid0(VALU_DEP_2)
	v_xor3_b32 v8, v10, v22, v17
	v_cmpx_lt_i32_e32 1, v14
	s_xor_b32 s3, exec_lo, s3
	s_cbranch_execz .LBB111_19
; %bb.14:                               ;   in Loop: Header=BB111_3 Depth=1
	s_mov_b32 s33, exec_lo
                                        ; implicit-def: $vgpr12
	v_cmpx_lt_i32_e32 2, v14
	s_xor_b32 s33, exec_lo, s33
; %bb.15:                               ;   in Loop: Header=BB111_3 Depth=1
	v_xor3_b32 v10, v34, v23, v18
                                        ; implicit-def: $vgpr13
	s_delay_alu instid0(VALU_DEP_1) | instskip(NEXT) | instid1(VALU_DEP_1)
	v_mul_hi_u32 v10, 0xd2511f53, v10
	v_xor3_b32 v12, v10, v21, v36
; %bb.16:                               ;   in Loop: Header=BB111_3 Depth=1
	s_and_not1_saveexec_b32 s33, s33
; %bb.17:                               ;   in Loop: Header=BB111_3 Depth=1
	v_dual_mov_b32 v12, v9 :: v_dual_mov_b32 v9, v8
	v_dual_mov_b32 v8, v7 :: v_dual_mov_b32 v7, v13
; %bb.18:                               ;   in Loop: Header=BB111_3 Depth=1
	s_or_b32 exec_lo, exec_lo, s33
                                        ; implicit-def: $vgpr15_vgpr16
                                        ; implicit-def: $vgpr14
                                        ; implicit-def: $vgpr13
                                        ; implicit-def: $vgpr35
                                        ; implicit-def: $vgpr19_vgpr20
                                        ; implicit-def: $vgpr16_vgpr17
                                        ; implicit-def: $vgpr17
.LBB111_19:                             ;   in Loop: Header=BB111_3 Depth=1
	s_and_not1_saveexec_b32 s3, s3
	s_cbranch_execz .LBB111_23
; %bb.20:                               ;   in Loop: Header=BB111_3 Depth=1
	v_xor3_b32 v9, v35, v20, v15
	v_cmp_eq_u32_e32 vcc_lo, 1, v14
	v_mov_b32_e32 v12, v7
	s_delay_alu instid0(VALU_DEP_3) | instskip(SKIP_1) | instid1(VALU_DEP_2)
	v_mad_u64_u32 v[10:11], null, 0xcd9e8d57, v9, 0
	v_mov_b32_e32 v9, v13
	v_xor3_b32 v14, v11, v16, v17
	s_delay_alu instid0(VALU_DEP_3)
	v_mov_b32_e32 v11, v10
	s_and_saveexec_b32 s33, vcc_lo
; %bb.21:                               ;   in Loop: Header=BB111_3 Depth=1
	v_dual_mov_b32 v12, v8 :: v_dual_mov_b32 v9, v7
	v_dual_mov_b32 v11, v13 :: v_dual_mov_b32 v14, v10
; %bb.22:                               ;   in Loop: Header=BB111_3 Depth=1
	s_or_b32 exec_lo, exec_lo, s33
	s_delay_alu instid0(VALU_DEP_1)
	v_dual_mov_b32 v7, v14 :: v_dual_mov_b32 v8, v11
.LBB111_23:                             ;   in Loop: Header=BB111_3 Depth=1
	s_or_b32 exec_lo, exec_lo, s3
	v_min_i32_e32 v10, 4, v25
	s_mov_b32 s33, 0
	s_mov_b32 s38, 0
	s_mov_b32 s36, exec_lo
                                        ; implicit-def: $sgpr3
                                        ; implicit-def: $sgpr34
                                        ; implicit-def: $sgpr35
	s_delay_alu instid0(VALU_DEP_1)
	v_cmpx_lt_i32_e32 2, v10
	s_xor_b32 s36, exec_lo, s36
	s_cbranch_execz .LBB111_33
; %bb.24:                               ;   in Loop: Header=BB111_3 Depth=1
	s_mov_b32 s3, -1
	s_mov_b32 s35, exec_lo
                                        ; implicit-def: $sgpr34
                                        ; implicit-def: $sgpr37
	v_cmpx_lt_i32_e32 3, v10
	s_cbranch_execz .LBB111_28
; %bb.25:                               ;   in Loop: Header=BB111_3 Depth=1
	v_cmp_le_f32_e32 vcc_lo, 0, v33
	v_cmp_ge_f32_e64 s3, 1.0, v33
	s_mov_b32 s34, 0
	s_delay_alu instid0(VALU_DEP_1)
	s_and_b32 s38, vcc_lo, s3
	s_mov_b32 s3, 0
	s_and_saveexec_b32 s37, s38
	s_cbranch_execz .LBB111_27
; %bb.26:                               ;   in Loop: Header=BB111_3 Depth=1
	v_cvt_f32_u32_e32 v11, v12
	v_add_co_u32 v5, vcc_lo, s8, v5
	v_add_co_ci_u32_e32 v6, vcc_lo, s9, v6, vcc_lo
	s_delay_alu instid0(VALU_DEP_3) | instskip(SKIP_1) | instid1(VALU_DEP_1)
	v_fmaak_f32 v11, 0x2f800000, v11, 0x2f800000
	s_mov_b32 s3, exec_lo
	v_cmp_le_f32_e32 vcc_lo, v11, v33
	v_cndmask_b32_e64 v11, 0, 1, vcc_lo
	global_store_b8 v[5:6], v11, off
.LBB111_27:                             ;   in Loop: Header=BB111_3 Depth=1
	s_or_b32 exec_lo, exec_lo, s37
	s_mov_b32 s37, -1
	s_or_not1_b32 s3, s3, exec_lo
.LBB111_28:                             ;   in Loop: Header=BB111_3 Depth=1
	s_or_b32 exec_lo, exec_lo, s35
	s_mov_b32 s38, 0
	s_mov_b32 s39, s34
	s_and_saveexec_b32 s35, s3
	s_cbranch_execz .LBB111_32
; %bb.29:                               ;   in Loop: Header=BB111_3 Depth=1
	v_cmp_le_f32_e32 vcc_lo, 0, v32
	v_cmp_ge_f32_e64 s3, 1.0, v32
	s_delay_alu instid0(VALU_DEP_1) | instskip(SKIP_2) | instid1(SALU_CYCLE_1)
	s_and_b32 s38, vcc_lo, s3
	s_mov_b32 s3, 0
	s_and_saveexec_b32 s39, s38
	s_xor_b32 s38, exec_lo, s39
	s_cbranch_execz .LBB111_31
; %bb.30:                               ;   in Loop: Header=BB111_3 Depth=1
	v_cvt_f32_u32_e32 v5, v9
	v_add_nc_u32_e32 v6, s25, v27
	s_mov_b32 s3, exec_lo
	s_delay_alu instid0(VALU_DEP_2) | instskip(NEXT) | instid1(VALU_DEP_2)
	v_fmaak_f32 v5, 0x2f800000, v5, 0x2f800000
	v_cndmask_b32_e64 v6, 0, v6, s2
	s_delay_alu instid0(VALU_DEP_2)
	v_cmp_le_f32_e32 vcc_lo, v5, v32
	v_cndmask_b32_e64 v5, 0, 1, vcc_lo
	global_store_b8 v6, v5, s[8:9]
.LBB111_31:                             ;   in Loop: Header=BB111_3 Depth=1
	s_or_b32 exec_lo, exec_lo, s38
	s_delay_alu instid0(SALU_CYCLE_1)
	s_and_not1_b32 s39, s34, exec_lo
	s_or_b32 s34, s34, exec_lo
	s_and_not1_b32 s37, s37, exec_lo
	s_and_b32 s38, s3, exec_lo
.LBB111_32:                             ;   in Loop: Header=BB111_3 Depth=1
	s_or_b32 exec_lo, exec_lo, s35
	s_delay_alu instid0(SALU_CYCLE_1)
	s_and_b32 s35, s39, exec_lo
	s_and_b32 s34, s34, exec_lo
	;; [unrolled: 1-line block ×4, first 2 shown]
.LBB111_33:                             ;   in Loop: Header=BB111_3 Depth=1
	s_and_not1_saveexec_b32 s2, s36
; %bb.34:                               ;   in Loop: Header=BB111_3 Depth=1
	v_cmp_lt_i32_e32 vcc_lo, 1, v10
	s_and_not1_b32 s36, s38, exec_lo
	s_mov_b32 s33, exec_lo
	s_and_not1_b32 s35, s35, exec_lo
	s_and_not1_b32 s34, s34, exec_lo
	s_and_b32 s37, vcc_lo, exec_lo
	s_and_not1_b32 s3, s3, exec_lo
	s_or_b32 s38, s36, s37
; %bb.35:                               ;   in Loop: Header=BB111_3 Depth=1
	s_or_b32 exec_lo, exec_lo, s2
	s_mov_b32 s36, 0
	s_mov_b32 s37, 0
	s_mov_b32 s2, s35
	s_and_saveexec_b32 s39, s38
	s_cbranch_execnz .LBB111_38
; %bb.36:                               ;   in Loop: Header=BB111_3 Depth=1
	s_or_b32 exec_lo, exec_lo, s39
	s_and_saveexec_b32 s1, s33
	s_cbranch_execnz .LBB111_41
.LBB111_37:                             ;   in Loop: Header=BB111_3 Depth=1
	s_or_b32 exec_lo, exec_lo, s1
	s_and_saveexec_b32 s33, s37
	s_cbranch_execnz .LBB111_42
	s_branch .LBB111_45
.LBB111_38:                             ;   in Loop: Header=BB111_3 Depth=1
	v_cmp_le_f32_e32 vcc_lo, 0, v31
	v_cmp_ge_f32_e64 s2, 1.0, v31
	s_delay_alu instid0(VALU_DEP_1) | instskip(NEXT) | instid1(SALU_CYCLE_1)
	s_and_b32 s2, vcc_lo, s2
	s_and_saveexec_b32 s38, s2
	s_delay_alu instid0(SALU_CYCLE_1)
	s_xor_b32 s2, exec_lo, s38
	s_cbranch_execz .LBB111_40
; %bb.39:                               ;   in Loop: Header=BB111_3 Depth=1
	v_cvt_f32_u32_e32 v5, v8
	v_add_nc_u32_e32 v6, s25, v29
	s_mov_b32 s37, exec_lo
	s_delay_alu instid0(VALU_DEP_2) | instskip(NEXT) | instid1(VALU_DEP_2)
	v_fmaak_f32 v5, 0x2f800000, v5, 0x2f800000
	v_cndmask_b32_e64 v6, 0, v6, s1
	s_delay_alu instid0(VALU_DEP_2)
	v_cmp_le_f32_e32 vcc_lo, v5, v31
	v_cndmask_b32_e64 v5, 0, 1, vcc_lo
	global_store_b8 v6, v5, s[8:9]
.LBB111_40:                             ;   in Loop: Header=BB111_3 Depth=1
	s_or_b32 exec_lo, exec_lo, s2
	s_delay_alu instid0(SALU_CYCLE_1)
	s_and_not1_b32 s2, s35, exec_lo
	s_or_b32 s35, s35, exec_lo
	s_and_not1_b32 s34, s34, exec_lo
	s_and_not1_b32 s3, s3, exec_lo
	s_and_b32 s37, s37, exec_lo
	s_and_not1_b32 s33, s33, exec_lo
	s_or_b32 exec_lo, exec_lo, s39
	s_and_saveexec_b32 s1, s33
	s_cbranch_execz .LBB111_37
.LBB111_41:                             ;   in Loop: Header=BB111_3 Depth=1
	v_cmp_eq_u32_e32 vcc_lo, 1, v10
	s_and_not1_b32 s33, s37, exec_lo
	s_mov_b32 s36, exec_lo
	s_and_not1_b32 s2, s2, exec_lo
	s_and_not1_b32 s35, s35, exec_lo
	s_and_b32 s37, vcc_lo, exec_lo
	s_and_not1_b32 s34, s34, exec_lo
	s_and_not1_b32 s3, s3, exec_lo
	s_or_b32 s37, s33, s37
	s_or_b32 exec_lo, exec_lo, s1
	s_and_saveexec_b32 s33, s37
	s_cbranch_execz .LBB111_45
.LBB111_42:                             ;   in Loop: Header=BB111_3 Depth=1
	v_cmp_le_f32_e32 vcc_lo, 0, v3
	v_cmp_ge_f32_e64 s1, 1.0, v3
	s_delay_alu instid0(VALU_DEP_1)
	s_and_b32 s38, vcc_lo, s1
	s_mov_b32 s1, 0
	s_and_saveexec_b32 s37, s38
	s_cbranch_execz .LBB111_44
; %bb.43:                               ;   in Loop: Header=BB111_3 Depth=1
	v_cvt_f32_u32_e32 v5, v7
	v_add_nc_u32_e32 v6, s25, v24
	s_mov_b32 s1, exec_lo
	s_delay_alu instid0(VALU_DEP_2) | instskip(NEXT) | instid1(VALU_DEP_2)
	v_fmaak_f32 v5, 0x2f800000, v5, 0x2f800000
	v_cndmask_b32_e64 v6, 0, v6, s0
	s_delay_alu instid0(VALU_DEP_2)
	v_cmp_le_f32_e32 vcc_lo, v5, v3
	v_cndmask_b32_e64 v3, 0, 1, vcc_lo
	global_store_b8 v6, v3, s[8:9]
.LBB111_44:                             ;   in Loop: Header=BB111_3 Depth=1
	s_or_b32 exec_lo, exec_lo, s37
	s_delay_alu instid0(SALU_CYCLE_1)
	s_and_not1_b32 s0, s36, exec_lo
	s_and_b32 s1, s1, exec_lo
	s_or_b32 s2, s2, exec_lo
	s_and_not1_b32 s35, s35, exec_lo
	s_and_not1_b32 s34, s34, exec_lo
	;; [unrolled: 1-line block ×3, first 2 shown]
	s_or_b32 s36, s0, s1
.LBB111_45:                             ;   in Loop: Header=BB111_3 Depth=1
	s_or_b32 exec_lo, exec_lo, s33
	s_delay_alu instid0(SALU_CYCLE_1)
	s_and_not1_b32 s1, s31, exec_lo
	s_and_b32 s2, s2, exec_lo
	s_and_not1_b32 s29, s29, exec_lo
	s_and_b32 s33, s35, exec_lo
	s_or_b32 s31, s1, s2
	s_and_not1_b32 s1, s30, exec_lo
	s_and_b32 s2, s34, exec_lo
	s_and_not1_b32 s28, s28, exec_lo
	s_and_b32 s3, s3, exec_lo
	s_mov_b32 s0, -1
	s_or_b32 s29, s29, s33
	s_or_b32 s30, s1, s2
	;; [unrolled: 1-line block ×3, first 2 shown]
	s_and_saveexec_b32 s1, s36
	s_cbranch_execz .LBB111_2
; %bb.46:                               ;   in Loop: Header=BB111_3 Depth=1
	v_add_nc_u32_e32 v0, s21, v0
	v_subrev_nc_u32_e32 v25, s21, v25
	s_add_i32 s25, s25, s23
	s_and_not1_b32 s31, s31, exec_lo
	s_and_not1_b32 s29, s29, exec_lo
	v_cmp_le_u32_e32 vcc_lo, s16, v0
	s_and_not1_b32 s30, s30, exec_lo
	s_and_not1_b32 s28, s28, exec_lo
	s_or_not1_b32 s0, vcc_lo, exec_lo
	s_branch .LBB111_2
.LBB111_47:
	s_or_b32 exec_lo, exec_lo, s22
	s_xor_b32 s3, s26, -1
	s_xor_b32 s4, s27, -1
	;; [unrolled: 1-line block ×3, first 2 shown]
	s_mov_b32 s1, 0
	s_and_saveexec_b32 s2, s0
	s_delay_alu instid0(SALU_CYCLE_1)
	s_xor_b32 s0, exec_lo, s2
	s_cbranch_execz .LBB111_56
; %bb.48:
	s_mov_b32 s2, 0
	s_and_saveexec_b32 s1, s4
	s_delay_alu instid0(SALU_CYCLE_1)
	s_xor_b32 s1, exec_lo, s1
	s_cbranch_execz .LBB111_54
; %bb.49:
	s_and_saveexec_b32 s4, s3
	s_delay_alu instid0(SALU_CYCLE_1)
	s_xor_b32 s3, exec_lo, s4
	s_cbranch_execz .LBB111_52
; %bb.50:
	s_and_saveexec_b32 s4, s20
	s_delay_alu instid0(SALU_CYCLE_1)
	s_xor_b32 s4, exec_lo, s4
	s_cbranch_execnz .LBB111_70
.LBB111_51:
	s_or_b32 exec_lo, exec_lo, s4
	s_delay_alu instid0(SALU_CYCLE_1)
	s_and_b32 s2, s2, exec_lo
.LBB111_52:
	s_and_not1_saveexec_b32 s3, s3
	s_cbranch_execnz .LBB111_66
.LBB111_53:
	s_or_b32 exec_lo, exec_lo, s3
	s_delay_alu instid0(SALU_CYCLE_1)
	s_and_b32 s2, s2, exec_lo
.LBB111_54:
	s_and_not1_saveexec_b32 s1, s1
	s_cbranch_execnz .LBB111_62
.LBB111_55:
	s_or_b32 exec_lo, exec_lo, s1
	s_delay_alu instid0(SALU_CYCLE_1)
	s_and_b32 s1, s2, exec_lo
.LBB111_56:
	s_and_not1_saveexec_b32 s0, s0
	s_cbranch_execnz .LBB111_60
; %bb.57:
	s_or_b32 exec_lo, exec_lo, s0
	s_delay_alu instid0(SALU_CYCLE_1)
	s_and_b32 exec_lo, exec_lo, s1
.LBB111_58:
	; divergent unreachable
.LBB111_59:
	s_nop 0
	s_sendmsg sendmsg(MSG_DEALLOC_VGPRS)
	s_endpgm
.LBB111_60:
	s_cbranch_execnz .LBB111_64
; %bb.61:
	s_or_b32 s1, s1, exec_lo
	s_or_b32 exec_lo, exec_lo, s0
	s_delay_alu instid0(SALU_CYCLE_1)
	s_and_b32 exec_lo, exec_lo, s1
	s_cbranch_execnz .LBB111_58
	s_branch .LBB111_59
.LBB111_62:
	s_cbranch_execnz .LBB111_68
; %bb.63:
	s_or_b32 s2, s2, exec_lo
	s_branch .LBB111_55
.LBB111_64:
	s_trap 2
	s_sendmsg_rtn_b32 s0, sendmsg(MSG_RTN_GET_DOORBELL)
	s_mov_b32 ttmp2, m0
	s_waitcnt lgkmcnt(0)
	s_and_b32 s0, s0, 0x3ff
	s_delay_alu instid0(SALU_CYCLE_1) | instskip(NEXT) | instid1(SALU_CYCLE_1)
	s_bitset1_b32 s0, 10
	s_mov_b32 m0, s0
	s_sendmsg sendmsg(MSG_INTERRUPT)
	s_mov_b32 m0, ttmp2
.LBB111_65:                             ; =>This Inner Loop Header: Depth=1
	s_sethalt 5
	s_branch .LBB111_65
.LBB111_66:
	s_cbranch_execnz .LBB111_72
; %bb.67:
	s_or_b32 s2, s2, exec_lo
	s_branch .LBB111_53
.LBB111_68:
	s_trap 2
	s_sendmsg_rtn_b32 s0, sendmsg(MSG_RTN_GET_DOORBELL)
	s_mov_b32 ttmp2, m0
	s_waitcnt lgkmcnt(0)
	s_and_b32 s0, s0, 0x3ff
	s_delay_alu instid0(SALU_CYCLE_1) | instskip(NEXT) | instid1(SALU_CYCLE_1)
	s_bitset1_b32 s0, 10
	s_mov_b32 m0, s0
	s_sendmsg sendmsg(MSG_INTERRUPT)
	s_mov_b32 m0, ttmp2
.LBB111_69:                             ; =>This Inner Loop Header: Depth=1
	s_sethalt 5
	s_branch .LBB111_69
.LBB111_70:
	s_cbranch_execnz .LBB111_74
; %bb.71:
	s_mov_b32 s2, exec_lo
	s_branch .LBB111_51
.LBB111_72:
	s_trap 2
	s_sendmsg_rtn_b32 s0, sendmsg(MSG_RTN_GET_DOORBELL)
	s_mov_b32 ttmp2, m0
	s_waitcnt lgkmcnt(0)
	s_and_b32 s0, s0, 0x3ff
	s_delay_alu instid0(SALU_CYCLE_1) | instskip(NEXT) | instid1(SALU_CYCLE_1)
	s_bitset1_b32 s0, 10
	s_mov_b32 m0, s0
	s_sendmsg sendmsg(MSG_INTERRUPT)
	s_mov_b32 m0, ttmp2
.LBB111_73:                             ; =>This Inner Loop Header: Depth=1
	s_sethalt 5
	s_branch .LBB111_73
.LBB111_74:
	s_trap 2
	s_sendmsg_rtn_b32 s0, sendmsg(MSG_RTN_GET_DOORBELL)
	s_mov_b32 ttmp2, m0
	s_waitcnt lgkmcnt(0)
	s_and_b32 s0, s0, 0x3ff
	s_delay_alu instid0(SALU_CYCLE_1) | instskip(NEXT) | instid1(SALU_CYCLE_1)
	s_bitset1_b32 s0, 10
	s_mov_b32 m0, s0
	s_sendmsg sendmsg(MSG_INTERRUPT)
	s_mov_b32 m0, ttmp2
.LBB111_75:                             ; =>This Inner Loop Header: Depth=1
	s_sethalt 5
	s_branch .LBB111_75
	.section	.rodata,"a",@progbits
	.p2align	6, 0x0
	.amdhsa_kernel _ZN2at4cuda12_GLOBAL__N_121kernelPointwiseApply2IZNS_6native9templates4cuda28bernoulli_tensor_cuda_kernelIbfEEvRKNS_10TensorBaseES9_NS_15PhiloxCudaStateEEUliRbSB_SB_SB_RKfSD_SD_SD_E_bSC_jLi1ELi2ELi4ELi512ELi2EEEvNS0_6detail10TensorInfoIT0_T2_EENSG_IT1_SI_EESI_T_
		.amdhsa_group_segment_fixed_size 0
		.amdhsa_private_segment_fixed_size 0
		.amdhsa_kernarg_size 728
		.amdhsa_user_sgpr_count 15
		.amdhsa_user_sgpr_dispatch_ptr 0
		.amdhsa_user_sgpr_queue_ptr 0
		.amdhsa_user_sgpr_kernarg_segment_ptr 1
		.amdhsa_user_sgpr_dispatch_id 0
		.amdhsa_user_sgpr_private_segment_size 0
		.amdhsa_wavefront_size32 1
		.amdhsa_uses_dynamic_stack 0
		.amdhsa_enable_private_segment 0
		.amdhsa_system_sgpr_workgroup_id_x 1
		.amdhsa_system_sgpr_workgroup_id_y 0
		.amdhsa_system_sgpr_workgroup_id_z 0
		.amdhsa_system_sgpr_workgroup_info 0
		.amdhsa_system_vgpr_workitem_id 0
		.amdhsa_next_free_vgpr 42
		.amdhsa_next_free_sgpr 40
		.amdhsa_reserve_vcc 1
		.amdhsa_float_round_mode_32 0
		.amdhsa_float_round_mode_16_64 0
		.amdhsa_float_denorm_mode_32 3
		.amdhsa_float_denorm_mode_16_64 3
		.amdhsa_dx10_clamp 1
		.amdhsa_ieee_mode 1
		.amdhsa_fp16_overflow 0
		.amdhsa_workgroup_processor_mode 1
		.amdhsa_memory_ordered 1
		.amdhsa_forward_progress 0
		.amdhsa_shared_vgpr_count 0
		.amdhsa_exception_fp_ieee_invalid_op 0
		.amdhsa_exception_fp_denorm_src 0
		.amdhsa_exception_fp_ieee_div_zero 0
		.amdhsa_exception_fp_ieee_overflow 0
		.amdhsa_exception_fp_ieee_underflow 0
		.amdhsa_exception_fp_ieee_inexact 0
		.amdhsa_exception_int_div_zero 0
	.end_amdhsa_kernel
	.section	.text._ZN2at4cuda12_GLOBAL__N_121kernelPointwiseApply2IZNS_6native9templates4cuda28bernoulli_tensor_cuda_kernelIbfEEvRKNS_10TensorBaseES9_NS_15PhiloxCudaStateEEUliRbSB_SB_SB_RKfSD_SD_SD_E_bSC_jLi1ELi2ELi4ELi512ELi2EEEvNS0_6detail10TensorInfoIT0_T2_EENSG_IT1_SI_EESI_T_,"axG",@progbits,_ZN2at4cuda12_GLOBAL__N_121kernelPointwiseApply2IZNS_6native9templates4cuda28bernoulli_tensor_cuda_kernelIbfEEvRKNS_10TensorBaseES9_NS_15PhiloxCudaStateEEUliRbSB_SB_SB_RKfSD_SD_SD_E_bSC_jLi1ELi2ELi4ELi512ELi2EEEvNS0_6detail10TensorInfoIT0_T2_EENSG_IT1_SI_EESI_T_,comdat
.Lfunc_end111:
	.size	_ZN2at4cuda12_GLOBAL__N_121kernelPointwiseApply2IZNS_6native9templates4cuda28bernoulli_tensor_cuda_kernelIbfEEvRKNS_10TensorBaseES9_NS_15PhiloxCudaStateEEUliRbSB_SB_SB_RKfSD_SD_SD_E_bSC_jLi1ELi2ELi4ELi512ELi2EEEvNS0_6detail10TensorInfoIT0_T2_EENSG_IT1_SI_EESI_T_, .Lfunc_end111-_ZN2at4cuda12_GLOBAL__N_121kernelPointwiseApply2IZNS_6native9templates4cuda28bernoulli_tensor_cuda_kernelIbfEEvRKNS_10TensorBaseES9_NS_15PhiloxCudaStateEEUliRbSB_SB_SB_RKfSD_SD_SD_E_bSC_jLi1ELi2ELi4ELi512ELi2EEEvNS0_6detail10TensorInfoIT0_T2_EENSG_IT1_SI_EESI_T_
                                        ; -- End function
	.section	.AMDGPU.csdata,"",@progbits
; Kernel info:
; codeLenInByte = 3660
; NumSgprs: 42
; NumVgprs: 42
; ScratchSize: 0
; MemoryBound: 0
; FloatMode: 240
; IeeeMode: 1
; LDSByteSize: 0 bytes/workgroup (compile time only)
; SGPRBlocks: 5
; VGPRBlocks: 5
; NumSGPRsForWavesPerEU: 42
; NumVGPRsForWavesPerEU: 42
; Occupancy: 16
; WaveLimiterHint : 1
; COMPUTE_PGM_RSRC2:SCRATCH_EN: 0
; COMPUTE_PGM_RSRC2:USER_SGPR: 15
; COMPUTE_PGM_RSRC2:TRAP_HANDLER: 0
; COMPUTE_PGM_RSRC2:TGID_X_EN: 1
; COMPUTE_PGM_RSRC2:TGID_Y_EN: 0
; COMPUTE_PGM_RSRC2:TGID_Z_EN: 0
; COMPUTE_PGM_RSRC2:TIDIG_COMP_CNT: 0
	.section	.text._ZN2at4cuda12_GLOBAL__N_121kernelPointwiseApply2IZNS_6native9templates4cuda28bernoulli_tensor_cuda_kernelIbfEEvRKNS_10TensorBaseES9_NS_15PhiloxCudaStateEEUliRbSB_SB_SB_RKfSD_SD_SD_E_bSC_jLi1ELin1ELi4ELi512ELi2EEEvNS0_6detail10TensorInfoIT0_T2_EENSG_IT1_SI_EESI_T_,"axG",@progbits,_ZN2at4cuda12_GLOBAL__N_121kernelPointwiseApply2IZNS_6native9templates4cuda28bernoulli_tensor_cuda_kernelIbfEEvRKNS_10TensorBaseES9_NS_15PhiloxCudaStateEEUliRbSB_SB_SB_RKfSD_SD_SD_E_bSC_jLi1ELin1ELi4ELi512ELi2EEEvNS0_6detail10TensorInfoIT0_T2_EENSG_IT1_SI_EESI_T_,comdat
	.globl	_ZN2at4cuda12_GLOBAL__N_121kernelPointwiseApply2IZNS_6native9templates4cuda28bernoulli_tensor_cuda_kernelIbfEEvRKNS_10TensorBaseES9_NS_15PhiloxCudaStateEEUliRbSB_SB_SB_RKfSD_SD_SD_E_bSC_jLi1ELin1ELi4ELi512ELi2EEEvNS0_6detail10TensorInfoIT0_T2_EENSG_IT1_SI_EESI_T_ ; -- Begin function _ZN2at4cuda12_GLOBAL__N_121kernelPointwiseApply2IZNS_6native9templates4cuda28bernoulli_tensor_cuda_kernelIbfEEvRKNS_10TensorBaseES9_NS_15PhiloxCudaStateEEUliRbSB_SB_SB_RKfSD_SD_SD_E_bSC_jLi1ELin1ELi4ELi512ELi2EEEvNS0_6detail10TensorInfoIT0_T2_EENSG_IT1_SI_EESI_T_
	.p2align	8
	.type	_ZN2at4cuda12_GLOBAL__N_121kernelPointwiseApply2IZNS_6native9templates4cuda28bernoulli_tensor_cuda_kernelIbfEEvRKNS_10TensorBaseES9_NS_15PhiloxCudaStateEEUliRbSB_SB_SB_RKfSD_SD_SD_E_bSC_jLi1ELin1ELi4ELi512ELi2EEEvNS0_6detail10TensorInfoIT0_T2_EENSG_IT1_SI_EESI_T_,@function
_ZN2at4cuda12_GLOBAL__N_121kernelPointwiseApply2IZNS_6native9templates4cuda28bernoulli_tensor_cuda_kernelIbfEEvRKNS_10TensorBaseES9_NS_15PhiloxCudaStateEEUliRbSB_SB_SB_RKfSD_SD_SD_E_bSC_jLi1ELin1ELi4ELi512ELi2EEEvNS0_6detail10TensorInfoIT0_T2_EENSG_IT1_SI_EESI_T_: ; @_ZN2at4cuda12_GLOBAL__N_121kernelPointwiseApply2IZNS_6native9templates4cuda28bernoulli_tensor_cuda_kernelIbfEEvRKNS_10TensorBaseES9_NS_15PhiloxCudaStateEEUliRbSB_SB_SB_RKfSD_SD_SD_E_bSC_jLi1ELin1ELi4ELi512ELi2EEEvNS0_6detail10TensorInfoIT0_T2_EENSG_IT1_SI_EESI_T_
; %bb.0:
	s_clause 0x1
	s_load_b32 s4, s[0:1], 0x1e4
	s_load_b32 s20, s[0:1], 0x1b0
	s_add_u32 s2, s0, 0x1d8
	s_addc_u32 s3, s1, 0
	s_waitcnt lgkmcnt(0)
	s_and_b32 s14, s4, 0xffff
	s_mov_b32 s4, exec_lo
	v_mad_u64_u32 v[1:2], null, s15, s14, v[0:1]
	s_delay_alu instid0(VALU_DEP_1) | instskip(NEXT) | instid1(VALU_DEP_1)
	v_lshlrev_b32_e32 v24, 2, v1
	v_cmpx_gt_u32_e64 s20, v24
	s_cbranch_execz .LBB112_73
; %bb.1:
	s_load_b32 s16, s[0:1], 0x1a8
	s_load_b32 s2, s[2:3], 0x0
	s_clause 0x6
	s_load_b32 s3, s[0:1], 0x1d0
	s_load_b128 s[4:7], s[0:1], 0x1b8
	s_load_b64 s[8:9], s[0:1], 0x1c8
	s_load_b64 s[10:11], s[0:1], 0x0
	s_load_b32 s21, s[0:1], 0x6c
	s_load_b32 s22, s[0:1], 0x144
	s_load_b64 s[12:13], s[0:1], 0xd8
	s_add_u32 s17, s0, 0xd8
	s_addc_u32 s18, s1, 0
	v_mad_u64_u32 v[2:3], null, 0xcd9e8d57, v1, 0
	s_mov_b32 s15, 0
	v_mov_b32_e32 v4, 0
                                        ; implicit-def: $sgpr27
                                        ; implicit-def: $sgpr29
                                        ; implicit-def: $sgpr28
                                        ; implicit-def: $sgpr30
                                        ; implicit-def: $sgpr33
                                        ; implicit-def: $sgpr31
                                        ; implicit-def: $sgpr34
	s_delay_alu instid0(VALU_DEP_2)
	v_mov_b32_e32 v25, v3
	s_waitcnt lgkmcnt(0)
	s_cmp_gt_i32 s16, 1
	s_mul_i32 s2, s2, s14
	s_cselect_b32 s23, -1, 0
	s_bitcmp1_b32 s3, 0
	s_cselect_b32 s24, -1, 0
	s_add_i32 s14, s16, -1
	s_lshl_b32 s25, s2, 2
	s_lshl_b64 s[0:1], s[14:15], 2
	s_add_i32 s26, s16, 1
	s_add_u32 s0, s0, s17
	s_addc_u32 s1, s1, s18
	s_add_u32 s16, s0, 8
	s_addc_u32 s17, s1, 0
                                        ; implicit-def: $sgpr14
	s_branch .LBB112_3
.LBB112_2:                              ;   in Loop: Header=BB112_3 Depth=1
	s_or_b32 exec_lo, exec_lo, s1
	s_delay_alu instid0(SALU_CYCLE_1) | instskip(NEXT) | instid1(SALU_CYCLE_1)
	s_and_b32 s0, exec_lo, s0
	s_or_b32 s15, s0, s15
	s_and_not1_b32 s0, s14, exec_lo
	s_and_b32 s1, s34, exec_lo
	s_and_not1_b32 s2, s28, exec_lo
	s_and_b32 s3, s31, exec_lo
	s_or_b32 s14, s0, s1
	s_or_b32 s28, s2, s3
	s_and_not1_b32 s0, s29, exec_lo
	s_and_b32 s1, s33, exec_lo
	s_and_not1_b32 s2, s27, exec_lo
	s_and_b32 s3, s30, exec_lo
	s_or_b32 s29, s0, s1
	s_or_b32 s27, s2, s3
	s_and_not1_b32 exec_lo, exec_lo, s15
	s_cbranch_execz .LBB112_61
.LBB112_3:                              ; =>This Loop Header: Depth=1
                                        ;     Child Loop BB112_6 Depth 2
                                        ;     Child Loop BB112_11 Depth 2
	;; [unrolled: 1-line block ×4, first 2 shown]
	v_sub_nc_u32_e32 v26, s20, v24
	v_mov_b32_e32 v3, 0
	s_delay_alu instid0(VALU_DEP_2) | instskip(NEXT) | instid1(VALU_DEP_1)
	v_cmp_lt_i32_e64 s0, 0, v26
	s_and_saveexec_b32 s1, s0
	s_cbranch_execz .LBB112_8
; %bb.4:                                ;   in Loop: Header=BB112_3 Depth=1
	v_dual_mov_b32 v0, 0 :: v_dual_mov_b32 v3, v24
	s_and_not1_b32 vcc_lo, exec_lo, s23
	s_cbranch_vccnz .LBB112_7
; %bb.5:                                ;   in Loop: Header=BB112_3 Depth=1
	v_dual_mov_b32 v0, 0 :: v_dual_mov_b32 v3, v24
	s_mov_b64 s[2:3], s[16:17]
	s_mov_b32 s18, s26
	s_set_inst_prefetch_distance 0x1
	.p2align	6
.LBB112_6:                              ;   Parent Loop BB112_3 Depth=1
                                        ; =>  This Inner Loop Header: Depth=2
	s_clause 0x1
	s_load_b32 s19, s[2:3], 0x0
	s_load_b32 s35, s[2:3], 0x64
	v_mov_b32_e32 v7, v3
	s_add_i32 s18, s18, -1
	s_waitcnt lgkmcnt(0)
	v_cvt_f32_u32_e32 v5, s19
	s_sub_i32 s36, 0, s19
	s_add_u32 s2, s2, -4
	s_addc_u32 s3, s3, -1
	s_cmp_gt_u32 s18, 2
	v_rcp_iflag_f32_e32 v5, v5
	s_waitcnt_depctr 0xfff
	v_mul_f32_e32 v5, 0x4f7ffffe, v5
	s_delay_alu instid0(VALU_DEP_1) | instskip(NEXT) | instid1(VALU_DEP_1)
	v_cvt_u32_f32_e32 v5, v5
	v_mul_lo_u32 v6, s36, v5
	s_delay_alu instid0(VALU_DEP_1) | instskip(NEXT) | instid1(VALU_DEP_1)
	v_mul_hi_u32 v6, v5, v6
	v_add_nc_u32_e32 v3, v5, v6
	s_delay_alu instid0(VALU_DEP_1) | instskip(NEXT) | instid1(VALU_DEP_1)
	v_mul_hi_u32 v3, v7, v3
	v_add_nc_u32_e32 v6, 1, v3
	v_mul_lo_u32 v5, v3, s19
	s_delay_alu instid0(VALU_DEP_1) | instskip(NEXT) | instid1(VALU_DEP_1)
	v_sub_nc_u32_e32 v5, v7, v5
	v_subrev_nc_u32_e32 v8, s19, v5
	v_cmp_le_u32_e32 vcc_lo, s19, v5
	v_cndmask_b32_e32 v3, v3, v6, vcc_lo
	s_delay_alu instid0(VALU_DEP_1) | instskip(NEXT) | instid1(VALU_DEP_1)
	v_dual_cndmask_b32 v5, v5, v8 :: v_dual_add_nc_u32 v6, 1, v3
	v_cmp_le_u32_e32 vcc_lo, s19, v5
	s_delay_alu instid0(VALU_DEP_2) | instskip(NEXT) | instid1(VALU_DEP_1)
	v_cndmask_b32_e32 v3, v3, v6, vcc_lo
	v_mul_lo_u32 v5, v3, s19
	s_delay_alu instid0(VALU_DEP_1) | instskip(NEXT) | instid1(VALU_DEP_1)
	v_sub_nc_u32_e32 v7, v7, v5
	v_mad_u64_u32 v[5:6], null, s35, v7, v[0:1]
	s_delay_alu instid0(VALU_DEP_1)
	v_mov_b32_e32 v0, v5
	s_cbranch_scc1 .LBB112_6
.LBB112_7:                              ;   in Loop: Header=BB112_3 Depth=1
	s_set_inst_prefetch_distance 0x2
	s_delay_alu instid0(VALU_DEP_1) | instskip(NEXT) | instid1(VALU_DEP_1)
	v_mad_u64_u32 v[5:6], null, s22, v3, v[0:1]
	v_mov_b32_e32 v3, v5
.LBB112_8:                              ;   in Loop: Header=BB112_3 Depth=1
	s_or_b32 exec_lo, exec_lo, s1
	v_mov_b32_e32 v5, 0
	v_mov_b32_e32 v6, 0
	v_cmp_lt_i32_e64 s1, 1, v26
	s_delay_alu instid0(VALU_DEP_1)
	s_and_saveexec_b32 s18, s1
	s_cbranch_execz .LBB112_13
; %bb.9:                                ;   in Loop: Header=BB112_3 Depth=1
	v_or_b32_e32 v7, 1, v24
	v_mov_b32_e32 v0, 0
	s_and_not1_b32 vcc_lo, exec_lo, s23
	s_cbranch_vccnz .LBB112_12
; %bb.10:                               ;   in Loop: Header=BB112_3 Depth=1
	v_mov_b32_e32 v0, 0
	s_mov_b64 s[2:3], s[16:17]
	s_mov_b32 s19, s26
	s_set_inst_prefetch_distance 0x1
	.p2align	6
.LBB112_11:                             ;   Parent Loop BB112_3 Depth=1
                                        ; =>  This Inner Loop Header: Depth=2
	s_clause 0x1
	s_load_b32 s35, s[2:3], 0x0
	s_load_b32 s36, s[2:3], 0x64
	s_add_i32 s19, s19, -1
	v_mov_b32_e32 v8, v7
	s_waitcnt lgkmcnt(0)
	v_cvt_f32_u32_e32 v5, s35
	s_sub_i32 s37, 0, s35
	s_add_u32 s2, s2, -4
	s_addc_u32 s3, s3, -1
	s_cmp_gt_u32 s19, 2
	v_rcp_iflag_f32_e32 v5, v5
	s_waitcnt_depctr 0xfff
	v_mul_f32_e32 v5, 0x4f7ffffe, v5
	s_delay_alu instid0(VALU_DEP_1) | instskip(NEXT) | instid1(VALU_DEP_1)
	v_cvt_u32_f32_e32 v5, v5
	v_mul_lo_u32 v6, s37, v5
	s_delay_alu instid0(VALU_DEP_1) | instskip(NEXT) | instid1(VALU_DEP_1)
	v_mul_hi_u32 v6, v5, v6
	v_add_nc_u32_e32 v5, v5, v6
	s_delay_alu instid0(VALU_DEP_1) | instskip(NEXT) | instid1(VALU_DEP_1)
	v_mul_hi_u32 v5, v8, v5
	v_mul_lo_u32 v6, v5, s35
	v_add_nc_u32_e32 v7, 1, v5
	s_delay_alu instid0(VALU_DEP_2) | instskip(NEXT) | instid1(VALU_DEP_1)
	v_sub_nc_u32_e32 v6, v8, v6
	v_subrev_nc_u32_e32 v9, s35, v6
	v_cmp_le_u32_e32 vcc_lo, s35, v6
	s_delay_alu instid0(VALU_DEP_2) | instskip(NEXT) | instid1(VALU_DEP_1)
	v_dual_cndmask_b32 v5, v5, v7 :: v_dual_cndmask_b32 v6, v6, v9
	v_add_nc_u32_e32 v7, 1, v5
	s_delay_alu instid0(VALU_DEP_2) | instskip(NEXT) | instid1(VALU_DEP_2)
	v_cmp_le_u32_e32 vcc_lo, s35, v6
	v_cndmask_b32_e32 v7, v5, v7, vcc_lo
	s_delay_alu instid0(VALU_DEP_1) | instskip(NEXT) | instid1(VALU_DEP_1)
	v_mul_lo_u32 v5, v7, s35
	v_sub_nc_u32_e32 v8, v8, v5
	s_delay_alu instid0(VALU_DEP_1) | instskip(NEXT) | instid1(VALU_DEP_1)
	v_mad_u64_u32 v[5:6], null, s36, v8, v[0:1]
	v_mov_b32_e32 v0, v5
	s_cbranch_scc1 .LBB112_11
.LBB112_12:                             ;   in Loop: Header=BB112_3 Depth=1
	s_set_inst_prefetch_distance 0x2
	s_delay_alu instid0(VALU_DEP_1)
	v_mad_u64_u32 v[5:6], null, s22, v7, v[0:1]
	v_mov_b32_e32 v6, v4
.LBB112_13:                             ;   in Loop: Header=BB112_3 Depth=1
	s_or_b32 exec_lo, exec_lo, s18
	v_mov_b32_e32 v9, 0
	v_mov_b32_e32 v10, 0
	v_cmp_lt_i32_e64 s2, 2, v26
	s_delay_alu instid0(VALU_DEP_1)
	s_and_saveexec_b32 s3, s2
	s_cbranch_execz .LBB112_18
; %bb.14:                               ;   in Loop: Header=BB112_3 Depth=1
	v_or_b32_e32 v7, 2, v24
	v_mov_b32_e32 v0, 0
	s_and_not1_b32 vcc_lo, exec_lo, s23
	s_cbranch_vccnz .LBB112_17
; %bb.15:                               ;   in Loop: Header=BB112_3 Depth=1
	v_mov_b32_e32 v0, 0
	s_mov_b64 s[18:19], s[16:17]
	s_mov_b32 s35, s26
	s_set_inst_prefetch_distance 0x1
	.p2align	6
.LBB112_16:                             ;   Parent Loop BB112_3 Depth=1
                                        ; =>  This Inner Loop Header: Depth=2
	s_clause 0x1
	s_load_b32 s36, s[18:19], 0x0
	s_load_b32 s37, s[18:19], 0x64
	s_add_i32 s35, s35, -1
	s_waitcnt lgkmcnt(0)
	v_cvt_f32_u32_e32 v8, s36
	s_sub_i32 s38, 0, s36
	s_add_u32 s18, s18, -4
	s_addc_u32 s19, s19, -1
	s_cmp_gt_u32 s35, 2
	v_rcp_iflag_f32_e32 v8, v8
	s_waitcnt_depctr 0xfff
	v_mul_f32_e32 v8, 0x4f7ffffe, v8
	s_delay_alu instid0(VALU_DEP_1) | instskip(NEXT) | instid1(VALU_DEP_1)
	v_cvt_u32_f32_e32 v8, v8
	v_mul_lo_u32 v9, s38, v8
	s_delay_alu instid0(VALU_DEP_1) | instskip(NEXT) | instid1(VALU_DEP_1)
	v_mul_hi_u32 v9, v8, v9
	v_dual_mov_b32 v10, v7 :: v_dual_add_nc_u32 v7, v8, v9
	s_delay_alu instid0(VALU_DEP_1) | instskip(NEXT) | instid1(VALU_DEP_1)
	v_mul_hi_u32 v7, v10, v7
	v_mul_lo_u32 v8, v7, s36
	v_add_nc_u32_e32 v9, 1, v7
	s_delay_alu instid0(VALU_DEP_2) | instskip(NEXT) | instid1(VALU_DEP_1)
	v_sub_nc_u32_e32 v8, v10, v8
	v_subrev_nc_u32_e32 v11, s36, v8
	v_cmp_le_u32_e32 vcc_lo, s36, v8
	s_delay_alu instid0(VALU_DEP_2) | instskip(NEXT) | instid1(VALU_DEP_1)
	v_dual_cndmask_b32 v7, v7, v9 :: v_dual_cndmask_b32 v8, v8, v11
	v_add_nc_u32_e32 v9, 1, v7
	s_delay_alu instid0(VALU_DEP_2) | instskip(NEXT) | instid1(VALU_DEP_2)
	v_cmp_le_u32_e32 vcc_lo, s36, v8
	v_cndmask_b32_e32 v7, v7, v9, vcc_lo
	s_delay_alu instid0(VALU_DEP_1) | instskip(NEXT) | instid1(VALU_DEP_1)
	v_mul_lo_u32 v8, v7, s36
	v_sub_nc_u32_e32 v10, v10, v8
	s_delay_alu instid0(VALU_DEP_1) | instskip(NEXT) | instid1(VALU_DEP_1)
	v_mad_u64_u32 v[8:9], null, s37, v10, v[0:1]
	v_mov_b32_e32 v0, v8
	s_cbranch_scc1 .LBB112_16
.LBB112_17:                             ;   in Loop: Header=BB112_3 Depth=1
	s_set_inst_prefetch_distance 0x2
	s_delay_alu instid0(VALU_DEP_1)
	v_mad_u64_u32 v[9:10], null, s22, v7, v[0:1]
	v_mov_b32_e32 v10, v4
.LBB112_18:                             ;   in Loop: Header=BB112_3 Depth=1
	s_or_b32 exec_lo, exec_lo, s3
	v_mul_lo_u32 v27, v24, s21
	v_mov_b32_e32 v11, 0
	s_mov_b32 s3, exec_lo
	s_delay_alu instid0(VALU_DEP_2) | instskip(NEXT) | instid1(VALU_DEP_1)
	v_add_nc_u32_e32 v28, s21, v27
	v_dual_mov_b32 v12, 0 :: v_dual_add_nc_u32 v29, s21, v28
	s_delay_alu instid0(VALU_DEP_1)
	v_dual_mov_b32 v7, v11 :: v_dual_mov_b32 v8, v12
	v_cmpx_lt_i32_e32 3, v26
	s_cbranch_execz .LBB112_23
; %bb.19:                               ;   in Loop: Header=BB112_3 Depth=1
	v_or_b32_e32 v7, 3, v24
	v_mov_b32_e32 v0, 0
	s_and_not1_b32 vcc_lo, exec_lo, s23
	s_cbranch_vccnz .LBB112_22
; %bb.20:                               ;   in Loop: Header=BB112_3 Depth=1
	v_mov_b32_e32 v0, 0
	s_mov_b64 s[18:19], s[16:17]
	s_mov_b32 s35, s26
	s_set_inst_prefetch_distance 0x1
	.p2align	6
.LBB112_21:                             ;   Parent Loop BB112_3 Depth=1
                                        ; =>  This Inner Loop Header: Depth=2
	s_clause 0x1
	s_load_b32 s36, s[18:19], 0x0
	s_load_b32 s37, s[18:19], 0x64
	s_add_i32 s35, s35, -1
	s_waitcnt lgkmcnt(0)
	v_cvt_f32_u32_e32 v8, s36
	s_sub_i32 s38, 0, s36
	s_add_u32 s18, s18, -4
	s_addc_u32 s19, s19, -1
	s_cmp_gt_u32 s35, 2
	v_rcp_iflag_f32_e32 v8, v8
	s_waitcnt_depctr 0xfff
	v_mul_f32_e32 v8, 0x4f7ffffe, v8
	s_delay_alu instid0(VALU_DEP_1) | instskip(NEXT) | instid1(VALU_DEP_1)
	v_cvt_u32_f32_e32 v8, v8
	v_mul_lo_u32 v11, s38, v8
	s_delay_alu instid0(VALU_DEP_1) | instskip(NEXT) | instid1(VALU_DEP_1)
	v_mul_hi_u32 v11, v8, v11
	v_dual_mov_b32 v12, v7 :: v_dual_add_nc_u32 v7, v8, v11
	s_delay_alu instid0(VALU_DEP_1) | instskip(NEXT) | instid1(VALU_DEP_1)
	v_mul_hi_u32 v7, v12, v7
	v_mul_lo_u32 v8, v7, s36
	v_add_nc_u32_e32 v11, 1, v7
	s_delay_alu instid0(VALU_DEP_2) | instskip(NEXT) | instid1(VALU_DEP_1)
	v_sub_nc_u32_e32 v8, v12, v8
	v_subrev_nc_u32_e32 v13, s36, v8
	v_cmp_le_u32_e32 vcc_lo, s36, v8
	s_delay_alu instid0(VALU_DEP_2) | instskip(NEXT) | instid1(VALU_DEP_1)
	v_dual_cndmask_b32 v7, v7, v11 :: v_dual_cndmask_b32 v8, v8, v13
	v_add_nc_u32_e32 v11, 1, v7
	s_delay_alu instid0(VALU_DEP_2) | instskip(NEXT) | instid1(VALU_DEP_2)
	v_cmp_le_u32_e32 vcc_lo, s36, v8
	v_cndmask_b32_e32 v7, v7, v11, vcc_lo
	s_delay_alu instid0(VALU_DEP_1) | instskip(NEXT) | instid1(VALU_DEP_1)
	v_mul_lo_u32 v8, v7, s36
	v_sub_nc_u32_e32 v8, v12, v8
	s_delay_alu instid0(VALU_DEP_1) | instskip(NEXT) | instid1(VALU_DEP_1)
	v_mad_u64_u32 v[11:12], null, s37, v8, v[0:1]
	v_mov_b32_e32 v0, v11
	s_cbranch_scc1 .LBB112_21
.LBB112_22:                             ;   in Loop: Header=BB112_3 Depth=1
	s_set_inst_prefetch_distance 0x2
	s_delay_alu instid0(VALU_DEP_1)
	v_mad_u64_u32 v[11:12], null, s22, v7, v[0:1]
	v_dual_mov_b32 v8, v4 :: v_dual_add_nc_u32 v7, s21, v29
	v_mov_b32_e32 v12, v4
.LBB112_23:                             ;   in Loop: Header=BB112_3 Depth=1
	s_or_b32 exec_lo, exec_lo, s3
	v_lshlrev_b64 v[13:14], 2, v[3:4]
	v_lshlrev_b64 v[5:6], 2, v[5:6]
	;; [unrolled: 1-line block ×4, first 2 shown]
	s_delay_alu instid0(VALU_DEP_4)
	v_add_co_u32 v13, vcc_lo, s12, v13
	v_add_co_ci_u32_e32 v14, vcc_lo, s13, v14, vcc_lo
	v_add_co_u32 v5, vcc_lo, s12, v5
	v_add_co_ci_u32_e32 v6, vcc_lo, s13, v6, vcc_lo
	;; [unrolled: 2-line block ×4, first 2 shown]
	s_clause 0x3
	global_load_b32 v0, v[13:14], off
	global_load_b32 v3, v[5:6], off
	;; [unrolled: 1-line block ×4, first 2 shown]
	v_dual_mov_b32 v12, s7 :: v_dual_mov_b32 v11, s6
	v_dual_mov_b32 v14, s5 :: v_dual_mov_b32 v13, s4
	s_and_not1_b32 vcc_lo, exec_lo, s24
	s_cbranch_vccnz .LBB112_25
; %bb.24:                               ;   in Loop: Header=BB112_3 Depth=1
	v_dual_mov_b32 v5, s6 :: v_dual_mov_b32 v6, s7
	v_dual_mov_b32 v10, s5 :: v_dual_mov_b32 v9, s4
	flat_load_b64 v[5:6], v[5:6]
	flat_load_b64 v[13:14], v[9:10]
	s_waitcnt vmcnt(1) lgkmcnt(1)
	v_add_co_u32 v11, vcc_lo, v5, s8
	v_add_co_ci_u32_e32 v12, vcc_lo, s9, v6, vcc_lo
.LBB112_25:                             ;   in Loop: Header=BB112_3 Depth=1
	s_delay_alu instid0(VALU_DEP_1)
	v_alignbit_b32 v15, v12, v11, 2
	v_lshrrev_b32_e32 v9, 2, v12
	s_waitcnt vmcnt(0) lgkmcnt(0)
	v_add_nc_u32_e32 v32, 0x9e3779b9, v13
	v_add_nc_u32_e32 v34, 0x3c6ef372, v13
	;; [unrolled: 1-line block ×3, first 2 shown]
	v_add_co_u32 v10, vcc_lo, v15, 1
	s_delay_alu instid0(VALU_DEP_1) | instskip(SKIP_4) | instid1(VALU_DEP_4)
	v_cndmask_b32_e64 v5, 0, 1, vcc_lo
	v_add_co_ci_u32_e32 v12, vcc_lo, 0, v9, vcc_lo
	v_xor3_b32 v17, v25, v13, v9
	v_add_nc_u32_e32 v36, 0x32370b8f, v14
	v_add_nc_u32_e32 v37, 0xed9eba14, v14
	v_cmp_eq_u32_e32 vcc_lo, 0, v12
	v_add_nc_u32_e32 v38, 0x1fd5c5a3, v14
	s_mov_b32 s3, exec_lo
	v_dual_cndmask_b32 v16, 0, v5 :: v_dual_add_nc_u32 v33, 0xbb67ae85, v14
	v_mad_u64_u32 v[5:6], null, 0xd2511f53, v10, 0
	v_mad_u64_u32 v[9:10], null, 0xd2511f53, v15, 0
	s_delay_alu instid0(VALU_DEP_3) | instskip(NEXT) | instid1(VALU_DEP_3)
	v_add_nc_u32_e32 v19, v16, v1
	v_xor_b32_e32 v6, v6, v14
	s_delay_alu instid0(VALU_DEP_2) | instskip(SKIP_1) | instid1(VALU_DEP_1)
	v_cmp_eq_u32_e32 vcc_lo, 0, v19
	v_cndmask_b32_e32 v16, 0, v16, vcc_lo
	v_xor_b32_e32 v6, v16, v6
	v_mad_u64_u32 v[15:16], null, 0xd2511f53, v17, 0
	v_mad_u64_u32 v[17:18], null, 0xcd9e8d57, v19, 0
	s_delay_alu instid0(VALU_DEP_3) | instskip(SKIP_1) | instid1(VALU_DEP_4)
	v_mad_u64_u32 v[19:20], null, 0xcd9e8d57, v6, 0
	v_xor_b32_e32 v6, v10, v14
	v_xor3_b32 v21, v33, v16, v9
	s_delay_alu instid0(VALU_DEP_2) | instskip(SKIP_2) | instid1(VALU_DEP_4)
	v_mad_u64_u32 v[9:10], null, 0xcd9e8d57, v6, 0
	v_xor3_b32 v6, v18, v13, v12
	v_xor3_b32 v12, v32, v20, v17
	v_mad_u64_u32 v[16:17], null, 0xcd9e8d57, v21, 0
	s_delay_alu instid0(VALU_DEP_3) | instskip(NEXT) | instid1(VALU_DEP_3)
	v_mad_u64_u32 v[20:21], null, 0xd2511f53, v6, 0
	v_mad_u64_u32 v[22:23], null, 0xd2511f53, v12, 0
	v_xor3_b32 v6, v2, v10, v32
	s_delay_alu instid0(VALU_DEP_4) | instskip(SKIP_2) | instid1(VALU_DEP_4)
	v_xor3_b32 v17, v34, v17, v9
	v_add_nc_u32_e32 v12, 0xdaa66d2b, v13
	v_xor3_b32 v21, v33, v21, v5
	v_mad_u64_u32 v[9:10], null, 0xd2511f53, v6, 0
	v_xor3_b32 v23, v35, v23, v20
	v_mad_u64_u32 v[5:6], null, 0xd2511f53, v17, 0
	s_delay_alu instid0(VALU_DEP_4) | instskip(NEXT) | instid1(VALU_DEP_3)
	v_mad_u64_u32 v[17:18], null, 0xcd9e8d57, v21, 0
	v_mad_u64_u32 v[20:21], null, 0xcd9e8d57, v23, 0
	v_xor3_b32 v15, v35, v10, v15
	v_add_nc_u32_e32 v23, 0x78dde6e4, v13
	v_xor3_b32 v6, v36, v6, v9
	s_delay_alu instid0(VALU_DEP_3) | instskip(SKIP_2) | instid1(VALU_DEP_4)
	v_mad_u64_u32 v[9:10], null, 0xcd9e8d57, v15, 0
	v_xor3_b32 v15, v34, v18, v19
	v_xor3_b32 v19, v12, v21, v17
	v_mad_u64_u32 v[17:18], null, 0xcd9e8d57, v6, 0
	s_delay_alu instid0(VALU_DEP_3) | instskip(NEXT) | instid1(VALU_DEP_3)
	v_mad_u64_u32 v[32:33], null, 0xd2511f53, v15, 0
	v_mad_u64_u32 v[34:35], null, 0xd2511f53, v19, 0
	v_xor3_b32 v6, v12, v10, v16
	s_delay_alu instid0(VALU_DEP_4) | instskip(SKIP_2) | instid1(VALU_DEP_4)
	v_xor3_b32 v15, v23, v18, v9
	v_add_nc_u32_e32 v12, 0x1715609d, v13
	v_add_nc_u32_e32 v19, 0xa9066899, v14
	v_mad_u64_u32 v[9:10], null, 0xd2511f53, v6, 0
	v_xor3_b32 v6, v36, v33, v22
	v_xor3_b32 v18, v37, v35, v32
	v_mad_u64_u32 v[21:22], null, 0xd2511f53, v15, 0
	v_add_nc_u32_e32 v33, 0xb54cda56, v13
	s_delay_alu instid0(VALU_DEP_4) | instskip(NEXT) | instid1(VALU_DEP_4)
	v_mad_u64_u32 v[15:16], null, 0xcd9e8d57, v6, 0
	v_mad_u64_u32 v[35:36], null, 0xcd9e8d57, v18, 0
	v_xor3_b32 v10, v37, v10, v5
	v_xor3_b32 v18, v19, v22, v9
	v_add_nc_u32_e32 v32, 0x646e171e, v14
	v_xor3_b32 v20, v23, v16, v20
	s_delay_alu instid0(VALU_DEP_4) | instskip(SKIP_2) | instid1(VALU_DEP_4)
	v_mad_u64_u32 v[5:6], null, 0xcd9e8d57, v10, 0
	v_xor3_b32 v22, v12, v36, v15
	v_mad_u64_u32 v[9:10], null, 0xcd9e8d57, v18, 0
	v_mad_u64_u32 v[15:16], null, 0xd2511f53, v20, 0
	s_delay_alu instid0(VALU_DEP_3) | instskip(SKIP_3) | instid1(VALU_DEP_3)
	v_mad_u64_u32 v[36:37], null, 0xd2511f53, v22, 0
	v_xor3_b32 v12, v12, v6, v17
	v_add_nc_u32_e32 v20, 0x5384540f, v13
	v_xor3_b32 v10, v33, v10, v5
	v_mad_u64_u32 v[5:6], null, 0xd2511f53, v12, 0
	v_xor3_b32 v12, v19, v16, v34
	v_xor3_b32 v17, v32, v37, v15
	s_delay_alu instid0(VALU_DEP_4) | instskip(NEXT) | instid1(VALU_DEP_3)
	v_mad_u64_u32 v[15:16], null, 0xd2511f53, v10, 0
	v_mad_u64_u32 v[22:23], null, 0xcd9e8d57, v12, 0
	s_delay_alu instid0(VALU_DEP_3) | instskip(SKIP_1) | instid1(VALU_DEP_4)
	v_mad_u64_u32 v[18:19], null, 0xcd9e8d57, v17, 0
	v_xor3_b32 v10, v32, v6, v21
	v_xor3_b32 v12, v38, v16, v5
	v_add_co_u32 v32, null, 0xf1bbcdc8, v13
	s_delay_alu instid0(VALU_DEP_3) | instskip(SKIP_4) | instid1(VALU_DEP_4)
	v_mad_u64_u32 v[5:6], null, 0xcd9e8d57, v10, 0
	v_xor3_b32 v10, v33, v23, v35
	v_xor3_b32 v19, v20, v19, v22
	v_mad_u64_u32 v[16:17], null, 0xcd9e8d57, v12, 0
	v_add_nc_u32_e32 v33, 0xdb3d7428, v14
	v_mad_u64_u32 v[34:35], null, 0xd2511f53, v10, 0
	s_delay_alu instid0(VALU_DEP_4) | instskip(SKIP_4) | instid1(VALU_DEP_4)
	v_mad_u64_u32 v[21:22], null, 0xd2511f53, v19, 0
	v_xor3_b32 v6, v20, v6, v9
	v_xor3_b32 v9, v32, v17, v5
	v_add_nc_u32_e32 v17, 0x8ff34781, v13
	v_xor3_b32 v10, v38, v35, v36
	v_mad_u64_u32 v[19:20], null, 0xd2511f53, v6, 0
	v_xor3_b32 v12, v33, v22, v34
	v_mad_u64_u32 v[5:6], null, 0xd2511f53, v9, 0
	s_delay_alu instid0(VALU_DEP_4) | instskip(NEXT) | instid1(VALU_DEP_3)
	v_mad_u64_u32 v[22:23], null, 0xcd9e8d57, v10, 0
	v_mad_u64_u32 v[9:10], null, 0xcd9e8d57, v12, 0
	v_add_nc_u32_e32 v34, 0x96a522ad, v14
	v_and_b32_e32 v14, 3, v11
                                        ; implicit-def: $vgpr12
	s_delay_alu instid0(VALU_DEP_2) | instskip(NEXT) | instid1(VALU_DEP_4)
	v_xor3_b32 v13, v6, v19, v34
	v_xor3_b32 v6, v10, v22, v17
	s_delay_alu instid0(VALU_DEP_3)
	v_cmpx_lt_i32_e32 1, v14
	s_xor_b32 s3, exec_lo, s3
	s_cbranch_execz .LBB112_31
; %bb.26:                               ;   in Loop: Header=BB112_3 Depth=1
	s_mov_b32 s18, exec_lo
                                        ; implicit-def: $vgpr12
	v_cmpx_lt_i32_e32 2, v14
	s_xor_b32 s18, exec_lo, s18
; %bb.27:                               ;   in Loop: Header=BB112_3 Depth=1
	v_xor3_b32 v10, v32, v23, v18
                                        ; implicit-def: $vgpr13
	s_delay_alu instid0(VALU_DEP_1) | instskip(NEXT) | instid1(VALU_DEP_1)
	v_mul_hi_u32 v10, 0xd2511f53, v10
	v_xor3_b32 v12, v10, v21, v34
; %bb.28:                               ;   in Loop: Header=BB112_3 Depth=1
	s_and_not1_saveexec_b32 s18, s18
; %bb.29:                               ;   in Loop: Header=BB112_3 Depth=1
	v_dual_mov_b32 v12, v9 :: v_dual_mov_b32 v9, v6
	v_mov_b32_e32 v6, v5
	v_mov_b32_e32 v5, v13
; %bb.30:                               ;   in Loop: Header=BB112_3 Depth=1
	s_or_b32 exec_lo, exec_lo, s18
                                        ; implicit-def: $vgpr15_vgpr16
                                        ; implicit-def: $vgpr14
                                        ; implicit-def: $vgpr13
                                        ; implicit-def: $vgpr33
                                        ; implicit-def: $vgpr19_vgpr20
                                        ; implicit-def: $vgpr16_vgpr17
                                        ; implicit-def: $vgpr17
.LBB112_31:                             ;   in Loop: Header=BB112_3 Depth=1
	s_and_not1_saveexec_b32 s3, s3
	s_cbranch_execz .LBB112_35
; %bb.32:                               ;   in Loop: Header=BB112_3 Depth=1
	v_xor3_b32 v9, v33, v20, v15
	v_cmp_eq_u32_e32 vcc_lo, 1, v14
	s_delay_alu instid0(VALU_DEP_2) | instskip(SKIP_2) | instid1(VALU_DEP_3)
	v_mad_u64_u32 v[10:11], null, 0xcd9e8d57, v9, 0
	v_mov_b32_e32 v12, v5
	v_mov_b32_e32 v9, v13
	v_xor3_b32 v14, v11, v16, v17
	s_delay_alu instid0(VALU_DEP_4)
	v_mov_b32_e32 v11, v10
	s_and_saveexec_b32 s18, vcc_lo
; %bb.33:                               ;   in Loop: Header=BB112_3 Depth=1
	v_dual_mov_b32 v12, v6 :: v_dual_mov_b32 v9, v5
	v_dual_mov_b32 v11, v13 :: v_dual_mov_b32 v14, v10
; %bb.34:                               ;   in Loop: Header=BB112_3 Depth=1
	s_or_b32 exec_lo, exec_lo, s18
	s_delay_alu instid0(VALU_DEP_1)
	v_dual_mov_b32 v5, v14 :: v_dual_mov_b32 v6, v11
.LBB112_35:                             ;   in Loop: Header=BB112_3 Depth=1
	s_or_b32 exec_lo, exec_lo, s3
	v_min_i32_e32 v10, 4, v26
	s_mov_b32 s18, 0
	s_mov_b32 s38, 0
	;; [unrolled: 1-line block ×3, first 2 shown]
	s_mov_b32 s37, exec_lo
                                        ; implicit-def: $sgpr19
                                        ; implicit-def: $sgpr35
                                        ; implicit-def: $sgpr36
	v_cmpx_lt_i32_e32 2, v10
	s_xor_b32 s37, exec_lo, s37
	s_cbranch_execz .LBB112_47
; %bb.36:                               ;   in Loop: Header=BB112_3 Depth=1
	s_mov_b32 s3, -1
	s_mov_b32 s40, 0
	s_mov_b32 s35, exec_lo
                                        ; implicit-def: $sgpr19
                                        ; implicit-def: $sgpr39
	v_cmpx_lt_i32_e32 3, v10
	s_cbranch_execz .LBB112_42
; %bb.37:                               ;   in Loop: Header=BB112_3 Depth=1
	s_mov_b32 s3, 0
	s_mov_b32 s40, -1
	s_mov_b32 s36, exec_lo
                                        ; implicit-def: $sgpr19
                                        ; implicit-def: $sgpr39
	v_cmpx_eq_u32_e32 4, v10
	s_cbranch_execz .LBB112_41
; %bb.38:                               ;   in Loop: Header=BB112_3 Depth=1
	v_cmp_le_f32_e32 vcc_lo, 0, v31
	v_cmp_ge_f32_e64 s3, 1.0, v31
	s_mov_b32 s19, 0
	s_delay_alu instid0(VALU_DEP_1)
	s_and_b32 s40, vcc_lo, s3
	s_mov_b32 s3, 0
	s_and_saveexec_b32 s39, s40
	s_cbranch_execz .LBB112_40
; %bb.39:                               ;   in Loop: Header=BB112_3 Depth=1
	v_cvt_f32_u32_e32 v11, v12
	v_add_co_u32 v7, vcc_lo, s10, v7
	v_add_co_ci_u32_e32 v8, vcc_lo, s11, v8, vcc_lo
	s_delay_alu instid0(VALU_DEP_3) | instskip(SKIP_1) | instid1(VALU_DEP_1)
	v_fmaak_f32 v11, 0x2f800000, v11, 0x2f800000
	s_mov_b32 s3, exec_lo
	v_cmp_le_f32_e32 vcc_lo, v11, v31
	v_cndmask_b32_e64 v11, 0, 1, vcc_lo
	global_store_b8 v[7:8], v11, off
.LBB112_40:                             ;   in Loop: Header=BB112_3 Depth=1
	s_or_b32 exec_lo, exec_lo, s39
	s_mov_b32 s39, -1
	s_xor_b32 s40, exec_lo, -1
	s_and_b32 s3, s3, exec_lo
.LBB112_41:                             ;   in Loop: Header=BB112_3 Depth=1
	s_or_b32 exec_lo, exec_lo, s36
	s_delay_alu instid0(SALU_CYCLE_1)
	s_and_b32 s40, s40, exec_lo
	s_or_not1_b32 s3, s3, exec_lo
.LBB112_42:                             ;   in Loop: Header=BB112_3 Depth=1
	s_or_b32 exec_lo, exec_lo, s35
	s_mov_b32 s36, s19
	s_and_saveexec_b32 s35, s3
	s_cbranch_execz .LBB112_46
; %bb.43:                               ;   in Loop: Header=BB112_3 Depth=1
	v_cmp_le_f32_e32 vcc_lo, 0, v30
	v_cmp_ge_f32_e64 s3, 1.0, v30
	s_delay_alu instid0(VALU_DEP_1) | instskip(SKIP_2) | instid1(SALU_CYCLE_1)
	s_and_b32 s36, vcc_lo, s3
	s_mov_b32 s3, 0
	s_and_saveexec_b32 s38, s36
	s_xor_b32 s36, exec_lo, s38
	s_cbranch_execz .LBB112_45
; %bb.44:                               ;   in Loop: Header=BB112_3 Depth=1
	v_cvt_f32_u32_e32 v7, v9
	v_cndmask_b32_e64 v8, 0, v29, s2
	s_mov_b32 s3, exec_lo
	s_delay_alu instid0(VALU_DEP_2) | instskip(NEXT) | instid1(VALU_DEP_1)
	v_fmaak_f32 v7, 0x2f800000, v7, 0x2f800000
	v_cmp_le_f32_e32 vcc_lo, v7, v30
	v_cndmask_b32_e64 v7, 0, 1, vcc_lo
	global_store_b8 v8, v7, s[10:11]
.LBB112_45:                             ;   in Loop: Header=BB112_3 Depth=1
	s_or_b32 exec_lo, exec_lo, s36
	s_delay_alu instid0(SALU_CYCLE_1)
	s_and_not1_b32 s36, s19, exec_lo
	s_or_b32 s19, s19, exec_lo
	s_and_not1_b32 s39, s39, exec_lo
	s_and_b32 s38, s3, exec_lo
.LBB112_46:                             ;   in Loop: Header=BB112_3 Depth=1
	s_or_b32 exec_lo, exec_lo, s35
	s_delay_alu instid0(SALU_CYCLE_1)
	s_and_b32 s36, s36, exec_lo
	s_and_b32 s35, s19, exec_lo
	;; [unrolled: 1-line block ×5, first 2 shown]
.LBB112_47:                             ;   in Loop: Header=BB112_3 Depth=1
	s_and_not1_saveexec_b32 s2, s37
; %bb.48:                               ;   in Loop: Header=BB112_3 Depth=1
	v_cmp_lt_i32_e32 vcc_lo, 1, v10
	s_and_not1_b32 s37, s38, exec_lo
	s_mov_b32 s18, exec_lo
	s_and_not1_b32 s36, s36, exec_lo
	s_and_not1_b32 s35, s35, exec_lo
	s_and_b32 s38, vcc_lo, exec_lo
	s_and_not1_b32 s19, s19, exec_lo
	s_or_b32 s38, s37, s38
; %bb.49:                               ;   in Loop: Header=BB112_3 Depth=1
	s_or_b32 exec_lo, exec_lo, s2
	s_mov_b32 s37, 0
	s_mov_b32 s2, s36
	s_and_saveexec_b32 s39, s38
	s_cbranch_execnz .LBB112_52
; %bb.50:                               ;   in Loop: Header=BB112_3 Depth=1
	s_or_b32 exec_lo, exec_lo, s39
	s_and_saveexec_b32 s1, s18
	s_cbranch_execnz .LBB112_55
.LBB112_51:                             ;   in Loop: Header=BB112_3 Depth=1
	s_or_b32 exec_lo, exec_lo, s1
	s_and_saveexec_b32 s18, s37
	s_cbranch_execnz .LBB112_56
	s_branch .LBB112_59
.LBB112_52:                             ;   in Loop: Header=BB112_3 Depth=1
	v_cmp_le_f32_e32 vcc_lo, 0, v3
	v_cmp_ge_f32_e64 s2, 1.0, v3
	s_delay_alu instid0(VALU_DEP_1) | instskip(NEXT) | instid1(SALU_CYCLE_1)
	s_and_b32 s2, vcc_lo, s2
	s_and_saveexec_b32 s38, s2
	s_delay_alu instid0(SALU_CYCLE_1)
	s_xor_b32 s2, exec_lo, s38
	s_cbranch_execz .LBB112_54
; %bb.53:                               ;   in Loop: Header=BB112_3 Depth=1
	v_cvt_f32_u32_e32 v6, v6
	v_cndmask_b32_e64 v7, 0, v28, s1
	s_mov_b32 s37, exec_lo
	s_delay_alu instid0(VALU_DEP_2) | instskip(NEXT) | instid1(VALU_DEP_1)
	v_fmaak_f32 v6, 0x2f800000, v6, 0x2f800000
	v_cmp_le_f32_e32 vcc_lo, v6, v3
	v_cndmask_b32_e64 v3, 0, 1, vcc_lo
	global_store_b8 v7, v3, s[10:11]
.LBB112_54:                             ;   in Loop: Header=BB112_3 Depth=1
	s_or_b32 exec_lo, exec_lo, s2
	s_delay_alu instid0(SALU_CYCLE_1)
	s_and_not1_b32 s2, s36, exec_lo
	s_or_b32 s36, s36, exec_lo
	s_and_not1_b32 s35, s35, exec_lo
	s_and_not1_b32 s19, s19, exec_lo
	s_and_b32 s37, s37, exec_lo
	s_and_not1_b32 s18, s18, exec_lo
	s_or_b32 exec_lo, exec_lo, s39
	s_and_saveexec_b32 s1, s18
	s_cbranch_execz .LBB112_51
.LBB112_55:                             ;   in Loop: Header=BB112_3 Depth=1
	v_cmp_eq_u32_e32 vcc_lo, 1, v10
	s_and_not1_b32 s18, s37, exec_lo
	s_and_not1_b32 s2, s2, exec_lo
	;; [unrolled: 1-line block ×4, first 2 shown]
	s_and_b32 s37, vcc_lo, exec_lo
	s_and_not1_b32 s19, s19, exec_lo
	s_or_b32 s3, s3, exec_lo
	s_or_b32 s37, s18, s37
	s_or_b32 exec_lo, exec_lo, s1
	s_and_saveexec_b32 s18, s37
	s_cbranch_execz .LBB112_59
.LBB112_56:                             ;   in Loop: Header=BB112_3 Depth=1
	v_cmp_le_f32_e32 vcc_lo, 0, v0
	v_cmp_ge_f32_e64 s1, 1.0, v0
	s_delay_alu instid0(VALU_DEP_1)
	s_and_b32 s38, vcc_lo, s1
	s_mov_b32 s1, 0
	s_and_saveexec_b32 s37, s38
	s_cbranch_execz .LBB112_58
; %bb.57:                               ;   in Loop: Header=BB112_3 Depth=1
	v_cvt_f32_u32_e32 v3, v5
	v_cndmask_b32_e64 v5, 0, v27, s0
	s_mov_b32 s1, exec_lo
	s_delay_alu instid0(VALU_DEP_2) | instskip(NEXT) | instid1(VALU_DEP_1)
	v_fmaak_f32 v3, 0x2f800000, v3, 0x2f800000
	v_cmp_le_f32_e32 vcc_lo, v3, v0
	v_cndmask_b32_e64 v0, 0, 1, vcc_lo
	global_store_b8 v5, v0, s[10:11]
.LBB112_58:                             ;   in Loop: Header=BB112_3 Depth=1
	s_or_b32 exec_lo, exec_lo, s37
	s_delay_alu instid0(SALU_CYCLE_1)
	s_and_not1_b32 s0, s3, exec_lo
	s_and_b32 s1, s1, exec_lo
	s_or_b32 s2, s2, exec_lo
	s_and_not1_b32 s36, s36, exec_lo
	s_and_not1_b32 s35, s35, exec_lo
	s_and_not1_b32 s19, s19, exec_lo
	s_or_b32 s3, s0, s1
.LBB112_59:                             ;   in Loop: Header=BB112_3 Depth=1
	s_or_b32 exec_lo, exec_lo, s18
	s_delay_alu instid0(SALU_CYCLE_1)
	s_and_not1_b32 s1, s34, exec_lo
	s_and_b32 s2, s2, exec_lo
	s_and_not1_b32 s18, s31, exec_lo
	s_and_b32 s31, s36, exec_lo
	s_or_b32 s34, s1, s2
	s_or_b32 s31, s18, s31
	s_and_not1_b32 s1, s33, exec_lo
	s_and_b32 s2, s35, exec_lo
	s_and_not1_b32 s18, s30, exec_lo
	s_and_b32 s19, s19, exec_lo
	s_mov_b32 s0, -1
	s_or_b32 s33, s1, s2
	s_or_b32 s30, s18, s19
	s_and_saveexec_b32 s1, s3
	s_cbranch_execz .LBB112_2
; %bb.60:                               ;   in Loop: Header=BB112_3 Depth=1
	v_add_nc_u32_e32 v24, s25, v24
	s_and_not1_b32 s34, s34, exec_lo
	s_and_not1_b32 s31, s31, exec_lo
	;; [unrolled: 1-line block ×4, first 2 shown]
	v_cmp_le_u32_e32 vcc_lo, s20, v24
	s_or_not1_b32 s0, vcc_lo, exec_lo
	s_branch .LBB112_2
.LBB112_61:
	s_or_b32 exec_lo, exec_lo, s15
	s_xor_b32 s3, s28, -1
	s_xor_b32 s4, s29, -1
	;; [unrolled: 1-line block ×3, first 2 shown]
	s_mov_b32 s1, 0
	s_and_saveexec_b32 s2, s0
	s_delay_alu instid0(SALU_CYCLE_1)
	s_xor_b32 s0, exec_lo, s2
	s_cbranch_execz .LBB112_70
; %bb.62:
	s_mov_b32 s2, 0
	s_and_saveexec_b32 s1, s4
	s_delay_alu instid0(SALU_CYCLE_1)
	s_xor_b32 s1, exec_lo, s1
	s_cbranch_execz .LBB112_68
; %bb.63:
	s_and_saveexec_b32 s4, s3
	s_delay_alu instid0(SALU_CYCLE_1)
	s_xor_b32 s3, exec_lo, s4
	s_cbranch_execz .LBB112_66
; %bb.64:
	s_and_saveexec_b32 s4, s14
	s_delay_alu instid0(SALU_CYCLE_1)
	s_xor_b32 s4, exec_lo, s4
	s_cbranch_execnz .LBB112_84
.LBB112_65:
	s_or_b32 exec_lo, exec_lo, s4
	s_delay_alu instid0(SALU_CYCLE_1)
	s_and_b32 s2, s2, exec_lo
.LBB112_66:
	s_and_not1_saveexec_b32 s3, s3
	s_cbranch_execnz .LBB112_80
.LBB112_67:
	s_or_b32 exec_lo, exec_lo, s3
	s_delay_alu instid0(SALU_CYCLE_1)
	s_and_b32 s2, s2, exec_lo
.LBB112_68:
	s_and_not1_saveexec_b32 s1, s1
	s_cbranch_execnz .LBB112_76
.LBB112_69:
	s_or_b32 exec_lo, exec_lo, s1
	s_delay_alu instid0(SALU_CYCLE_1)
	s_and_b32 s1, s2, exec_lo
.LBB112_70:
	s_and_not1_saveexec_b32 s0, s0
	s_cbranch_execnz .LBB112_74
; %bb.71:
	s_or_b32 exec_lo, exec_lo, s0
	s_delay_alu instid0(SALU_CYCLE_1)
	s_and_b32 exec_lo, exec_lo, s1
.LBB112_72:
	; divergent unreachable
.LBB112_73:
	s_nop 0
	s_sendmsg sendmsg(MSG_DEALLOC_VGPRS)
	s_endpgm
.LBB112_74:
	s_cbranch_execnz .LBB112_78
; %bb.75:
	s_or_b32 s1, s1, exec_lo
	s_or_b32 exec_lo, exec_lo, s0
	s_delay_alu instid0(SALU_CYCLE_1)
	s_and_b32 exec_lo, exec_lo, s1
	s_cbranch_execnz .LBB112_72
	s_branch .LBB112_73
.LBB112_76:
	s_cbranch_execnz .LBB112_82
; %bb.77:
	s_or_b32 s2, s2, exec_lo
	s_branch .LBB112_69
.LBB112_78:
	s_trap 2
	s_sendmsg_rtn_b32 s0, sendmsg(MSG_RTN_GET_DOORBELL)
	s_mov_b32 ttmp2, m0
	s_waitcnt lgkmcnt(0)
	s_and_b32 s0, s0, 0x3ff
	s_delay_alu instid0(SALU_CYCLE_1) | instskip(NEXT) | instid1(SALU_CYCLE_1)
	s_bitset1_b32 s0, 10
	s_mov_b32 m0, s0
	s_sendmsg sendmsg(MSG_INTERRUPT)
	s_mov_b32 m0, ttmp2
.LBB112_79:                             ; =>This Inner Loop Header: Depth=1
	s_sethalt 5
	s_branch .LBB112_79
.LBB112_80:
	s_cbranch_execnz .LBB112_86
; %bb.81:
	s_or_b32 s2, s2, exec_lo
	s_branch .LBB112_67
.LBB112_82:
	s_trap 2
	s_sendmsg_rtn_b32 s0, sendmsg(MSG_RTN_GET_DOORBELL)
	s_mov_b32 ttmp2, m0
	s_waitcnt lgkmcnt(0)
	s_and_b32 s0, s0, 0x3ff
	s_delay_alu instid0(SALU_CYCLE_1) | instskip(NEXT) | instid1(SALU_CYCLE_1)
	s_bitset1_b32 s0, 10
	s_mov_b32 m0, s0
	s_sendmsg sendmsg(MSG_INTERRUPT)
	s_mov_b32 m0, ttmp2
.LBB112_83:                             ; =>This Inner Loop Header: Depth=1
	s_sethalt 5
	s_branch .LBB112_83
.LBB112_84:
	s_cbranch_execnz .LBB112_88
; %bb.85:
	s_mov_b32 s2, exec_lo
	s_branch .LBB112_65
.LBB112_86:
	s_trap 2
	s_sendmsg_rtn_b32 s0, sendmsg(MSG_RTN_GET_DOORBELL)
	s_mov_b32 ttmp2, m0
	s_waitcnt lgkmcnt(0)
	s_and_b32 s0, s0, 0x3ff
	s_delay_alu instid0(SALU_CYCLE_1) | instskip(NEXT) | instid1(SALU_CYCLE_1)
	s_bitset1_b32 s0, 10
	s_mov_b32 m0, s0
	s_sendmsg sendmsg(MSG_INTERRUPT)
	s_mov_b32 m0, ttmp2
.LBB112_87:                             ; =>This Inner Loop Header: Depth=1
	s_sethalt 5
	s_branch .LBB112_87
.LBB112_88:
	s_trap 2
	s_sendmsg_rtn_b32 s0, sendmsg(MSG_RTN_GET_DOORBELL)
	s_mov_b32 ttmp2, m0
	s_waitcnt lgkmcnt(0)
	s_and_b32 s0, s0, 0x3ff
	s_delay_alu instid0(SALU_CYCLE_1) | instskip(NEXT) | instid1(SALU_CYCLE_1)
	s_bitset1_b32 s0, 10
	s_mov_b32 m0, s0
	s_sendmsg sendmsg(MSG_INTERRUPT)
	s_mov_b32 m0, ttmp2
.LBB112_89:                             ; =>This Inner Loop Header: Depth=1
	s_sethalt 5
	s_branch .LBB112_89
	.section	.rodata,"a",@progbits
	.p2align	6, 0x0
	.amdhsa_kernel _ZN2at4cuda12_GLOBAL__N_121kernelPointwiseApply2IZNS_6native9templates4cuda28bernoulli_tensor_cuda_kernelIbfEEvRKNS_10TensorBaseES9_NS_15PhiloxCudaStateEEUliRbSB_SB_SB_RKfSD_SD_SD_E_bSC_jLi1ELin1ELi4ELi512ELi2EEEvNS0_6detail10TensorInfoIT0_T2_EENSG_IT1_SI_EESI_T_
		.amdhsa_group_segment_fixed_size 0
		.amdhsa_private_segment_fixed_size 0
		.amdhsa_kernarg_size 728
		.amdhsa_user_sgpr_count 15
		.amdhsa_user_sgpr_dispatch_ptr 0
		.amdhsa_user_sgpr_queue_ptr 0
		.amdhsa_user_sgpr_kernarg_segment_ptr 1
		.amdhsa_user_sgpr_dispatch_id 0
		.amdhsa_user_sgpr_private_segment_size 0
		.amdhsa_wavefront_size32 1
		.amdhsa_uses_dynamic_stack 0
		.amdhsa_enable_private_segment 0
		.amdhsa_system_sgpr_workgroup_id_x 1
		.amdhsa_system_sgpr_workgroup_id_y 0
		.amdhsa_system_sgpr_workgroup_id_z 0
		.amdhsa_system_sgpr_workgroup_info 0
		.amdhsa_system_vgpr_workitem_id 0
		.amdhsa_next_free_vgpr 39
		.amdhsa_next_free_sgpr 41
		.amdhsa_reserve_vcc 1
		.amdhsa_float_round_mode_32 0
		.amdhsa_float_round_mode_16_64 0
		.amdhsa_float_denorm_mode_32 3
		.amdhsa_float_denorm_mode_16_64 3
		.amdhsa_dx10_clamp 1
		.amdhsa_ieee_mode 1
		.amdhsa_fp16_overflow 0
		.amdhsa_workgroup_processor_mode 1
		.amdhsa_memory_ordered 1
		.amdhsa_forward_progress 0
		.amdhsa_shared_vgpr_count 0
		.amdhsa_exception_fp_ieee_invalid_op 0
		.amdhsa_exception_fp_denorm_src 0
		.amdhsa_exception_fp_ieee_div_zero 0
		.amdhsa_exception_fp_ieee_overflow 0
		.amdhsa_exception_fp_ieee_underflow 0
		.amdhsa_exception_fp_ieee_inexact 0
		.amdhsa_exception_int_div_zero 0
	.end_amdhsa_kernel
	.section	.text._ZN2at4cuda12_GLOBAL__N_121kernelPointwiseApply2IZNS_6native9templates4cuda28bernoulli_tensor_cuda_kernelIbfEEvRKNS_10TensorBaseES9_NS_15PhiloxCudaStateEEUliRbSB_SB_SB_RKfSD_SD_SD_E_bSC_jLi1ELin1ELi4ELi512ELi2EEEvNS0_6detail10TensorInfoIT0_T2_EENSG_IT1_SI_EESI_T_,"axG",@progbits,_ZN2at4cuda12_GLOBAL__N_121kernelPointwiseApply2IZNS_6native9templates4cuda28bernoulli_tensor_cuda_kernelIbfEEvRKNS_10TensorBaseES9_NS_15PhiloxCudaStateEEUliRbSB_SB_SB_RKfSD_SD_SD_E_bSC_jLi1ELin1ELi4ELi512ELi2EEEvNS0_6detail10TensorInfoIT0_T2_EENSG_IT1_SI_EESI_T_,comdat
.Lfunc_end112:
	.size	_ZN2at4cuda12_GLOBAL__N_121kernelPointwiseApply2IZNS_6native9templates4cuda28bernoulli_tensor_cuda_kernelIbfEEvRKNS_10TensorBaseES9_NS_15PhiloxCudaStateEEUliRbSB_SB_SB_RKfSD_SD_SD_E_bSC_jLi1ELin1ELi4ELi512ELi2EEEvNS0_6detail10TensorInfoIT0_T2_EENSG_IT1_SI_EESI_T_, .Lfunc_end112-_ZN2at4cuda12_GLOBAL__N_121kernelPointwiseApply2IZNS_6native9templates4cuda28bernoulli_tensor_cuda_kernelIbfEEvRKNS_10TensorBaseES9_NS_15PhiloxCudaStateEEUliRbSB_SB_SB_RKfSD_SD_SD_E_bSC_jLi1ELin1ELi4ELi512ELi2EEEvNS0_6detail10TensorInfoIT0_T2_EENSG_IT1_SI_EESI_T_
                                        ; -- End function
	.section	.AMDGPU.csdata,"",@progbits
; Kernel info:
; codeLenInByte = 4176
; NumSgprs: 43
; NumVgprs: 39
; ScratchSize: 0
; MemoryBound: 0
; FloatMode: 240
; IeeeMode: 1
; LDSByteSize: 0 bytes/workgroup (compile time only)
; SGPRBlocks: 5
; VGPRBlocks: 4
; NumSGPRsForWavesPerEU: 43
; NumVGPRsForWavesPerEU: 39
; Occupancy: 16
; WaveLimiterHint : 1
; COMPUTE_PGM_RSRC2:SCRATCH_EN: 0
; COMPUTE_PGM_RSRC2:USER_SGPR: 15
; COMPUTE_PGM_RSRC2:TRAP_HANDLER: 0
; COMPUTE_PGM_RSRC2:TGID_X_EN: 1
; COMPUTE_PGM_RSRC2:TGID_Y_EN: 0
; COMPUTE_PGM_RSRC2:TGID_Z_EN: 0
; COMPUTE_PGM_RSRC2:TIDIG_COMP_CNT: 0
	.section	.text._ZN2at4cuda12_GLOBAL__N_121kernelPointwiseApply2IZNS_6native9templates4cuda28bernoulli_tensor_cuda_kernelIbfEEvRKNS_10TensorBaseES9_NS_15PhiloxCudaStateEEUliRbSB_SB_SB_RKfSD_SD_SD_E_bSC_jLi2ELi1ELi4ELi512ELi2EEEvNS0_6detail10TensorInfoIT0_T2_EENSG_IT1_SI_EESI_T_,"axG",@progbits,_ZN2at4cuda12_GLOBAL__N_121kernelPointwiseApply2IZNS_6native9templates4cuda28bernoulli_tensor_cuda_kernelIbfEEvRKNS_10TensorBaseES9_NS_15PhiloxCudaStateEEUliRbSB_SB_SB_RKfSD_SD_SD_E_bSC_jLi2ELi1ELi4ELi512ELi2EEEvNS0_6detail10TensorInfoIT0_T2_EENSG_IT1_SI_EESI_T_,comdat
	.globl	_ZN2at4cuda12_GLOBAL__N_121kernelPointwiseApply2IZNS_6native9templates4cuda28bernoulli_tensor_cuda_kernelIbfEEvRKNS_10TensorBaseES9_NS_15PhiloxCudaStateEEUliRbSB_SB_SB_RKfSD_SD_SD_E_bSC_jLi2ELi1ELi4ELi512ELi2EEEvNS0_6detail10TensorInfoIT0_T2_EENSG_IT1_SI_EESI_T_ ; -- Begin function _ZN2at4cuda12_GLOBAL__N_121kernelPointwiseApply2IZNS_6native9templates4cuda28bernoulli_tensor_cuda_kernelIbfEEvRKNS_10TensorBaseES9_NS_15PhiloxCudaStateEEUliRbSB_SB_SB_RKfSD_SD_SD_E_bSC_jLi2ELi1ELi4ELi512ELi2EEEvNS0_6detail10TensorInfoIT0_T2_EENSG_IT1_SI_EESI_T_
	.p2align	8
	.type	_ZN2at4cuda12_GLOBAL__N_121kernelPointwiseApply2IZNS_6native9templates4cuda28bernoulli_tensor_cuda_kernelIbfEEvRKNS_10TensorBaseES9_NS_15PhiloxCudaStateEEUliRbSB_SB_SB_RKfSD_SD_SD_E_bSC_jLi2ELi1ELi4ELi512ELi2EEEvNS0_6detail10TensorInfoIT0_T2_EENSG_IT1_SI_EESI_T_,@function
_ZN2at4cuda12_GLOBAL__N_121kernelPointwiseApply2IZNS_6native9templates4cuda28bernoulli_tensor_cuda_kernelIbfEEvRKNS_10TensorBaseES9_NS_15PhiloxCudaStateEEUliRbSB_SB_SB_RKfSD_SD_SD_E_bSC_jLi2ELi1ELi4ELi512ELi2EEEvNS0_6detail10TensorInfoIT0_T2_EENSG_IT1_SI_EESI_T_: ; @_ZN2at4cuda12_GLOBAL__N_121kernelPointwiseApply2IZNS_6native9templates4cuda28bernoulli_tensor_cuda_kernelIbfEEvRKNS_10TensorBaseES9_NS_15PhiloxCudaStateEEUliRbSB_SB_SB_RKfSD_SD_SD_E_bSC_jLi2ELi1ELi4ELi512ELi2EEEvNS0_6detail10TensorInfoIT0_T2_EENSG_IT1_SI_EESI_T_
; %bb.0:
	s_clause 0x1
	s_load_b32 s4, s[0:1], 0x1e4
	s_load_b32 s16, s[0:1], 0x1b0
	s_add_u32 s2, s0, 0x1d8
	s_addc_u32 s3, s1, 0
	s_waitcnt lgkmcnt(0)
	s_and_b32 s20, s4, 0xffff
	s_mov_b32 s4, exec_lo
	v_mad_u64_u32 v[1:2], null, s15, s20, v[0:1]
	s_delay_alu instid0(VALU_DEP_1) | instskip(NEXT) | instid1(VALU_DEP_1)
	v_lshlrev_b32_e32 v0, 2, v1
	v_cmpx_gt_u32_e64 s16, v0
	s_cbranch_execz .LBB113_59
; %bb.1:
	s_clause 0x4
	s_load_b32 s17, s[0:1], 0xc
	s_load_b64 s[8:9], s[0:1], 0x6c
	s_load_b64 s[10:11], s[0:1], 0xd8
	s_load_b32 s4, s[0:1], 0x1d0
	s_load_b32 s23, s[0:1], 0x144
	;; [unrolled: 1-line block ×3, first 2 shown]
	s_clause 0x1
	s_load_b64 s[12:13], s[0:1], 0x0
	s_load_b64 s[14:15], s[0:1], 0x1c8
	v_add_nc_u32_e32 v8, 3, v0
	v_sub_nc_u32_e32 v31, s16, v0
	s_mov_b32 s22, 0
	s_mov_b32 s25, 0
                                        ; implicit-def: $sgpr24
                                        ; implicit-def: $sgpr27
                                        ; implicit-def: $sgpr26
                                        ; implicit-def: $sgpr28
                                        ; implicit-def: $sgpr30
                                        ; implicit-def: $sgpr29
                                        ; implicit-def: $sgpr31
	v_add_nc_u32_e32 v7, 2, v0
	s_waitcnt lgkmcnt(0)
	v_cvt_f32_u32_e32 v2, s17
	s_bitcmp1_b32 s4, 0
	s_load_b128 s[4:7], s[0:1], 0x1b8
	s_delay_alu instid0(VALU_DEP_1)
	v_rcp_iflag_f32_e32 v2, v2
	s_cselect_b32 s18, -1, 0
	s_sub_i32 s19, 0, s17
	v_mul_lo_u32 v30, v0, s23
	v_mul_lo_u32 v34, s23, v8
	s_mul_i32 s2, s2, s20
	v_mov_b32_e32 v4, 0
	s_lshl_b32 s21, s2, 2
                                        ; implicit-def: $sgpr20
	v_mul_lo_u32 v33, s23, v7
	s_waitcnt_depctr 0xfff
	v_mul_f32_e32 v2, 0x4f7ffffe, v2
	v_add_nc_u32_e32 v35, s23, v30
	s_mul_i32 s23, s21, s23
	s_delay_alu instid0(VALU_DEP_2) | instskip(SKIP_1) | instid1(VALU_DEP_2)
	v_cvt_u32_f32_e32 v5, v2
	v_mad_u64_u32 v[2:3], null, 0xcd9e8d57, v1, 0
	v_mul_lo_u32 v6, s19, v5
	s_delay_alu instid0(VALU_DEP_2) | instskip(NEXT) | instid1(VALU_DEP_2)
	v_mov_b32_e32 v32, v3
	v_mul_hi_u32 v6, v5, v6
	s_delay_alu instid0(VALU_DEP_1)
	v_add_nc_u32_e32 v36, v5, v6
	s_branch .LBB113_3
.LBB113_2:                              ;   in Loop: Header=BB113_3 Depth=1
	s_or_b32 exec_lo, exec_lo, s1
	s_delay_alu instid0(SALU_CYCLE_1) | instskip(NEXT) | instid1(SALU_CYCLE_1)
	s_and_b32 s0, exec_lo, s0
	s_or_b32 s22, s0, s22
	s_and_not1_b32 s0, s20, exec_lo
	s_and_b32 s1, s31, exec_lo
	s_and_not1_b32 s2, s26, exec_lo
	s_and_b32 s3, s29, exec_lo
	s_or_b32 s20, s0, s1
	s_or_b32 s26, s2, s3
	s_and_not1_b32 s0, s27, exec_lo
	s_and_b32 s1, s30, exec_lo
	s_and_not1_b32 s2, s24, exec_lo
	s_and_b32 s3, s28, exec_lo
	s_or_b32 s27, s0, s1
	s_or_b32 s24, s2, s3
	s_and_not1_b32 exec_lo, exec_lo, s22
	s_cbranch_execz .LBB113_47
.LBB113_3:                              ; =>This Inner Loop Header: Depth=1
	v_mov_b32_e32 v7, 0
	v_mov_b32_e32 v8, 0
	v_cmp_lt_i32_e32 vcc_lo, 0, v31
	s_delay_alu instid0(VALU_DEP_2)
	v_dual_mov_b32 v5, v7 :: v_dual_mov_b32 v6, v8
	s_and_saveexec_b32 s1, vcc_lo
	s_cbranch_execz .LBB113_5
; %bb.4:                                ;   in Loop: Header=BB113_3 Depth=1
	v_mul_hi_u32 v3, v36, v0
	s_delay_alu instid0(VALU_DEP_1) | instskip(SKIP_2) | instid1(VALU_DEP_3)
	v_not_b32_e32 v11, v3
	v_mad_u64_u32 v[5:6], null, s19, v3, v[0:1]
	v_add_nc_u32_e32 v6, 1, v3
	v_mad_u64_u32 v[9:10], null, s17, v11, v[0:1]
	s_delay_alu instid0(VALU_DEP_3) | instskip(NEXT) | instid1(VALU_DEP_1)
	v_cmp_le_u32_e64 s0, s17, v5
	v_cndmask_b32_e64 v3, v3, v6, s0
	s_delay_alu instid0(VALU_DEP_3) | instskip(NEXT) | instid1(VALU_DEP_2)
	v_cndmask_b32_e64 v5, v5, v9, s0
	v_add_nc_u32_e32 v6, 1, v3
	s_delay_alu instid0(VALU_DEP_2) | instskip(NEXT) | instid1(VALU_DEP_1)
	v_cmp_le_u32_e64 s0, s17, v5
	v_cndmask_b32_e64 v9, v3, v6, s0
	s_delay_alu instid0(VALU_DEP_1) | instskip(NEXT) | instid1(VALU_DEP_1)
	v_mad_u64_u32 v[5:6], null, s19, v9, v[0:1]
	v_mul_lo_u32 v3, v5, s9
	s_delay_alu instid0(VALU_DEP_1)
	v_mad_u64_u32 v[5:6], null, v9, s8, v[3:4]
	v_mov_b32_e32 v6, v4
.LBB113_5:                              ;   in Loop: Header=BB113_3 Depth=1
	s_or_b32 exec_lo, exec_lo, s1
	v_cmp_lt_i32_e64 s0, 1, v31
	s_delay_alu instid0(VALU_DEP_1)
	s_and_saveexec_b32 s2, s0
	s_cbranch_execz .LBB113_7
; %bb.6:                                ;   in Loop: Header=BB113_3 Depth=1
	v_add_nc_u32_e32 v3, 1, v0
	s_delay_alu instid0(VALU_DEP_1) | instskip(NEXT) | instid1(VALU_DEP_1)
	v_mul_hi_u32 v7, v3, v36
	v_mul_lo_u32 v8, v7, s17
	v_add_nc_u32_e32 v9, 1, v7
	s_delay_alu instid0(VALU_DEP_2) | instskip(NEXT) | instid1(VALU_DEP_1)
	v_sub_nc_u32_e32 v8, v3, v8
	v_subrev_nc_u32_e32 v10, s17, v8
	v_cmp_le_u32_e64 s1, s17, v8
	s_delay_alu instid0(VALU_DEP_1) | instskip(NEXT) | instid1(VALU_DEP_3)
	v_cndmask_b32_e64 v7, v7, v9, s1
	v_cndmask_b32_e64 v8, v8, v10, s1
	s_delay_alu instid0(VALU_DEP_2) | instskip(NEXT) | instid1(VALU_DEP_2)
	v_add_nc_u32_e32 v9, 1, v7
	v_cmp_le_u32_e64 s1, s17, v8
	s_delay_alu instid0(VALU_DEP_1) | instskip(NEXT) | instid1(VALU_DEP_1)
	v_cndmask_b32_e64 v9, v7, v9, s1
	v_mul_lo_u32 v7, v9, s17
	s_delay_alu instid0(VALU_DEP_1) | instskip(NEXT) | instid1(VALU_DEP_1)
	v_sub_nc_u32_e32 v3, v3, v7
	v_mul_lo_u32 v3, v3, s9
	s_delay_alu instid0(VALU_DEP_1)
	v_mad_u64_u32 v[7:8], null, v9, s8, v[3:4]
	v_mov_b32_e32 v8, v4
.LBB113_7:                              ;   in Loop: Header=BB113_3 Depth=1
	s_or_b32 exec_lo, exec_lo, s2
	v_mov_b32_e32 v11, 0
	v_mov_b32_e32 v12, 0
	v_cmp_lt_i32_e64 s1, 2, v31
	s_delay_alu instid0(VALU_DEP_2) | instskip(NEXT) | instid1(VALU_DEP_2)
	v_dual_mov_b32 v9, v11 :: v_dual_mov_b32 v10, v12
	s_and_saveexec_b32 s3, s1
	s_cbranch_execz .LBB113_9
; %bb.8:                                ;   in Loop: Header=BB113_3 Depth=1
	v_add_nc_u32_e32 v3, 2, v0
	s_delay_alu instid0(VALU_DEP_1) | instskip(NEXT) | instid1(VALU_DEP_1)
	v_mul_hi_u32 v9, v3, v36
	v_mul_lo_u32 v10, v9, s17
	v_add_nc_u32_e32 v13, 1, v9
	s_delay_alu instid0(VALU_DEP_2) | instskip(NEXT) | instid1(VALU_DEP_1)
	v_sub_nc_u32_e32 v10, v3, v10
	v_subrev_nc_u32_e32 v14, s17, v10
	v_cmp_le_u32_e64 s2, s17, v10
	s_delay_alu instid0(VALU_DEP_1) | instskip(NEXT) | instid1(VALU_DEP_3)
	v_cndmask_b32_e64 v9, v9, v13, s2
	v_cndmask_b32_e64 v10, v10, v14, s2
	s_delay_alu instid0(VALU_DEP_2) | instskip(NEXT) | instid1(VALU_DEP_2)
	v_add_nc_u32_e32 v13, 1, v9
	v_cmp_le_u32_e64 s2, s17, v10
	s_delay_alu instid0(VALU_DEP_1) | instskip(NEXT) | instid1(VALU_DEP_1)
	v_cndmask_b32_e64 v13, v9, v13, s2
	v_mul_lo_u32 v9, v13, s17
	s_delay_alu instid0(VALU_DEP_1) | instskip(NEXT) | instid1(VALU_DEP_1)
	v_sub_nc_u32_e32 v3, v3, v9
	v_mul_lo_u32 v3, v3, s9
	s_delay_alu instid0(VALU_DEP_1)
	v_mad_u64_u32 v[9:10], null, v13, s8, v[3:4]
	v_mov_b32_e32 v10, v4
.LBB113_9:                              ;   in Loop: Header=BB113_3 Depth=1
	s_or_b32 exec_lo, exec_lo, s3
	v_cmp_lt_i32_e64 s2, 3, v31
	s_delay_alu instid0(VALU_DEP_1)
	s_and_saveexec_b32 s33, s2
	s_cbranch_execz .LBB113_11
; %bb.10:                               ;   in Loop: Header=BB113_3 Depth=1
	v_add_nc_u32_e32 v3, 3, v0
	s_delay_alu instid0(VALU_DEP_1) | instskip(NEXT) | instid1(VALU_DEP_1)
	v_mul_hi_u32 v11, v3, v36
	v_mul_lo_u32 v12, v11, s17
	v_add_nc_u32_e32 v13, 1, v11
	s_delay_alu instid0(VALU_DEP_2) | instskip(NEXT) | instid1(VALU_DEP_1)
	v_sub_nc_u32_e32 v12, v3, v12
	v_subrev_nc_u32_e32 v14, s17, v12
	v_cmp_le_u32_e64 s3, s17, v12
	s_delay_alu instid0(VALU_DEP_1) | instskip(NEXT) | instid1(VALU_DEP_3)
	v_cndmask_b32_e64 v11, v11, v13, s3
	v_cndmask_b32_e64 v12, v12, v14, s3
	s_delay_alu instid0(VALU_DEP_2) | instskip(NEXT) | instid1(VALU_DEP_2)
	v_add_nc_u32_e32 v13, 1, v11
	v_cmp_le_u32_e64 s3, s17, v12
	s_delay_alu instid0(VALU_DEP_1) | instskip(NEXT) | instid1(VALU_DEP_1)
	v_cndmask_b32_e64 v13, v11, v13, s3
	v_mul_lo_u32 v11, v13, s17
	s_delay_alu instid0(VALU_DEP_1) | instskip(NEXT) | instid1(VALU_DEP_1)
	v_sub_nc_u32_e32 v3, v3, v11
	v_mul_lo_u32 v3, v3, s9
	s_delay_alu instid0(VALU_DEP_1)
	v_mad_u64_u32 v[11:12], null, v13, s8, v[3:4]
	v_mov_b32_e32 v12, v4
.LBB113_11:                             ;   in Loop: Header=BB113_3 Depth=1
	s_or_b32 exec_lo, exec_lo, s33
	v_add_nc_u32_e32 v3, s25, v30
	v_add_nc_u32_e32 v15, s25, v35
	;; [unrolled: 1-line block ×4, first 2 shown]
	s_delay_alu instid0(VALU_DEP_4) | instskip(NEXT) | instid1(VALU_DEP_1)
	v_cndmask_b32_e32 v3, 0, v3, vcc_lo
	v_lshlrev_b64 v[13:14], 2, v[3:4]
	v_cndmask_b32_e64 v3, 0, v15, s0
	s_delay_alu instid0(VALU_DEP_1) | instskip(SKIP_1) | instid1(VALU_DEP_4)
	v_lshlrev_b64 v[15:16], 2, v[3:4]
	v_cndmask_b32_e64 v3, 0, v17, s1
	v_add_co_u32 v13, vcc_lo, s10, v13
	v_add_co_ci_u32_e32 v14, vcc_lo, s11, v14, vcc_lo
	s_delay_alu instid0(VALU_DEP_3) | instskip(SKIP_3) | instid1(VALU_DEP_3)
	v_lshlrev_b64 v[17:18], 2, v[3:4]
	v_cndmask_b32_e64 v3, 0, v19, s2
	v_add_co_u32 v15, vcc_lo, s10, v15
	v_add_co_ci_u32_e32 v16, vcc_lo, s11, v16, vcc_lo
	v_lshlrev_b64 v[19:20], 2, v[3:4]
	v_add_co_u32 v17, vcc_lo, s10, v17
	v_add_co_ci_u32_e32 v18, vcc_lo, s11, v18, vcc_lo
	s_delay_alu instid0(VALU_DEP_3) | instskip(NEXT) | instid1(VALU_DEP_4)
	v_add_co_u32 v19, vcc_lo, s10, v19
	v_add_co_ci_u32_e32 v20, vcc_lo, s11, v20, vcc_lo
	s_clause 0x3
	global_load_b32 v3, v[13:14], off
	global_load_b32 v37, v[15:16], off
	global_load_b32 v38, v[17:18], off
	global_load_b32 v39, v[19:20], off
	s_waitcnt lgkmcnt(0)
	v_mov_b32_e32 v20, s5
	v_dual_mov_b32 v18, s7 :: v_dual_mov_b32 v17, s6
	v_mov_b32_e32 v19, s4
	s_and_not1_b32 vcc_lo, exec_lo, s18
	s_cbranch_vccnz .LBB113_13
; %bb.12:                               ;   in Loop: Header=BB113_3 Depth=1
	v_dual_mov_b32 v14, s7 :: v_dual_mov_b32 v13, s6
	v_dual_mov_b32 v16, s5 :: v_dual_mov_b32 v15, s4
	flat_load_b64 v[13:14], v[13:14]
	flat_load_b64 v[19:20], v[15:16]
	s_waitcnt vmcnt(1) lgkmcnt(1)
	v_add_co_u32 v17, vcc_lo, v13, s14
	v_add_co_ci_u32_e32 v18, vcc_lo, s15, v14, vcc_lo
.LBB113_13:                             ;   in Loop: Header=BB113_3 Depth=1
	s_delay_alu instid0(VALU_DEP_1)
	v_alignbit_b32 v16, v18, v17, 2
	v_lshrrev_b32_e32 v15, 2, v18
	s_waitcnt vmcnt(0) lgkmcnt(0)
	v_add_nc_u32_e32 v41, 0xbb67ae85, v20
	v_add_nc_u32_e32 v42, 0x76cf5d0a, v20
	;; [unrolled: 1-line block ×3, first 2 shown]
	v_add_co_u32 v18, vcc_lo, v16, 1
	s_delay_alu instid0(VALU_DEP_1) | instskip(SKIP_4) | instid1(VALU_DEP_4)
	v_cndmask_b32_e64 v13, 0, 1, vcc_lo
	v_add_co_ci_u32_e32 v27, vcc_lo, 0, v15, vcc_lo
	v_xor3_b32 v23, v32, v19, v15
	v_add_nc_u32_e32 v44, 0x32370b8f, v20
	v_add_nc_u32_e32 v45, 0xed9eba14, v20
	v_cmp_eq_u32_e32 vcc_lo, 0, v27
	v_add_nc_u32_e32 v46, 0x1715609d, v19
	v_add_nc_u32_e32 v47, 0xa9066899, v20
	s_mov_b32 s0, exec_lo
	v_dual_cndmask_b32 v21, 0, v13 :: v_dual_add_nc_u32 v40, 0x9e3779b9, v19
	v_mad_u64_u32 v[13:14], null, 0xd2511f53, v18, 0
	s_delay_alu instid0(VALU_DEP_2) | instskip(NEXT) | instid1(VALU_DEP_2)
	v_add_nc_u32_e32 v18, v21, v1
	v_xor_b32_e32 v22, v14, v20
	s_delay_alu instid0(VALU_DEP_2) | instskip(SKIP_2) | instid1(VALU_DEP_1)
	v_cmp_eq_u32_e32 vcc_lo, 0, v18
	v_mad_u64_u32 v[14:15], null, 0xd2511f53, v16, 0
	v_cndmask_b32_e32 v21, 0, v21, vcc_lo
	v_xor_b32_e32 v16, v21, v22
	v_mad_u64_u32 v[21:22], null, 0xd2511f53, v23, 0
	v_mad_u64_u32 v[23:24], null, 0xcd9e8d57, v18, 0
	v_add_nc_u32_e32 v18, 0x3c6ef372, v19
	s_delay_alu instid0(VALU_DEP_4) | instskip(SKIP_2) | instid1(VALU_DEP_2)
	v_mad_u64_u32 v[25:26], null, 0xcd9e8d57, v16, 0
	v_xor_b32_e32 v16, v15, v20
	v_xor3_b32 v28, v41, v22, v14
	v_mad_u64_u32 v[14:15], null, 0xcd9e8d57, v16, 0
	v_xor3_b32 v16, v24, v19, v27
	v_xor3_b32 v24, v40, v26, v23
	s_delay_alu instid0(VALU_DEP_4) | instskip(NEXT) | instid1(VALU_DEP_3)
	v_mad_u64_u32 v[22:23], null, 0xcd9e8d57, v28, 0
	v_mad_u64_u32 v[26:27], null, 0xd2511f53, v16, 0
	s_delay_alu instid0(VALU_DEP_3) | instskip(SKIP_1) | instid1(VALU_DEP_4)
	v_mad_u64_u32 v[28:29], null, 0xd2511f53, v24, 0
	v_xor3_b32 v16, v2, v15, v40
	v_xor3_b32 v40, v18, v23, v14
	s_delay_alu instid0(VALU_DEP_4) | instskip(NEXT) | instid1(VALU_DEP_3)
	v_xor3_b32 v13, v41, v27, v13
	v_mad_u64_u32 v[14:15], null, 0xd2511f53, v16, 0
	v_xor3_b32 v16, v42, v29, v26
	s_delay_alu instid0(VALU_DEP_4) | instskip(NEXT) | instid1(VALU_DEP_4)
	v_mad_u64_u32 v[23:24], null, 0xd2511f53, v40, 0
	v_mad_u64_u32 v[26:27], null, 0xcd9e8d57, v13, 0
	s_delay_alu instid0(VALU_DEP_3) | instskip(SKIP_4) | instid1(VALU_DEP_4)
	v_mad_u64_u32 v[40:41], null, 0xcd9e8d57, v16, 0
	v_xor3_b32 v15, v42, v15, v21
	v_add_nc_u32_e32 v29, 0x78dde6e4, v19
	v_xor3_b32 v21, v44, v24, v14
	v_xor3_b32 v18, v18, v27, v25
	v_mad_u64_u32 v[13:14], null, 0xcd9e8d57, v15, 0
	v_xor3_b32 v41, v43, v41, v26
	s_delay_alu instid0(VALU_DEP_4) | instskip(NEXT) | instid1(VALU_DEP_4)
	v_mad_u64_u32 v[15:16], null, 0xcd9e8d57, v21, 0
	v_mad_u64_u32 v[24:25], null, 0xd2511f53, v18, 0
	s_delay_alu instid0(VALU_DEP_3) | instskip(SKIP_1) | instid1(VALU_DEP_4)
	v_mad_u64_u32 v[26:27], null, 0xd2511f53, v41, 0
	v_xor3_b32 v18, v43, v14, v22
	v_xor3_b32 v16, v29, v16, v13
	s_delay_alu instid0(VALU_DEP_2) | instskip(SKIP_2) | instid1(VALU_DEP_4)
	v_mad_u64_u32 v[13:14], null, 0xd2511f53, v18, 0
	v_xor3_b32 v18, v44, v25, v28
	v_xor3_b32 v24, v45, v27, v24
	v_mad_u64_u32 v[27:28], null, 0xd2511f53, v16, 0
	s_delay_alu instid0(VALU_DEP_3) | instskip(NEXT) | instid1(VALU_DEP_3)
	v_mad_u64_u32 v[21:22], null, 0xcd9e8d57, v18, 0
	v_mad_u64_u32 v[41:42], null, 0xcd9e8d57, v24, 0
	v_xor3_b32 v16, v45, v14, v23
	s_delay_alu instid0(VALU_DEP_4) | instskip(SKIP_2) | instid1(VALU_DEP_4)
	v_xor3_b32 v24, v47, v28, v13
	v_add_nc_u32_e32 v18, 0xb54cda56, v19
	v_add_nc_u32_e32 v23, 0x646e171e, v20
	v_mad_u64_u32 v[13:14], null, 0xcd9e8d57, v16, 0
	v_xor3_b32 v16, v29, v22, v40
	v_xor3_b32 v25, v46, v42, v21
	v_mad_u64_u32 v[42:43], null, 0xcd9e8d57, v24, 0
	v_add_nc_u32_e32 v29, 0x5384540f, v19
	s_delay_alu instid0(VALU_DEP_4) | instskip(NEXT) | instid1(VALU_DEP_4)
	v_mad_u64_u32 v[21:22], null, 0xd2511f53, v16, 0
	v_mad_u64_u32 v[44:45], null, 0xd2511f53, v25, 0
	v_xor3_b32 v15, v46, v14, v15
	v_xor3_b32 v16, v18, v43, v13
	v_add_nc_u32_e32 v46, 0x1fd5c5a3, v20
	v_add_co_u32 v40, null, 0xf1bbcdc8, v19
	v_xor3_b32 v24, v47, v22, v26
	v_xor3_b32 v26, v23, v45, v21
	v_mad_u64_u32 v[13:14], null, 0xd2511f53, v15, 0
	v_mad_u64_u32 v[21:22], null, 0xd2511f53, v16, 0
	s_delay_alu instid0(VALU_DEP_4) | instskip(NEXT) | instid1(VALU_DEP_4)
	v_mad_u64_u32 v[15:16], null, 0xcd9e8d57, v24, 0
	v_mad_u64_u32 v[24:25], null, 0xcd9e8d57, v26, 0
	s_delay_alu instid0(VALU_DEP_4) | instskip(NEXT) | instid1(VALU_DEP_4)
	v_xor3_b32 v23, v23, v14, v27
	v_xor3_b32 v26, v46, v22, v13
	s_delay_alu instid0(VALU_DEP_4) | instskip(NEXT) | instid1(VALU_DEP_3)
	v_xor3_b32 v18, v18, v16, v41
	v_mad_u64_u32 v[13:14], null, 0xcd9e8d57, v23, 0
	v_xor3_b32 v25, v29, v25, v15
	s_delay_alu instid0(VALU_DEP_4) | instskip(NEXT) | instid1(VALU_DEP_4)
	v_mad_u64_u32 v[22:23], null, 0xcd9e8d57, v26, 0
	v_mad_u64_u32 v[15:16], null, 0xd2511f53, v18, 0
	s_delay_alu instid0(VALU_DEP_3)
	v_mad_u64_u32 v[27:28], null, 0xd2511f53, v25, 0
	v_add_nc_u32_e32 v41, 0xdb3d7428, v20
	v_xor3_b32 v14, v29, v14, v42
	v_xor3_b32 v18, v40, v23, v13
	v_add_nc_u32_e32 v42, 0x96a522ad, v20
	v_xor3_b32 v16, v46, v16, v44
	v_and_b32_e32 v20, 3, v17
	v_xor3_b32 v23, v41, v28, v15
	v_mad_u64_u32 v[25:26], null, 0xd2511f53, v14, 0
	v_mad_u64_u32 v[13:14], null, 0xd2511f53, v18, 0
	;; [unrolled: 1-line block ×3, first 2 shown]
	s_delay_alu instid0(VALU_DEP_4) | instskip(SKIP_1) | instid1(VALU_DEP_4)
	v_mad_u64_u32 v[15:16], null, 0xcd9e8d57, v23, 0
	v_add_nc_u32_e32 v23, 0x8ff34781, v19
                                        ; implicit-def: $vgpr18
	v_xor3_b32 v19, v14, v25, v42
	s_delay_alu instid0(VALU_DEP_2)
	v_xor3_b32 v14, v16, v28, v23
	v_cmpx_lt_i32_e32 1, v20
	s_xor_b32 s0, exec_lo, s0
	s_cbranch_execz .LBB113_19
; %bb.14:                               ;   in Loop: Header=BB113_3 Depth=1
	s_mov_b32 s1, exec_lo
                                        ; implicit-def: $vgpr18
	v_cmpx_lt_i32_e32 2, v20
	s_xor_b32 s1, exec_lo, s1
; %bb.15:                               ;   in Loop: Header=BB113_3 Depth=1
	v_xor3_b32 v16, v40, v29, v24
                                        ; implicit-def: $vgpr19
	s_delay_alu instid0(VALU_DEP_1) | instskip(NEXT) | instid1(VALU_DEP_1)
	v_mul_hi_u32 v16, 0xd2511f53, v16
	v_xor3_b32 v18, v16, v27, v42
; %bb.16:                               ;   in Loop: Header=BB113_3 Depth=1
	s_and_not1_saveexec_b32 s1, s1
; %bb.17:                               ;   in Loop: Header=BB113_3 Depth=1
	v_dual_mov_b32 v18, v15 :: v_dual_mov_b32 v15, v14
	v_dual_mov_b32 v14, v13 :: v_dual_mov_b32 v13, v19
; %bb.18:                               ;   in Loop: Header=BB113_3 Depth=1
	s_or_b32 exec_lo, exec_lo, s1
                                        ; implicit-def: $vgpr21_vgpr22
                                        ; implicit-def: $vgpr20
                                        ; implicit-def: $vgpr19
                                        ; implicit-def: $vgpr41
                                        ; implicit-def: $vgpr25_vgpr26
                                        ; implicit-def: $vgpr22_vgpr23
                                        ; implicit-def: $vgpr23
.LBB113_19:                             ;   in Loop: Header=BB113_3 Depth=1
	s_and_not1_saveexec_b32 s0, s0
	s_cbranch_execz .LBB113_23
; %bb.20:                               ;   in Loop: Header=BB113_3 Depth=1
	v_xor3_b32 v15, v41, v26, v21
	v_cmp_eq_u32_e32 vcc_lo, 1, v20
	v_mov_b32_e32 v18, v13
	s_delay_alu instid0(VALU_DEP_3) | instskip(SKIP_1) | instid1(VALU_DEP_2)
	v_mad_u64_u32 v[16:17], null, 0xcd9e8d57, v15, 0
	v_mov_b32_e32 v15, v19
	v_xor3_b32 v20, v17, v22, v23
	s_delay_alu instid0(VALU_DEP_3)
	v_mov_b32_e32 v17, v16
	s_and_saveexec_b32 s1, vcc_lo
; %bb.21:                               ;   in Loop: Header=BB113_3 Depth=1
	v_dual_mov_b32 v18, v14 :: v_dual_mov_b32 v15, v13
	v_dual_mov_b32 v17, v19 :: v_dual_mov_b32 v20, v16
; %bb.22:                               ;   in Loop: Header=BB113_3 Depth=1
	s_or_b32 exec_lo, exec_lo, s1
	s_delay_alu instid0(VALU_DEP_1)
	v_dual_mov_b32 v13, v20 :: v_dual_mov_b32 v14, v17
.LBB113_23:                             ;   in Loop: Header=BB113_3 Depth=1
	s_or_b32 exec_lo, exec_lo, s0
	v_min_i32_e32 v16, 4, v31
	s_mov_b32 s1, 0
	s_mov_b32 s36, 0
                                        ; implicit-def: $sgpr2
                                        ; implicit-def: $sgpr3
                                        ; implicit-def: $sgpr33
	s_mov_b32 s0, exec_lo
	s_delay_alu instid0(VALU_DEP_1)
	v_cmpx_lt_i32_e32 2, v16
	s_xor_b32 s34, exec_lo, s0
	s_cbranch_execz .LBB113_33
; %bb.24:                               ;   in Loop: Header=BB113_3 Depth=1
	s_mov_b32 s33, -1
	s_mov_b32 s3, exec_lo
                                        ; implicit-def: $sgpr2
                                        ; implicit-def: $sgpr35
	v_cmpx_lt_i32_e32 3, v16
	s_cbranch_execz .LBB113_28
; %bb.25:                               ;   in Loop: Header=BB113_3 Depth=1
	v_cmp_le_f32_e32 vcc_lo, 0, v39
	v_cmp_ge_f32_e64 s0, 1.0, v39
	s_mov_b32 s2, 0
	s_delay_alu instid0(VALU_DEP_1)
	s_and_b32 s35, vcc_lo, s0
	s_mov_b32 s0, 0
	s_and_saveexec_b32 s33, s35
	s_cbranch_execz .LBB113_27
; %bb.26:                               ;   in Loop: Header=BB113_3 Depth=1
	v_cvt_f32_u32_e32 v17, v18
	v_add_co_u32 v11, vcc_lo, s12, v11
	v_add_co_ci_u32_e32 v12, vcc_lo, s13, v12, vcc_lo
	s_delay_alu instid0(VALU_DEP_3) | instskip(SKIP_1) | instid1(VALU_DEP_1)
	v_fmaak_f32 v17, 0x2f800000, v17, 0x2f800000
	s_mov_b32 s0, exec_lo
	v_cmp_le_f32_e32 vcc_lo, v17, v39
	v_cndmask_b32_e64 v17, 0, 1, vcc_lo
	global_store_b8 v[11:12], v17, off
.LBB113_27:                             ;   in Loop: Header=BB113_3 Depth=1
	s_or_b32 exec_lo, exec_lo, s33
	s_mov_b32 s35, -1
	s_or_not1_b32 s33, s0, exec_lo
.LBB113_28:                             ;   in Loop: Header=BB113_3 Depth=1
	s_or_b32 exec_lo, exec_lo, s3
	s_mov_b32 s0, 0
	s_mov_b32 s36, s2
	s_and_saveexec_b32 s3, s33
	s_cbranch_execz .LBB113_32
; %bb.29:                               ;   in Loop: Header=BB113_3 Depth=1
	v_cmp_le_f32_e32 vcc_lo, 0, v38
	v_cmp_ge_f32_e64 s0, 1.0, v38
	s_delay_alu instid0(VALU_DEP_1) | instskip(SKIP_2) | instid1(SALU_CYCLE_1)
	s_and_b32 s33, vcc_lo, s0
	s_mov_b32 s0, 0
	s_and_saveexec_b32 s36, s33
	s_xor_b32 s33, exec_lo, s36
	s_cbranch_execz .LBB113_31
; %bb.30:                               ;   in Loop: Header=BB113_3 Depth=1
	v_cvt_f32_u32_e32 v11, v15
	v_add_co_u32 v9, vcc_lo, s12, v9
	v_add_co_ci_u32_e32 v10, vcc_lo, s13, v10, vcc_lo
	s_delay_alu instid0(VALU_DEP_3) | instskip(SKIP_1) | instid1(VALU_DEP_1)
	v_fmaak_f32 v11, 0x2f800000, v11, 0x2f800000
	s_mov_b32 s0, exec_lo
	v_cmp_le_f32_e32 vcc_lo, v11, v38
	v_cndmask_b32_e64 v11, 0, 1, vcc_lo
	global_store_b8 v[9:10], v11, off
.LBB113_31:                             ;   in Loop: Header=BB113_3 Depth=1
	s_or_b32 exec_lo, exec_lo, s33
	s_delay_alu instid0(SALU_CYCLE_1)
	s_and_not1_b32 s36, s2, exec_lo
	s_or_b32 s2, s2, exec_lo
	s_and_not1_b32 s35, s35, exec_lo
	s_and_b32 s0, s0, exec_lo
.LBB113_32:                             ;   in Loop: Header=BB113_3 Depth=1
	s_or_b32 exec_lo, exec_lo, s3
	s_delay_alu instid0(SALU_CYCLE_1)
	s_and_b32 s33, s36, exec_lo
	s_and_b32 s3, s2, exec_lo
	;; [unrolled: 1-line block ×4, first 2 shown]
.LBB113_33:                             ;   in Loop: Header=BB113_3 Depth=1
	s_and_not1_saveexec_b32 s0, s34
; %bb.34:                               ;   in Loop: Header=BB113_3 Depth=1
	v_cmp_lt_i32_e32 vcc_lo, 1, v16
	s_and_not1_b32 s34, s36, exec_lo
	s_mov_b32 s1, exec_lo
	s_and_not1_b32 s33, s33, exec_lo
	s_and_not1_b32 s3, s3, exec_lo
	s_and_b32 s35, vcc_lo, exec_lo
	s_and_not1_b32 s2, s2, exec_lo
	s_or_b32 s36, s34, s35
; %bb.35:                               ;   in Loop: Header=BB113_3 Depth=1
	s_or_b32 exec_lo, exec_lo, s0
	s_mov_b32 s34, 0
	s_mov_b32 s0, 0
	;; [unrolled: 1-line block ×3, first 2 shown]
	s_and_saveexec_b32 s37, s36
	s_cbranch_execnz .LBB113_38
; %bb.36:                               ;   in Loop: Header=BB113_3 Depth=1
	s_or_b32 exec_lo, exec_lo, s37
	s_and_saveexec_b32 s36, s1
	s_cbranch_execnz .LBB113_41
.LBB113_37:                             ;   in Loop: Header=BB113_3 Depth=1
	s_or_b32 exec_lo, exec_lo, s36
	s_and_saveexec_b32 s1, s0
	s_cbranch_execnz .LBB113_42
	s_branch .LBB113_45
.LBB113_38:                             ;   in Loop: Header=BB113_3 Depth=1
	v_cmp_le_f32_e32 vcc_lo, 0, v37
	v_cmp_ge_f32_e64 s0, 1.0, v37
	s_delay_alu instid0(VALU_DEP_1) | instskip(SKIP_2) | instid1(SALU_CYCLE_1)
	s_and_b32 s35, vcc_lo, s0
	s_mov_b32 s0, 0
	s_and_saveexec_b32 s36, s35
	s_xor_b32 s35, exec_lo, s36
	s_cbranch_execz .LBB113_40
; %bb.39:                               ;   in Loop: Header=BB113_3 Depth=1
	v_cvt_f32_u32_e32 v9, v14
	v_add_co_u32 v7, vcc_lo, s12, v7
	v_add_co_ci_u32_e32 v8, vcc_lo, s13, v8, vcc_lo
	s_delay_alu instid0(VALU_DEP_3) | instskip(SKIP_1) | instid1(VALU_DEP_1)
	v_fmaak_f32 v9, 0x2f800000, v9, 0x2f800000
	s_mov_b32 s0, exec_lo
	v_cmp_le_f32_e32 vcc_lo, v9, v37
	v_cndmask_b32_e64 v9, 0, 1, vcc_lo
	global_store_b8 v[7:8], v9, off
.LBB113_40:                             ;   in Loop: Header=BB113_3 Depth=1
	s_or_b32 exec_lo, exec_lo, s35
	s_delay_alu instid0(SALU_CYCLE_1)
	s_and_not1_b32 s35, s33, exec_lo
	s_or_b32 s33, s33, exec_lo
	s_and_not1_b32 s3, s3, exec_lo
	s_and_not1_b32 s2, s2, exec_lo
	s_and_b32 s0, s0, exec_lo
	s_and_not1_b32 s1, s1, exec_lo
	s_or_b32 exec_lo, exec_lo, s37
	s_and_saveexec_b32 s36, s1
	s_cbranch_execz .LBB113_37
.LBB113_41:                             ;   in Loop: Header=BB113_3 Depth=1
	v_cmp_eq_u32_e32 vcc_lo, 1, v16
	s_and_not1_b32 s0, s0, exec_lo
	s_mov_b32 s34, exec_lo
	s_and_not1_b32 s35, s35, exec_lo
	s_and_not1_b32 s33, s33, exec_lo
	s_and_b32 s1, vcc_lo, exec_lo
	s_and_not1_b32 s3, s3, exec_lo
	s_and_not1_b32 s2, s2, exec_lo
	s_or_b32 s0, s0, s1
	s_or_b32 exec_lo, exec_lo, s36
	s_and_saveexec_b32 s1, s0
	s_cbranch_execz .LBB113_45
.LBB113_42:                             ;   in Loop: Header=BB113_3 Depth=1
	v_cmp_le_f32_e32 vcc_lo, 0, v3
	v_cmp_ge_f32_e64 s0, 1.0, v3
	s_delay_alu instid0(VALU_DEP_1)
	s_and_b32 s37, vcc_lo, s0
	s_mov_b32 s0, 0
	s_and_saveexec_b32 s36, s37
	s_cbranch_execz .LBB113_44
; %bb.43:                               ;   in Loop: Header=BB113_3 Depth=1
	v_cvt_f32_u32_e32 v7, v13
	v_add_co_u32 v5, vcc_lo, s12, v5
	v_add_co_ci_u32_e32 v6, vcc_lo, s13, v6, vcc_lo
	s_delay_alu instid0(VALU_DEP_3) | instskip(SKIP_1) | instid1(VALU_DEP_1)
	v_fmaak_f32 v7, 0x2f800000, v7, 0x2f800000
	s_mov_b32 s0, exec_lo
	v_cmp_le_f32_e32 vcc_lo, v7, v3
	v_cndmask_b32_e64 v3, 0, 1, vcc_lo
	global_store_b8 v[5:6], v3, off
.LBB113_44:                             ;   in Loop: Header=BB113_3 Depth=1
	s_or_b32 exec_lo, exec_lo, s36
	s_delay_alu instid0(SALU_CYCLE_1)
	s_and_not1_b32 s34, s34, exec_lo
	s_and_b32 s0, s0, exec_lo
	s_or_b32 s35, s35, exec_lo
	s_and_not1_b32 s33, s33, exec_lo
	s_and_not1_b32 s3, s3, exec_lo
	;; [unrolled: 1-line block ×3, first 2 shown]
	s_or_b32 s34, s34, s0
.LBB113_45:                             ;   in Loop: Header=BB113_3 Depth=1
	s_or_b32 exec_lo, exec_lo, s1
	s_delay_alu instid0(SALU_CYCLE_1)
	s_and_not1_b32 s1, s31, exec_lo
	s_and_b32 s31, s35, exec_lo
	s_and_not1_b32 s29, s29, exec_lo
	s_and_b32 s33, s33, exec_lo
	s_or_b32 s31, s1, s31
	s_and_not1_b32 s1, s30, exec_lo
	s_and_b32 s3, s3, exec_lo
	s_and_not1_b32 s28, s28, exec_lo
	s_and_b32 s2, s2, exec_lo
	s_mov_b32 s0, -1
	s_or_b32 s29, s29, s33
	s_or_b32 s30, s1, s3
	s_or_b32 s28, s28, s2
	s_and_saveexec_b32 s1, s34
	s_cbranch_execz .LBB113_2
; %bb.46:                               ;   in Loop: Header=BB113_3 Depth=1
	v_add_nc_u32_e32 v0, s21, v0
	v_subrev_nc_u32_e32 v31, s21, v31
	s_add_i32 s25, s25, s23
	s_and_not1_b32 s31, s31, exec_lo
	s_and_not1_b32 s29, s29, exec_lo
	v_cmp_le_u32_e32 vcc_lo, s16, v0
	s_and_not1_b32 s30, s30, exec_lo
	s_and_not1_b32 s28, s28, exec_lo
	s_or_not1_b32 s0, vcc_lo, exec_lo
	s_branch .LBB113_2
.LBB113_47:
	s_or_b32 exec_lo, exec_lo, s22
	s_xor_b32 s3, s26, -1
	s_xor_b32 s4, s27, -1
	;; [unrolled: 1-line block ×3, first 2 shown]
	s_mov_b32 s1, 0
	s_and_saveexec_b32 s2, s0
	s_delay_alu instid0(SALU_CYCLE_1)
	s_xor_b32 s0, exec_lo, s2
	s_cbranch_execz .LBB113_56
; %bb.48:
	s_mov_b32 s2, 0
	s_and_saveexec_b32 s1, s4
	s_delay_alu instid0(SALU_CYCLE_1)
	s_xor_b32 s1, exec_lo, s1
	s_cbranch_execz .LBB113_54
; %bb.49:
	s_and_saveexec_b32 s4, s3
	s_delay_alu instid0(SALU_CYCLE_1)
	s_xor_b32 s3, exec_lo, s4
	s_cbranch_execz .LBB113_52
; %bb.50:
	s_and_saveexec_b32 s4, s20
	s_delay_alu instid0(SALU_CYCLE_1)
	s_xor_b32 s4, exec_lo, s4
	s_cbranch_execnz .LBB113_70
.LBB113_51:
	s_or_b32 exec_lo, exec_lo, s4
	s_delay_alu instid0(SALU_CYCLE_1)
	s_and_b32 s2, s2, exec_lo
.LBB113_52:
	s_and_not1_saveexec_b32 s3, s3
	s_cbranch_execnz .LBB113_66
.LBB113_53:
	s_or_b32 exec_lo, exec_lo, s3
	s_delay_alu instid0(SALU_CYCLE_1)
	s_and_b32 s2, s2, exec_lo
.LBB113_54:
	s_and_not1_saveexec_b32 s1, s1
	s_cbranch_execnz .LBB113_62
.LBB113_55:
	s_or_b32 exec_lo, exec_lo, s1
	s_delay_alu instid0(SALU_CYCLE_1)
	s_and_b32 s1, s2, exec_lo
.LBB113_56:
	s_and_not1_saveexec_b32 s0, s0
	s_cbranch_execnz .LBB113_60
; %bb.57:
	s_or_b32 exec_lo, exec_lo, s0
	s_delay_alu instid0(SALU_CYCLE_1)
	s_and_b32 exec_lo, exec_lo, s1
.LBB113_58:
	; divergent unreachable
.LBB113_59:
	s_nop 0
	s_sendmsg sendmsg(MSG_DEALLOC_VGPRS)
	s_endpgm
.LBB113_60:
	s_cbranch_execnz .LBB113_64
; %bb.61:
	s_or_b32 s1, s1, exec_lo
	s_or_b32 exec_lo, exec_lo, s0
	s_delay_alu instid0(SALU_CYCLE_1)
	s_and_b32 exec_lo, exec_lo, s1
	s_cbranch_execnz .LBB113_58
	s_branch .LBB113_59
.LBB113_62:
	s_cbranch_execnz .LBB113_68
; %bb.63:
	s_or_b32 s2, s2, exec_lo
	s_branch .LBB113_55
.LBB113_64:
	s_trap 2
	s_sendmsg_rtn_b32 s0, sendmsg(MSG_RTN_GET_DOORBELL)
	s_mov_b32 ttmp2, m0
	s_waitcnt lgkmcnt(0)
	s_and_b32 s0, s0, 0x3ff
	s_delay_alu instid0(SALU_CYCLE_1) | instskip(NEXT) | instid1(SALU_CYCLE_1)
	s_bitset1_b32 s0, 10
	s_mov_b32 m0, s0
	s_sendmsg sendmsg(MSG_INTERRUPT)
	s_mov_b32 m0, ttmp2
.LBB113_65:                             ; =>This Inner Loop Header: Depth=1
	s_sethalt 5
	s_branch .LBB113_65
.LBB113_66:
	s_cbranch_execnz .LBB113_72
; %bb.67:
	s_or_b32 s2, s2, exec_lo
	s_branch .LBB113_53
.LBB113_68:
	s_trap 2
	s_sendmsg_rtn_b32 s0, sendmsg(MSG_RTN_GET_DOORBELL)
	s_mov_b32 ttmp2, m0
	s_waitcnt lgkmcnt(0)
	s_and_b32 s0, s0, 0x3ff
	s_delay_alu instid0(SALU_CYCLE_1) | instskip(NEXT) | instid1(SALU_CYCLE_1)
	s_bitset1_b32 s0, 10
	s_mov_b32 m0, s0
	s_sendmsg sendmsg(MSG_INTERRUPT)
	s_mov_b32 m0, ttmp2
.LBB113_69:                             ; =>This Inner Loop Header: Depth=1
	s_sethalt 5
	s_branch .LBB113_69
.LBB113_70:
	s_cbranch_execnz .LBB113_74
; %bb.71:
	s_mov_b32 s2, exec_lo
	s_branch .LBB113_51
.LBB113_72:
	s_trap 2
	s_sendmsg_rtn_b32 s0, sendmsg(MSG_RTN_GET_DOORBELL)
	s_mov_b32 ttmp2, m0
	s_waitcnt lgkmcnt(0)
	s_and_b32 s0, s0, 0x3ff
	s_delay_alu instid0(SALU_CYCLE_1) | instskip(NEXT) | instid1(SALU_CYCLE_1)
	s_bitset1_b32 s0, 10
	s_mov_b32 m0, s0
	s_sendmsg sendmsg(MSG_INTERRUPT)
	s_mov_b32 m0, ttmp2
.LBB113_73:                             ; =>This Inner Loop Header: Depth=1
	s_sethalt 5
	s_branch .LBB113_73
.LBB113_74:
	s_trap 2
	s_sendmsg_rtn_b32 s0, sendmsg(MSG_RTN_GET_DOORBELL)
	s_mov_b32 ttmp2, m0
	s_waitcnt lgkmcnt(0)
	s_and_b32 s0, s0, 0x3ff
	s_delay_alu instid0(SALU_CYCLE_1) | instskip(NEXT) | instid1(SALU_CYCLE_1)
	s_bitset1_b32 s0, 10
	s_mov_b32 m0, s0
	s_sendmsg sendmsg(MSG_INTERRUPT)
	s_mov_b32 m0, ttmp2
.LBB113_75:                             ; =>This Inner Loop Header: Depth=1
	s_sethalt 5
	s_branch .LBB113_75
	.section	.rodata,"a",@progbits
	.p2align	6, 0x0
	.amdhsa_kernel _ZN2at4cuda12_GLOBAL__N_121kernelPointwiseApply2IZNS_6native9templates4cuda28bernoulli_tensor_cuda_kernelIbfEEvRKNS_10TensorBaseES9_NS_15PhiloxCudaStateEEUliRbSB_SB_SB_RKfSD_SD_SD_E_bSC_jLi2ELi1ELi4ELi512ELi2EEEvNS0_6detail10TensorInfoIT0_T2_EENSG_IT1_SI_EESI_T_
		.amdhsa_group_segment_fixed_size 0
		.amdhsa_private_segment_fixed_size 0
		.amdhsa_kernarg_size 728
		.amdhsa_user_sgpr_count 15
		.amdhsa_user_sgpr_dispatch_ptr 0
		.amdhsa_user_sgpr_queue_ptr 0
		.amdhsa_user_sgpr_kernarg_segment_ptr 1
		.amdhsa_user_sgpr_dispatch_id 0
		.amdhsa_user_sgpr_private_segment_size 0
		.amdhsa_wavefront_size32 1
		.amdhsa_uses_dynamic_stack 0
		.amdhsa_enable_private_segment 0
		.amdhsa_system_sgpr_workgroup_id_x 1
		.amdhsa_system_sgpr_workgroup_id_y 0
		.amdhsa_system_sgpr_workgroup_id_z 0
		.amdhsa_system_sgpr_workgroup_info 0
		.amdhsa_system_vgpr_workitem_id 0
		.amdhsa_next_free_vgpr 48
		.amdhsa_next_free_sgpr 38
		.amdhsa_reserve_vcc 1
		.amdhsa_float_round_mode_32 0
		.amdhsa_float_round_mode_16_64 0
		.amdhsa_float_denorm_mode_32 3
		.amdhsa_float_denorm_mode_16_64 3
		.amdhsa_dx10_clamp 1
		.amdhsa_ieee_mode 1
		.amdhsa_fp16_overflow 0
		.amdhsa_workgroup_processor_mode 1
		.amdhsa_memory_ordered 1
		.amdhsa_forward_progress 0
		.amdhsa_shared_vgpr_count 0
		.amdhsa_exception_fp_ieee_invalid_op 0
		.amdhsa_exception_fp_denorm_src 0
		.amdhsa_exception_fp_ieee_div_zero 0
		.amdhsa_exception_fp_ieee_overflow 0
		.amdhsa_exception_fp_ieee_underflow 0
		.amdhsa_exception_fp_ieee_inexact 0
		.amdhsa_exception_int_div_zero 0
	.end_amdhsa_kernel
	.section	.text._ZN2at4cuda12_GLOBAL__N_121kernelPointwiseApply2IZNS_6native9templates4cuda28bernoulli_tensor_cuda_kernelIbfEEvRKNS_10TensorBaseES9_NS_15PhiloxCudaStateEEUliRbSB_SB_SB_RKfSD_SD_SD_E_bSC_jLi2ELi1ELi4ELi512ELi2EEEvNS0_6detail10TensorInfoIT0_T2_EENSG_IT1_SI_EESI_T_,"axG",@progbits,_ZN2at4cuda12_GLOBAL__N_121kernelPointwiseApply2IZNS_6native9templates4cuda28bernoulli_tensor_cuda_kernelIbfEEvRKNS_10TensorBaseES9_NS_15PhiloxCudaStateEEUliRbSB_SB_SB_RKfSD_SD_SD_E_bSC_jLi2ELi1ELi4ELi512ELi2EEEvNS0_6detail10TensorInfoIT0_T2_EENSG_IT1_SI_EESI_T_,comdat
.Lfunc_end113:
	.size	_ZN2at4cuda12_GLOBAL__N_121kernelPointwiseApply2IZNS_6native9templates4cuda28bernoulli_tensor_cuda_kernelIbfEEvRKNS_10TensorBaseES9_NS_15PhiloxCudaStateEEUliRbSB_SB_SB_RKfSD_SD_SD_E_bSC_jLi2ELi1ELi4ELi512ELi2EEEvNS0_6detail10TensorInfoIT0_T2_EENSG_IT1_SI_EESI_T_, .Lfunc_end113-_ZN2at4cuda12_GLOBAL__N_121kernelPointwiseApply2IZNS_6native9templates4cuda28bernoulli_tensor_cuda_kernelIbfEEvRKNS_10TensorBaseES9_NS_15PhiloxCudaStateEEUliRbSB_SB_SB_RKfSD_SD_SD_E_bSC_jLi2ELi1ELi4ELi512ELi2EEEvNS0_6detail10TensorInfoIT0_T2_EENSG_IT1_SI_EESI_T_
                                        ; -- End function
	.section	.AMDGPU.csdata,"",@progbits
; Kernel info:
; codeLenInByte = 3756
; NumSgprs: 40
; NumVgprs: 48
; ScratchSize: 0
; MemoryBound: 0
; FloatMode: 240
; IeeeMode: 1
; LDSByteSize: 0 bytes/workgroup (compile time only)
; SGPRBlocks: 4
; VGPRBlocks: 5
; NumSGPRsForWavesPerEU: 40
; NumVGPRsForWavesPerEU: 48
; Occupancy: 16
; WaveLimiterHint : 1
; COMPUTE_PGM_RSRC2:SCRATCH_EN: 0
; COMPUTE_PGM_RSRC2:USER_SGPR: 15
; COMPUTE_PGM_RSRC2:TRAP_HANDLER: 0
; COMPUTE_PGM_RSRC2:TGID_X_EN: 1
; COMPUTE_PGM_RSRC2:TGID_Y_EN: 0
; COMPUTE_PGM_RSRC2:TGID_Z_EN: 0
; COMPUTE_PGM_RSRC2:TIDIG_COMP_CNT: 0
	.section	.text._ZN2at4cuda12_GLOBAL__N_121kernelPointwiseApply2IZNS_6native9templates4cuda28bernoulli_tensor_cuda_kernelIbfEEvRKNS_10TensorBaseES9_NS_15PhiloxCudaStateEEUliRbSB_SB_SB_RKfSD_SD_SD_E_bSC_jLi2ELi2ELi4ELi512ELi2EEEvNS0_6detail10TensorInfoIT0_T2_EENSG_IT1_SI_EESI_T_,"axG",@progbits,_ZN2at4cuda12_GLOBAL__N_121kernelPointwiseApply2IZNS_6native9templates4cuda28bernoulli_tensor_cuda_kernelIbfEEvRKNS_10TensorBaseES9_NS_15PhiloxCudaStateEEUliRbSB_SB_SB_RKfSD_SD_SD_E_bSC_jLi2ELi2ELi4ELi512ELi2EEEvNS0_6detail10TensorInfoIT0_T2_EENSG_IT1_SI_EESI_T_,comdat
	.globl	_ZN2at4cuda12_GLOBAL__N_121kernelPointwiseApply2IZNS_6native9templates4cuda28bernoulli_tensor_cuda_kernelIbfEEvRKNS_10TensorBaseES9_NS_15PhiloxCudaStateEEUliRbSB_SB_SB_RKfSD_SD_SD_E_bSC_jLi2ELi2ELi4ELi512ELi2EEEvNS0_6detail10TensorInfoIT0_T2_EENSG_IT1_SI_EESI_T_ ; -- Begin function _ZN2at4cuda12_GLOBAL__N_121kernelPointwiseApply2IZNS_6native9templates4cuda28bernoulli_tensor_cuda_kernelIbfEEvRKNS_10TensorBaseES9_NS_15PhiloxCudaStateEEUliRbSB_SB_SB_RKfSD_SD_SD_E_bSC_jLi2ELi2ELi4ELi512ELi2EEEvNS0_6detail10TensorInfoIT0_T2_EENSG_IT1_SI_EESI_T_
	.p2align	8
	.type	_ZN2at4cuda12_GLOBAL__N_121kernelPointwiseApply2IZNS_6native9templates4cuda28bernoulli_tensor_cuda_kernelIbfEEvRKNS_10TensorBaseES9_NS_15PhiloxCudaStateEEUliRbSB_SB_SB_RKfSD_SD_SD_E_bSC_jLi2ELi2ELi4ELi512ELi2EEEvNS0_6detail10TensorInfoIT0_T2_EENSG_IT1_SI_EESI_T_,@function
_ZN2at4cuda12_GLOBAL__N_121kernelPointwiseApply2IZNS_6native9templates4cuda28bernoulli_tensor_cuda_kernelIbfEEvRKNS_10TensorBaseES9_NS_15PhiloxCudaStateEEUliRbSB_SB_SB_RKfSD_SD_SD_E_bSC_jLi2ELi2ELi4ELi512ELi2EEEvNS0_6detail10TensorInfoIT0_T2_EENSG_IT1_SI_EESI_T_: ; @_ZN2at4cuda12_GLOBAL__N_121kernelPointwiseApply2IZNS_6native9templates4cuda28bernoulli_tensor_cuda_kernelIbfEEvRKNS_10TensorBaseES9_NS_15PhiloxCudaStateEEUliRbSB_SB_SB_RKfSD_SD_SD_E_bSC_jLi2ELi2ELi4ELi512ELi2EEEvNS0_6detail10TensorInfoIT0_T2_EENSG_IT1_SI_EESI_T_
; %bb.0:
	s_clause 0x1
	s_load_b32 s2, s[0:1], 0x1e4
	s_load_b32 s16, s[0:1], 0x1b0
	s_add_u32 s4, s0, 0x1d8
	s_addc_u32 s5, s1, 0
	s_waitcnt lgkmcnt(0)
	s_and_b32 s22, s2, 0xffff
	s_mov_b32 s2, exec_lo
	v_mad_u64_u32 v[1:2], null, s15, s22, v[0:1]
	s_delay_alu instid0(VALU_DEP_1) | instskip(NEXT) | instid1(VALU_DEP_1)
	v_lshlrev_b32_e32 v0, 2, v1
	v_cmpx_gt_u32_e64 s16, v0
	s_cbranch_execz .LBB114_67
; %bb.1:
	s_clause 0x6
	s_load_b32 s17, s[0:1], 0xc
	s_load_b32 s18, s[0:1], 0xe4
	s_load_b64 s[2:3], s[0:1], 0x6c
	s_load_b64 s[8:9], s[0:1], 0xd8
	;; [unrolled: 1-line block ×3, first 2 shown]
	s_load_b32 s6, s[0:1], 0x1d0
	s_load_b64 s[12:13], s[0:1], 0x0
	s_load_b32 s23, s[4:5], 0x0
	v_sub_nc_u32_e32 v32, s16, v0
                                        ; implicit-def: $sgpr26
                                        ; implicit-def: $sgpr25
                                        ; implicit-def: $sgpr27
                                        ; implicit-def: $sgpr29
                                        ; implicit-def: $sgpr28
                                        ; implicit-def: $sgpr30
	s_waitcnt lgkmcnt(0)
	v_cvt_f32_u32_e32 v2, s17
	v_cvt_f32_u32_e32 v3, s18
	s_delay_alu instid0(VALU_DEP_2) | instskip(NEXT) | instid1(VALU_DEP_1)
	v_rcp_iflag_f32_e32 v2, v2
	v_rcp_iflag_f32_e32 v3, v3
	s_bitcmp1_b32 s6, 0
	s_clause 0x1
	s_load_b64 s[14:15], s[0:1], 0x1c8
	s_load_b128 s[4:7], s[0:1], 0x1b8
	s_cselect_b32 s19, -1, 0
	s_sub_i32 s20, 0, s17
	s_sub_i32 s21, 0, s18
	s_mul_i32 s23, s23, s22
	s_mov_b32 s22, 0
	s_lshl_b32 s24, s23, 2
	s_waitcnt_depctr 0xfff
	v_dual_mul_f32 v2, 0x4f7ffffe, v2 :: v_dual_mul_f32 v3, 0x4f7ffffe, v3
                                        ; implicit-def: $sgpr23
                                        ; implicit-def: $sgpr1
	s_delay_alu instid0(VALU_DEP_1) | instskip(NEXT) | instid1(VALU_DEP_2)
	v_cvt_u32_f32_e32 v5, v2
	v_cvt_u32_f32_e32 v6, v3
	v_mad_u64_u32 v[2:3], null, 0xcd9e8d57, v1, 0
	s_delay_alu instid0(VALU_DEP_3) | instskip(NEXT) | instid1(VALU_DEP_3)
	v_mul_lo_u32 v4, s20, v5
	v_mul_lo_u32 v7, s21, v6
	s_delay_alu instid0(VALU_DEP_3) | instskip(NEXT) | instid1(VALU_DEP_3)
	v_mov_b32_e32 v29, v3
	v_mul_hi_u32 v8, v5, v4
	s_delay_alu instid0(VALU_DEP_3) | instskip(SKIP_1) | instid1(VALU_DEP_3)
	v_mul_hi_u32 v7, v6, v7
	v_mov_b32_e32 v4, 0
	v_add_nc_u32_e32 v30, v5, v8
	s_delay_alu instid0(VALU_DEP_3)
	v_add_nc_u32_e32 v31, v6, v7
	s_branch .LBB114_3
.LBB114_2:                              ;   in Loop: Header=BB114_3 Depth=1
	s_or_b32 exec_lo, exec_lo, s31
	s_delay_alu instid0(SALU_CYCLE_1) | instskip(NEXT) | instid1(SALU_CYCLE_1)
	s_and_b32 s0, exec_lo, s0
	s_or_b32 s22, s0, s22
	s_and_not1_b32 s0, s1, exec_lo
	s_and_b32 s1, s30, exec_lo
	s_and_not1_b32 s25, s25, exec_lo
	s_and_b32 s31, s28, exec_lo
	s_or_b32 s1, s0, s1
	s_or_b32 s25, s25, s31
	s_and_not1_b32 s0, s26, exec_lo
	s_and_b32 s26, s29, exec_lo
	s_and_not1_b32 s23, s23, exec_lo
	s_and_b32 s31, s27, exec_lo
	s_or_b32 s26, s0, s26
	s_or_b32 s23, s23, s31
	s_and_not1_b32 exec_lo, exec_lo, s22
	s_cbranch_execz .LBB114_55
.LBB114_3:                              ; =>This Inner Loop Header: Depth=1
	v_cmp_lt_i32_e32 vcc_lo, 0, v32
	v_mov_b32_e32 v5, 0
	s_and_saveexec_b32 s31, vcc_lo
	s_cbranch_execz .LBB114_5
; %bb.4:                                ;   in Loop: Header=BB114_3 Depth=1
	v_mul_hi_u32 v3, v30, v0
	s_delay_alu instid0(VALU_DEP_1) | instskip(SKIP_2) | instid1(VALU_DEP_3)
	v_not_b32_e32 v8, v3
	v_mad_u64_u32 v[5:6], null, s20, v3, v[0:1]
	v_add_nc_u32_e32 v9, 1, v3
	v_mad_u64_u32 v[6:7], null, s17, v8, v[0:1]
	s_delay_alu instid0(VALU_DEP_3) | instskip(NEXT) | instid1(VALU_DEP_1)
	v_cmp_le_u32_e64 s0, s17, v5
	v_cndmask_b32_e64 v3, v3, v9, s0
	s_delay_alu instid0(VALU_DEP_3) | instskip(NEXT) | instid1(VALU_DEP_2)
	v_cndmask_b32_e64 v5, v5, v6, s0
	v_add_nc_u32_e32 v6, 1, v3
	s_delay_alu instid0(VALU_DEP_2) | instskip(NEXT) | instid1(VALU_DEP_1)
	v_cmp_le_u32_e64 s0, s17, v5
	v_cndmask_b32_e64 v7, v3, v6, s0
	s_delay_alu instid0(VALU_DEP_1) | instskip(NEXT) | instid1(VALU_DEP_1)
	v_mad_u64_u32 v[5:6], null, s20, v7, v[0:1]
	v_mul_lo_u32 v3, v5, s3
	s_delay_alu instid0(VALU_DEP_1)
	v_mad_u64_u32 v[5:6], null, v7, s2, v[3:4]
.LBB114_5:                              ;   in Loop: Header=BB114_3 Depth=1
	s_or_b32 exec_lo, exec_lo, s31
	v_mov_b32_e32 v3, 0
	s_and_saveexec_b32 s0, vcc_lo
	s_cbranch_execz .LBB114_7
; %bb.6:                                ;   in Loop: Header=BB114_3 Depth=1
	v_mul_hi_u32 v3, v31, v0
	s_delay_alu instid0(VALU_DEP_1) | instskip(SKIP_2) | instid1(VALU_DEP_3)
	v_not_b32_e32 v9, v3
	v_mad_u64_u32 v[6:7], null, s21, v3, v[0:1]
	v_add_nc_u32_e32 v10, 1, v3
	v_mad_u64_u32 v[7:8], null, s18, v9, v[0:1]
	s_delay_alu instid0(VALU_DEP_3) | instskip(NEXT) | instid1(VALU_DEP_2)
	v_cmp_le_u32_e32 vcc_lo, s18, v6
	v_dual_cndmask_b32 v3, v3, v10 :: v_dual_cndmask_b32 v6, v6, v7
	s_delay_alu instid0(VALU_DEP_1) | instskip(NEXT) | instid1(VALU_DEP_2)
	v_add_nc_u32_e32 v7, 1, v3
	v_cmp_le_u32_e32 vcc_lo, s18, v6
	s_delay_alu instid0(VALU_DEP_2) | instskip(NEXT) | instid1(VALU_DEP_1)
	v_cndmask_b32_e32 v8, v3, v7, vcc_lo
	v_mad_u64_u32 v[6:7], null, s21, v8, v[0:1]
	s_delay_alu instid0(VALU_DEP_1) | instskip(NEXT) | instid1(VALU_DEP_1)
	v_mul_lo_u32 v3, v6, s11
	v_mad_u64_u32 v[6:7], null, v8, s10, v[3:4]
	s_delay_alu instid0(VALU_DEP_1)
	v_mov_b32_e32 v3, v6
.LBB114_7:                              ;   in Loop: Header=BB114_3 Depth=1
	s_or_b32 exec_lo, exec_lo, s0
	v_mov_b32_e32 v12, 0
	v_dual_mov_b32 v13, 0 :: v_dual_add_nc_u32 v8, 1, v0
	v_cmp_lt_i32_e32 vcc_lo, 1, v32
	s_delay_alu instid0(VALU_DEP_2)
	v_dual_mov_b32 v6, v12 :: v_dual_mov_b32 v7, v13
	s_and_saveexec_b32 s31, vcc_lo
	s_cbranch_execz .LBB114_9
; %bb.8:                                ;   in Loop: Header=BB114_3 Depth=1
	v_mul_hi_u32 v6, v8, v30
	s_delay_alu instid0(VALU_DEP_1) | instskip(SKIP_1) | instid1(VALU_DEP_2)
	v_mul_lo_u32 v7, v6, s17
	v_add_nc_u32_e32 v9, 1, v6
	v_sub_nc_u32_e32 v7, v8, v7
	s_delay_alu instid0(VALU_DEP_1) | instskip(SKIP_1) | instid1(VALU_DEP_1)
	v_subrev_nc_u32_e32 v10, s17, v7
	v_cmp_le_u32_e64 s0, s17, v7
	v_cndmask_b32_e64 v6, v6, v9, s0
	s_delay_alu instid0(VALU_DEP_3) | instskip(NEXT) | instid1(VALU_DEP_2)
	v_cndmask_b32_e64 v7, v7, v10, s0
	v_add_nc_u32_e32 v9, 1, v6
	s_delay_alu instid0(VALU_DEP_2) | instskip(NEXT) | instid1(VALU_DEP_1)
	v_cmp_le_u32_e64 s0, s17, v7
	v_cndmask_b32_e64 v10, v6, v9, s0
	s_delay_alu instid0(VALU_DEP_1) | instskip(NEXT) | instid1(VALU_DEP_1)
	v_mul_lo_u32 v6, v10, s17
	v_sub_nc_u32_e32 v6, v8, v6
	s_delay_alu instid0(VALU_DEP_1) | instskip(NEXT) | instid1(VALU_DEP_1)
	v_mul_lo_u32 v9, v6, s3
	v_mad_u64_u32 v[6:7], null, v10, s2, v[9:10]
	v_mov_b32_e32 v7, v4
.LBB114_9:                              ;   in Loop: Header=BB114_3 Depth=1
	s_or_b32 exec_lo, exec_lo, s31
	s_and_saveexec_b32 s0, vcc_lo
	s_cbranch_execz .LBB114_11
; %bb.10:                               ;   in Loop: Header=BB114_3 Depth=1
	v_mul_hi_u32 v9, v8, v31
	s_delay_alu instid0(VALU_DEP_1) | instskip(NEXT) | instid1(VALU_DEP_1)
	v_mul_lo_u32 v10, v9, s18
	v_sub_nc_u32_e32 v10, v8, v10
	s_delay_alu instid0(VALU_DEP_1) | instskip(SKIP_1) | instid1(VALU_DEP_2)
	v_subrev_nc_u32_e32 v12, s18, v10
	v_cmp_le_u32_e32 vcc_lo, s18, v10
	v_dual_cndmask_b32 v10, v10, v12 :: v_dual_add_nc_u32 v11, 1, v9
	s_delay_alu instid0(VALU_DEP_1) | instskip(NEXT) | instid1(VALU_DEP_2)
	v_cndmask_b32_e32 v9, v9, v11, vcc_lo
	v_cmp_le_u32_e32 vcc_lo, s18, v10
	s_delay_alu instid0(VALU_DEP_2) | instskip(NEXT) | instid1(VALU_DEP_1)
	v_add_nc_u32_e32 v11, 1, v9
	v_cndmask_b32_e32 v9, v9, v11, vcc_lo
	s_delay_alu instid0(VALU_DEP_1) | instskip(NEXT) | instid1(VALU_DEP_1)
	v_mul_lo_u32 v10, v9, s18
	v_sub_nc_u32_e32 v8, v8, v10
	s_delay_alu instid0(VALU_DEP_1) | instskip(NEXT) | instid1(VALU_DEP_1)
	v_mul_lo_u32 v8, v8, s11
	v_mad_u64_u32 v[12:13], null, v9, s10, v[8:9]
	v_mov_b32_e32 v13, v4
.LBB114_11:                             ;   in Loop: Header=BB114_3 Depth=1
	s_or_b32 exec_lo, exec_lo, s0
	v_mov_b32_e32 v14, 0
	v_dual_mov_b32 v15, 0 :: v_dual_add_nc_u32 v10, 2, v0
	v_cmp_lt_i32_e32 vcc_lo, 2, v32
	s_delay_alu instid0(VALU_DEP_2)
	v_dual_mov_b32 v8, v14 :: v_dual_mov_b32 v9, v15
	s_and_saveexec_b32 s31, vcc_lo
	s_cbranch_execz .LBB114_13
; %bb.12:                               ;   in Loop: Header=BB114_3 Depth=1
	v_mul_hi_u32 v8, v10, v30
	s_delay_alu instid0(VALU_DEP_1) | instskip(SKIP_1) | instid1(VALU_DEP_2)
	v_mul_lo_u32 v9, v8, s17
	v_add_nc_u32_e32 v11, 1, v8
	v_sub_nc_u32_e32 v9, v10, v9
	s_delay_alu instid0(VALU_DEP_1) | instskip(SKIP_1) | instid1(VALU_DEP_1)
	v_subrev_nc_u32_e32 v16, s17, v9
	v_cmp_le_u32_e64 s0, s17, v9
	v_cndmask_b32_e64 v8, v8, v11, s0
	s_delay_alu instid0(VALU_DEP_3) | instskip(NEXT) | instid1(VALU_DEP_2)
	v_cndmask_b32_e64 v9, v9, v16, s0
	v_add_nc_u32_e32 v11, 1, v8
	s_delay_alu instid0(VALU_DEP_2) | instskip(NEXT) | instid1(VALU_DEP_1)
	v_cmp_le_u32_e64 s0, s17, v9
	v_cndmask_b32_e64 v16, v8, v11, s0
	s_delay_alu instid0(VALU_DEP_1) | instskip(NEXT) | instid1(VALU_DEP_1)
	v_mul_lo_u32 v8, v16, s17
	v_sub_nc_u32_e32 v8, v10, v8
	s_delay_alu instid0(VALU_DEP_1) | instskip(NEXT) | instid1(VALU_DEP_1)
	v_mul_lo_u32 v11, v8, s3
	v_mad_u64_u32 v[8:9], null, v16, s2, v[11:12]
	v_mov_b32_e32 v9, v4
.LBB114_13:                             ;   in Loop: Header=BB114_3 Depth=1
	s_or_b32 exec_lo, exec_lo, s31
	s_and_saveexec_b32 s0, vcc_lo
	s_cbranch_execz .LBB114_15
; %bb.14:                               ;   in Loop: Header=BB114_3 Depth=1
	v_mul_hi_u32 v11, v10, v31
	s_delay_alu instid0(VALU_DEP_1) | instskip(NEXT) | instid1(VALU_DEP_1)
	v_mul_lo_u32 v14, v11, s18
	v_sub_nc_u32_e32 v14, v10, v14
	s_delay_alu instid0(VALU_DEP_1) | instskip(SKIP_1) | instid1(VALU_DEP_2)
	v_subrev_nc_u32_e32 v16, s18, v14
	v_cmp_le_u32_e32 vcc_lo, s18, v14
	v_dual_cndmask_b32 v14, v14, v16 :: v_dual_add_nc_u32 v15, 1, v11
	s_delay_alu instid0(VALU_DEP_1) | instskip(NEXT) | instid1(VALU_DEP_2)
	v_cndmask_b32_e32 v11, v11, v15, vcc_lo
	v_cmp_le_u32_e32 vcc_lo, s18, v14
	s_delay_alu instid0(VALU_DEP_2) | instskip(NEXT) | instid1(VALU_DEP_1)
	v_add_nc_u32_e32 v15, 1, v11
	v_cndmask_b32_e32 v11, v11, v15, vcc_lo
	s_delay_alu instid0(VALU_DEP_1) | instskip(NEXT) | instid1(VALU_DEP_1)
	v_mul_lo_u32 v14, v11, s18
	v_sub_nc_u32_e32 v10, v10, v14
	s_delay_alu instid0(VALU_DEP_1) | instskip(NEXT) | instid1(VALU_DEP_1)
	v_mul_lo_u32 v10, v10, s11
	v_mad_u64_u32 v[14:15], null, v11, s10, v[10:11]
	v_mov_b32_e32 v15, v4
.LBB114_15:                             ;   in Loop: Header=BB114_3 Depth=1
	s_or_b32 exec_lo, exec_lo, s0
	v_mov_b32_e32 v16, 0
	v_dual_mov_b32 v17, 0 :: v_dual_add_nc_u32 v18, 3, v0
	v_cmp_lt_i32_e32 vcc_lo, 3, v32
	s_delay_alu instid0(VALU_DEP_2)
	v_dual_mov_b32 v10, v16 :: v_dual_mov_b32 v11, v17
	s_and_saveexec_b32 s31, vcc_lo
	s_cbranch_execz .LBB114_17
; %bb.16:                               ;   in Loop: Header=BB114_3 Depth=1
	v_mul_hi_u32 v10, v18, v30
	s_delay_alu instid0(VALU_DEP_1) | instskip(SKIP_1) | instid1(VALU_DEP_2)
	v_mul_lo_u32 v11, v10, s17
	v_add_nc_u32_e32 v19, 1, v10
	v_sub_nc_u32_e32 v11, v18, v11
	s_delay_alu instid0(VALU_DEP_1) | instskip(SKIP_1) | instid1(VALU_DEP_1)
	v_subrev_nc_u32_e32 v20, s17, v11
	v_cmp_le_u32_e64 s0, s17, v11
	v_cndmask_b32_e64 v10, v10, v19, s0
	s_delay_alu instid0(VALU_DEP_3) | instskip(NEXT) | instid1(VALU_DEP_2)
	v_cndmask_b32_e64 v11, v11, v20, s0
	v_add_nc_u32_e32 v19, 1, v10
	s_delay_alu instid0(VALU_DEP_2) | instskip(NEXT) | instid1(VALU_DEP_1)
	v_cmp_le_u32_e64 s0, s17, v11
	v_cndmask_b32_e64 v20, v10, v19, s0
	s_delay_alu instid0(VALU_DEP_1) | instskip(NEXT) | instid1(VALU_DEP_1)
	v_mul_lo_u32 v10, v20, s17
	v_sub_nc_u32_e32 v10, v18, v10
	s_delay_alu instid0(VALU_DEP_1) | instskip(NEXT) | instid1(VALU_DEP_1)
	v_mul_lo_u32 v19, v10, s3
	v_mad_u64_u32 v[10:11], null, v20, s2, v[19:20]
	v_mov_b32_e32 v11, v4
.LBB114_17:                             ;   in Loop: Header=BB114_3 Depth=1
	s_or_b32 exec_lo, exec_lo, s31
	s_and_saveexec_b32 s0, vcc_lo
	s_cbranch_execz .LBB114_19
; %bb.18:                               ;   in Loop: Header=BB114_3 Depth=1
	v_mul_hi_u32 v16, v18, v31
	s_delay_alu instid0(VALU_DEP_1) | instskip(SKIP_1) | instid1(VALU_DEP_2)
	v_mul_lo_u32 v17, v16, s18
	v_add_nc_u32_e32 v19, 1, v16
	v_sub_nc_u32_e32 v17, v18, v17
	s_delay_alu instid0(VALU_DEP_1) | instskip(SKIP_1) | instid1(VALU_DEP_2)
	v_subrev_nc_u32_e32 v20, s18, v17
	v_cmp_le_u32_e32 vcc_lo, s18, v17
	v_dual_cndmask_b32 v16, v16, v19 :: v_dual_cndmask_b32 v17, v17, v20
	s_delay_alu instid0(VALU_DEP_1) | instskip(NEXT) | instid1(VALU_DEP_2)
	v_add_nc_u32_e32 v19, 1, v16
	v_cmp_le_u32_e32 vcc_lo, s18, v17
	s_delay_alu instid0(VALU_DEP_2) | instskip(NEXT) | instid1(VALU_DEP_1)
	v_cndmask_b32_e32 v19, v16, v19, vcc_lo
	v_mul_lo_u32 v16, v19, s18
	s_delay_alu instid0(VALU_DEP_1) | instskip(NEXT) | instid1(VALU_DEP_1)
	v_sub_nc_u32_e32 v16, v18, v16
	v_mul_lo_u32 v18, v16, s11
	s_delay_alu instid0(VALU_DEP_1)
	v_mad_u64_u32 v[16:17], null, v19, s10, v[18:19]
	v_mov_b32_e32 v17, v4
.LBB114_19:                             ;   in Loop: Header=BB114_3 Depth=1
	s_or_b32 exec_lo, exec_lo, s0
	v_lshlrev_b64 v[18:19], 2, v[3:4]
	v_lshlrev_b64 v[12:13], 2, v[12:13]
	v_lshlrev_b64 v[14:15], 2, v[14:15]
	v_lshlrev_b64 v[16:17], 2, v[16:17]
	s_delay_alu instid0(VALU_DEP_4)
	v_add_co_u32 v18, vcc_lo, s8, v18
	v_add_co_ci_u32_e32 v19, vcc_lo, s9, v19, vcc_lo
	v_add_co_u32 v12, vcc_lo, s8, v12
	v_add_co_ci_u32_e32 v13, vcc_lo, s9, v13, vcc_lo
	;; [unrolled: 2-line block ×4, first 2 shown]
	s_clause 0x3
	global_load_b32 v3, v[18:19], off
	global_load_b32 v33, v[12:13], off
	;; [unrolled: 1-line block ×4, first 2 shown]
	s_waitcnt lgkmcnt(0)
	v_dual_mov_b32 v17, s7 :: v_dual_mov_b32 v16, s6
	v_dual_mov_b32 v19, s5 :: v_dual_mov_b32 v18, s4
	s_and_not1_b32 vcc_lo, exec_lo, s19
	s_cbranch_vccnz .LBB114_21
; %bb.20:                               ;   in Loop: Header=BB114_3 Depth=1
	v_dual_mov_b32 v13, s7 :: v_dual_mov_b32 v12, s6
	v_dual_mov_b32 v15, s5 :: v_dual_mov_b32 v14, s4
	flat_load_b64 v[12:13], v[12:13]
	flat_load_b64 v[18:19], v[14:15]
	s_waitcnt vmcnt(1) lgkmcnt(1)
	v_add_co_u32 v16, vcc_lo, v12, s14
	v_add_co_ci_u32_e32 v17, vcc_lo, s15, v13, vcc_lo
.LBB114_21:                             ;   in Loop: Header=BB114_3 Depth=1
	s_delay_alu instid0(VALU_DEP_1)
	v_alignbit_b32 v15, v17, v16, 2
	v_lshrrev_b32_e32 v14, 2, v17
	s_waitcnt vmcnt(0) lgkmcnt(0)
	v_add_nc_u32_e32 v36, 0x9e3779b9, v18
	v_add_nc_u32_e32 v38, 0x76cf5d0a, v19
	;; [unrolled: 1-line block ×3, first 2 shown]
	v_add_co_u32 v17, vcc_lo, v15, 1
	s_delay_alu instid0(VALU_DEP_1) | instskip(SKIP_4) | instid1(VALU_DEP_4)
	v_cndmask_b32_e64 v12, 0, 1, vcc_lo
	v_add_co_ci_u32_e32 v26, vcc_lo, 0, v14, vcc_lo
	v_xor3_b32 v22, v29, v18, v14
	v_add_nc_u32_e32 v40, 0x32370b8f, v19
	v_add_nc_u32_e32 v41, 0xed9eba14, v19
	v_cmp_eq_u32_e32 vcc_lo, 0, v26
	v_add_nc_u32_e32 v42, 0x1715609d, v18
	v_add_nc_u32_e32 v43, 0xa9066899, v19
	s_mov_b32 s0, exec_lo
	v_dual_cndmask_b32 v20, 0, v12 :: v_dual_add_nc_u32 v37, 0xbb67ae85, v19
	v_mad_u64_u32 v[12:13], null, 0xd2511f53, v17, 0
	s_delay_alu instid0(VALU_DEP_2) | instskip(NEXT) | instid1(VALU_DEP_2)
	v_add_nc_u32_e32 v17, v20, v1
	v_xor_b32_e32 v21, v13, v19
	s_delay_alu instid0(VALU_DEP_2) | instskip(SKIP_2) | instid1(VALU_DEP_1)
	v_cmp_eq_u32_e32 vcc_lo, 0, v17
	v_mad_u64_u32 v[13:14], null, 0xd2511f53, v15, 0
	v_cndmask_b32_e32 v20, 0, v20, vcc_lo
	v_xor_b32_e32 v15, v20, v21
	v_mad_u64_u32 v[20:21], null, 0xd2511f53, v22, 0
	v_mad_u64_u32 v[22:23], null, 0xcd9e8d57, v17, 0
	s_delay_alu instid0(VALU_DEP_3) | instskip(SKIP_3) | instid1(VALU_DEP_3)
	v_mad_u64_u32 v[24:25], null, 0xcd9e8d57, v15, 0
	v_xor_b32_e32 v15, v14, v19
	v_add_nc_u32_e32 v17, 0x3c6ef372, v18
	v_xor3_b32 v27, v37, v21, v13
	v_mad_u64_u32 v[13:14], null, 0xcd9e8d57, v15, 0
	v_xor3_b32 v15, v23, v18, v26
	v_xor3_b32 v23, v36, v25, v22
	s_delay_alu instid0(VALU_DEP_4) | instskip(NEXT) | instid1(VALU_DEP_3)
	v_mad_u64_u32 v[21:22], null, 0xcd9e8d57, v27, 0
	v_mad_u64_u32 v[25:26], null, 0xd2511f53, v15, 0
	s_delay_alu instid0(VALU_DEP_3) | instskip(SKIP_1) | instid1(VALU_DEP_4)
	v_mad_u64_u32 v[27:28], null, 0xd2511f53, v23, 0
	v_xor3_b32 v15, v2, v14, v36
	v_xor3_b32 v36, v17, v22, v13
	s_delay_alu instid0(VALU_DEP_4) | instskip(NEXT) | instid1(VALU_DEP_3)
	v_xor3_b32 v12, v37, v26, v12
	v_mad_u64_u32 v[13:14], null, 0xd2511f53, v15, 0
	v_xor3_b32 v15, v38, v28, v25
	s_delay_alu instid0(VALU_DEP_4) | instskip(NEXT) | instid1(VALU_DEP_4)
	v_mad_u64_u32 v[22:23], null, 0xd2511f53, v36, 0
	v_mad_u64_u32 v[25:26], null, 0xcd9e8d57, v12, 0
	s_delay_alu instid0(VALU_DEP_3) | instskip(SKIP_4) | instid1(VALU_DEP_4)
	v_mad_u64_u32 v[36:37], null, 0xcd9e8d57, v15, 0
	v_xor3_b32 v14, v38, v14, v20
	v_add_nc_u32_e32 v28, 0x78dde6e4, v18
	v_xor3_b32 v20, v40, v23, v13
	v_xor3_b32 v17, v17, v26, v24
	v_mad_u64_u32 v[12:13], null, 0xcd9e8d57, v14, 0
	v_xor3_b32 v37, v39, v37, v25
	s_delay_alu instid0(VALU_DEP_4) | instskip(NEXT) | instid1(VALU_DEP_4)
	v_mad_u64_u32 v[14:15], null, 0xcd9e8d57, v20, 0
	v_mad_u64_u32 v[23:24], null, 0xd2511f53, v17, 0
	s_delay_alu instid0(VALU_DEP_3) | instskip(SKIP_1) | instid1(VALU_DEP_4)
	v_mad_u64_u32 v[25:26], null, 0xd2511f53, v37, 0
	v_xor3_b32 v17, v39, v13, v21
	v_xor3_b32 v15, v28, v15, v12
	s_delay_alu instid0(VALU_DEP_2) | instskip(SKIP_2) | instid1(VALU_DEP_4)
	v_mad_u64_u32 v[12:13], null, 0xd2511f53, v17, 0
	v_xor3_b32 v17, v40, v24, v27
	v_xor3_b32 v23, v41, v26, v23
	v_mad_u64_u32 v[26:27], null, 0xd2511f53, v15, 0
	s_delay_alu instid0(VALU_DEP_3) | instskip(NEXT) | instid1(VALU_DEP_3)
	v_mad_u64_u32 v[20:21], null, 0xcd9e8d57, v17, 0
	v_mad_u64_u32 v[37:38], null, 0xcd9e8d57, v23, 0
	v_xor3_b32 v15, v41, v13, v22
	s_delay_alu instid0(VALU_DEP_4) | instskip(SKIP_2) | instid1(VALU_DEP_4)
	v_xor3_b32 v23, v43, v27, v12
	v_add_nc_u32_e32 v17, 0xb54cda56, v18
	v_add_nc_u32_e32 v22, 0x646e171e, v19
	v_mad_u64_u32 v[12:13], null, 0xcd9e8d57, v15, 0
	v_xor3_b32 v15, v28, v21, v36
	v_xor3_b32 v24, v42, v38, v20
	v_mad_u64_u32 v[38:39], null, 0xcd9e8d57, v23, 0
	v_add_nc_u32_e32 v28, 0x5384540f, v18
	s_delay_alu instid0(VALU_DEP_4) | instskip(NEXT) | instid1(VALU_DEP_4)
	v_mad_u64_u32 v[20:21], null, 0xd2511f53, v15, 0
	v_mad_u64_u32 v[40:41], null, 0xd2511f53, v24, 0
	v_xor3_b32 v14, v42, v13, v14
	v_xor3_b32 v15, v17, v39, v12
	v_add_nc_u32_e32 v42, 0x1fd5c5a3, v19
	v_add_co_u32 v36, null, 0xf1bbcdc8, v18
	v_xor3_b32 v23, v43, v21, v25
	v_xor3_b32 v25, v22, v41, v20
	v_mad_u64_u32 v[12:13], null, 0xd2511f53, v14, 0
	v_mad_u64_u32 v[20:21], null, 0xd2511f53, v15, 0
	s_delay_alu instid0(VALU_DEP_4) | instskip(NEXT) | instid1(VALU_DEP_4)
	v_mad_u64_u32 v[14:15], null, 0xcd9e8d57, v23, 0
	v_mad_u64_u32 v[23:24], null, 0xcd9e8d57, v25, 0
	s_delay_alu instid0(VALU_DEP_4) | instskip(NEXT) | instid1(VALU_DEP_4)
	v_xor3_b32 v22, v22, v13, v26
	v_xor3_b32 v25, v42, v21, v12
	s_delay_alu instid0(VALU_DEP_4) | instskip(NEXT) | instid1(VALU_DEP_3)
	v_xor3_b32 v17, v17, v15, v37
	v_mad_u64_u32 v[12:13], null, 0xcd9e8d57, v22, 0
	v_xor3_b32 v24, v28, v24, v14
	s_delay_alu instid0(VALU_DEP_4) | instskip(NEXT) | instid1(VALU_DEP_4)
	v_mad_u64_u32 v[21:22], null, 0xcd9e8d57, v25, 0
	v_mad_u64_u32 v[14:15], null, 0xd2511f53, v17, 0
	s_delay_alu instid0(VALU_DEP_3)
	v_mad_u64_u32 v[26:27], null, 0xd2511f53, v24, 0
	v_add_nc_u32_e32 v37, 0xdb3d7428, v19
	v_xor3_b32 v13, v28, v13, v38
	v_xor3_b32 v17, v36, v22, v12
	v_add_nc_u32_e32 v38, 0x96a522ad, v19
	v_xor3_b32 v15, v42, v15, v40
	v_and_b32_e32 v19, 3, v16
	v_xor3_b32 v22, v37, v27, v14
	v_mad_u64_u32 v[24:25], null, 0xd2511f53, v13, 0
	v_mad_u64_u32 v[12:13], null, 0xd2511f53, v17, 0
	;; [unrolled: 1-line block ×3, first 2 shown]
	s_delay_alu instid0(VALU_DEP_4) | instskip(SKIP_1) | instid1(VALU_DEP_4)
	v_mad_u64_u32 v[14:15], null, 0xcd9e8d57, v22, 0
	v_add_nc_u32_e32 v22, 0x8ff34781, v18
                                        ; implicit-def: $vgpr17
	v_xor3_b32 v18, v13, v24, v38
	s_delay_alu instid0(VALU_DEP_2)
	v_xor3_b32 v13, v15, v27, v22
	v_cmpx_lt_i32_e32 1, v19
	s_xor_b32 s0, exec_lo, s0
	s_cbranch_execz .LBB114_27
; %bb.22:                               ;   in Loop: Header=BB114_3 Depth=1
	s_mov_b32 s31, exec_lo
                                        ; implicit-def: $vgpr17
	v_cmpx_lt_i32_e32 2, v19
	s_xor_b32 s31, exec_lo, s31
; %bb.23:                               ;   in Loop: Header=BB114_3 Depth=1
	v_xor3_b32 v15, v36, v28, v23
                                        ; implicit-def: $vgpr18
	s_delay_alu instid0(VALU_DEP_1) | instskip(NEXT) | instid1(VALU_DEP_1)
	v_mul_hi_u32 v15, 0xd2511f53, v15
	v_xor3_b32 v17, v15, v26, v38
; %bb.24:                               ;   in Loop: Header=BB114_3 Depth=1
	s_and_not1_saveexec_b32 s31, s31
; %bb.25:                               ;   in Loop: Header=BB114_3 Depth=1
	v_dual_mov_b32 v17, v14 :: v_dual_mov_b32 v14, v13
	v_dual_mov_b32 v13, v12 :: v_dual_mov_b32 v12, v18
; %bb.26:                               ;   in Loop: Header=BB114_3 Depth=1
	s_or_b32 exec_lo, exec_lo, s31
                                        ; implicit-def: $vgpr20_vgpr21
                                        ; implicit-def: $vgpr19
                                        ; implicit-def: $vgpr18
                                        ; implicit-def: $vgpr37
                                        ; implicit-def: $vgpr24_vgpr25
                                        ; implicit-def: $vgpr21_vgpr22
                                        ; implicit-def: $vgpr22
.LBB114_27:                             ;   in Loop: Header=BB114_3 Depth=1
	s_and_not1_saveexec_b32 s0, s0
	s_cbranch_execz .LBB114_31
; %bb.28:                               ;   in Loop: Header=BB114_3 Depth=1
	v_xor3_b32 v14, v37, v25, v20
	v_cmp_eq_u32_e32 vcc_lo, 1, v19
	v_mov_b32_e32 v17, v12
	s_delay_alu instid0(VALU_DEP_3) | instskip(SKIP_1) | instid1(VALU_DEP_2)
	v_mad_u64_u32 v[15:16], null, 0xcd9e8d57, v14, 0
	v_mov_b32_e32 v14, v18
	v_xor3_b32 v19, v16, v21, v22
	s_delay_alu instid0(VALU_DEP_3)
	v_mov_b32_e32 v16, v15
	s_and_saveexec_b32 s31, vcc_lo
; %bb.29:                               ;   in Loop: Header=BB114_3 Depth=1
	v_dual_mov_b32 v17, v13 :: v_dual_mov_b32 v14, v12
	v_dual_mov_b32 v16, v18 :: v_dual_mov_b32 v19, v15
; %bb.30:                               ;   in Loop: Header=BB114_3 Depth=1
	s_or_b32 exec_lo, exec_lo, s31
	s_delay_alu instid0(VALU_DEP_1)
	v_dual_mov_b32 v12, v19 :: v_dual_mov_b32 v13, v16
.LBB114_31:                             ;   in Loop: Header=BB114_3 Depth=1
	s_or_b32 exec_lo, exec_lo, s0
	v_min_i32_e32 v15, 4, v32
	s_mov_b32 s31, 0
	s_mov_b32 s38, 0
                                        ; implicit-def: $sgpr33
                                        ; implicit-def: $sgpr34
                                        ; implicit-def: $sgpr35
	s_mov_b32 s0, exec_lo
	s_delay_alu instid0(VALU_DEP_1)
	v_cmpx_lt_i32_e32 2, v15
	s_xor_b32 s36, exec_lo, s0
	s_cbranch_execz .LBB114_41
; %bb.32:                               ;   in Loop: Header=BB114_3 Depth=1
	s_mov_b32 s35, -1
	s_mov_b32 s34, exec_lo
                                        ; implicit-def: $sgpr33
                                        ; implicit-def: $sgpr37
	v_cmpx_lt_i32_e32 3, v15
	s_cbranch_execz .LBB114_36
; %bb.33:                               ;   in Loop: Header=BB114_3 Depth=1
	v_cmp_le_f32_e32 vcc_lo, 0, v35
	v_cmp_ge_f32_e64 s0, 1.0, v35
	s_mov_b32 s33, 0
	s_delay_alu instid0(VALU_DEP_1)
	s_and_b32 s37, vcc_lo, s0
	s_mov_b32 s0, 0
	s_and_saveexec_b32 s35, s37
	s_cbranch_execz .LBB114_35
; %bb.34:                               ;   in Loop: Header=BB114_3 Depth=1
	v_cvt_f32_u32_e32 v16, v17
	v_add_co_u32 v10, vcc_lo, s12, v10
	v_add_co_ci_u32_e32 v11, vcc_lo, s13, v11, vcc_lo
	s_delay_alu instid0(VALU_DEP_3) | instskip(SKIP_1) | instid1(VALU_DEP_1)
	v_fmaak_f32 v16, 0x2f800000, v16, 0x2f800000
	s_mov_b32 s0, exec_lo
	v_cmp_le_f32_e32 vcc_lo, v16, v35
	v_cndmask_b32_e64 v16, 0, 1, vcc_lo
	global_store_b8 v[10:11], v16, off
.LBB114_35:                             ;   in Loop: Header=BB114_3 Depth=1
	s_or_b32 exec_lo, exec_lo, s35
	s_mov_b32 s37, -1
	s_or_not1_b32 s35, s0, exec_lo
.LBB114_36:                             ;   in Loop: Header=BB114_3 Depth=1
	s_or_b32 exec_lo, exec_lo, s34
	s_mov_b32 s0, 0
	s_mov_b32 s38, s33
	s_and_saveexec_b32 s34, s35
	s_cbranch_execz .LBB114_40
; %bb.37:                               ;   in Loop: Header=BB114_3 Depth=1
	v_cmp_le_f32_e32 vcc_lo, 0, v34
	v_cmp_ge_f32_e64 s0, 1.0, v34
	s_delay_alu instid0(VALU_DEP_1) | instskip(SKIP_2) | instid1(SALU_CYCLE_1)
	s_and_b32 s35, vcc_lo, s0
	s_mov_b32 s0, 0
	s_and_saveexec_b32 s38, s35
	s_xor_b32 s35, exec_lo, s38
	s_cbranch_execz .LBB114_39
; %bb.38:                               ;   in Loop: Header=BB114_3 Depth=1
	v_cvt_f32_u32_e32 v10, v14
	v_add_co_u32 v8, vcc_lo, s12, v8
	v_add_co_ci_u32_e32 v9, vcc_lo, s13, v9, vcc_lo
	s_delay_alu instid0(VALU_DEP_3) | instskip(SKIP_1) | instid1(VALU_DEP_1)
	v_fmaak_f32 v10, 0x2f800000, v10, 0x2f800000
	s_mov_b32 s0, exec_lo
	v_cmp_le_f32_e32 vcc_lo, v10, v34
	v_cndmask_b32_e64 v10, 0, 1, vcc_lo
	global_store_b8 v[8:9], v10, off
.LBB114_39:                             ;   in Loop: Header=BB114_3 Depth=1
	s_or_b32 exec_lo, exec_lo, s35
	s_delay_alu instid0(SALU_CYCLE_1)
	s_and_not1_b32 s38, s33, exec_lo
	s_or_b32 s33, s33, exec_lo
	s_and_not1_b32 s37, s37, exec_lo
	s_and_b32 s0, s0, exec_lo
.LBB114_40:                             ;   in Loop: Header=BB114_3 Depth=1
	s_or_b32 exec_lo, exec_lo, s34
	s_delay_alu instid0(SALU_CYCLE_1)
	s_and_b32 s35, s38, exec_lo
	s_and_b32 s34, s33, exec_lo
	;; [unrolled: 1-line block ×4, first 2 shown]
.LBB114_41:                             ;   in Loop: Header=BB114_3 Depth=1
	s_and_not1_saveexec_b32 s0, s36
; %bb.42:                               ;   in Loop: Header=BB114_3 Depth=1
	v_cmp_lt_i32_e32 vcc_lo, 1, v15
	s_and_not1_b32 s36, s38, exec_lo
	s_mov_b32 s31, exec_lo
	s_and_not1_b32 s35, s35, exec_lo
	s_and_not1_b32 s34, s34, exec_lo
	s_and_b32 s37, vcc_lo, exec_lo
	s_and_not1_b32 s33, s33, exec_lo
	s_or_b32 s38, s36, s37
; %bb.43:                               ;   in Loop: Header=BB114_3 Depth=1
	s_or_b32 exec_lo, exec_lo, s0
	s_mov_b32 s36, 0
	s_mov_b32 s0, 0
	;; [unrolled: 1-line block ×3, first 2 shown]
	s_and_saveexec_b32 s39, s38
	s_cbranch_execnz .LBB114_46
; %bb.44:                               ;   in Loop: Header=BB114_3 Depth=1
	s_or_b32 exec_lo, exec_lo, s39
	s_and_saveexec_b32 s38, s31
	s_cbranch_execnz .LBB114_49
.LBB114_45:                             ;   in Loop: Header=BB114_3 Depth=1
	s_or_b32 exec_lo, exec_lo, s38
	s_and_saveexec_b32 s31, s0
	s_cbranch_execnz .LBB114_50
	s_branch .LBB114_53
.LBB114_46:                             ;   in Loop: Header=BB114_3 Depth=1
	v_cmp_le_f32_e32 vcc_lo, 0, v33
	v_cmp_ge_f32_e64 s0, 1.0, v33
	s_delay_alu instid0(VALU_DEP_1) | instskip(SKIP_2) | instid1(SALU_CYCLE_1)
	s_and_b32 s37, vcc_lo, s0
	s_mov_b32 s0, 0
	s_and_saveexec_b32 s38, s37
	s_xor_b32 s37, exec_lo, s38
	s_cbranch_execz .LBB114_48
; %bb.47:                               ;   in Loop: Header=BB114_3 Depth=1
	v_cvt_f32_u32_e32 v8, v13
	v_add_co_u32 v6, vcc_lo, s12, v6
	v_add_co_ci_u32_e32 v7, vcc_lo, s13, v7, vcc_lo
	s_delay_alu instid0(VALU_DEP_3) | instskip(SKIP_1) | instid1(VALU_DEP_1)
	v_fmaak_f32 v8, 0x2f800000, v8, 0x2f800000
	s_mov_b32 s0, exec_lo
	v_cmp_le_f32_e32 vcc_lo, v8, v33
	v_cndmask_b32_e64 v8, 0, 1, vcc_lo
	global_store_b8 v[6:7], v8, off
.LBB114_48:                             ;   in Loop: Header=BB114_3 Depth=1
	s_or_b32 exec_lo, exec_lo, s37
	s_delay_alu instid0(SALU_CYCLE_1)
	s_and_not1_b32 s37, s35, exec_lo
	s_or_b32 s35, s35, exec_lo
	s_and_not1_b32 s34, s34, exec_lo
	s_and_not1_b32 s33, s33, exec_lo
	s_and_b32 s0, s0, exec_lo
	s_and_not1_b32 s31, s31, exec_lo
	s_or_b32 exec_lo, exec_lo, s39
	s_and_saveexec_b32 s38, s31
	s_cbranch_execz .LBB114_45
.LBB114_49:                             ;   in Loop: Header=BB114_3 Depth=1
	v_cmp_eq_u32_e32 vcc_lo, 1, v15
	s_and_not1_b32 s0, s0, exec_lo
	s_mov_b32 s36, exec_lo
	s_and_not1_b32 s37, s37, exec_lo
	s_and_not1_b32 s35, s35, exec_lo
	s_and_b32 s31, vcc_lo, exec_lo
	s_and_not1_b32 s34, s34, exec_lo
	s_and_not1_b32 s33, s33, exec_lo
	s_or_b32 s0, s0, s31
	s_or_b32 exec_lo, exec_lo, s38
	s_and_saveexec_b32 s31, s0
	s_cbranch_execz .LBB114_53
.LBB114_50:                             ;   in Loop: Header=BB114_3 Depth=1
	v_cmp_le_f32_e32 vcc_lo, 0, v3
	v_cmp_ge_f32_e64 s0, 1.0, v3
	s_delay_alu instid0(VALU_DEP_1)
	s_and_b32 s39, vcc_lo, s0
	s_mov_b32 s0, 0
	s_and_saveexec_b32 s38, s39
	s_cbranch_execz .LBB114_52
; %bb.51:                               ;   in Loop: Header=BB114_3 Depth=1
	v_cvt_f32_u32_e32 v6, v12
	s_mov_b32 s0, exec_lo
	s_delay_alu instid0(VALU_DEP_1) | instskip(NEXT) | instid1(VALU_DEP_1)
	v_fmaak_f32 v6, 0x2f800000, v6, 0x2f800000
	v_cmp_le_f32_e32 vcc_lo, v6, v3
	v_cndmask_b32_e64 v3, 0, 1, vcc_lo
	global_store_b8 v5, v3, s[12:13]
.LBB114_52:                             ;   in Loop: Header=BB114_3 Depth=1
	s_or_b32 exec_lo, exec_lo, s38
	s_delay_alu instid0(SALU_CYCLE_1)
	s_and_not1_b32 s36, s36, exec_lo
	s_and_b32 s0, s0, exec_lo
	s_or_b32 s37, s37, exec_lo
	s_and_not1_b32 s35, s35, exec_lo
	s_and_not1_b32 s34, s34, exec_lo
	;; [unrolled: 1-line block ×3, first 2 shown]
	s_or_b32 s36, s36, s0
.LBB114_53:                             ;   in Loop: Header=BB114_3 Depth=1
	s_or_b32 exec_lo, exec_lo, s31
	s_delay_alu instid0(SALU_CYCLE_1)
	s_and_not1_b32 s30, s30, exec_lo
	s_and_b32 s31, s37, exec_lo
	s_and_not1_b32 s28, s28, exec_lo
	s_and_b32 s35, s35, exec_lo
	s_or_b32 s30, s30, s31
	s_and_not1_b32 s29, s29, exec_lo
	s_and_b32 s31, s34, exec_lo
	s_and_not1_b32 s27, s27, exec_lo
	s_and_b32 s33, s33, exec_lo
	s_mov_b32 s0, -1
	s_or_b32 s28, s28, s35
	s_or_b32 s29, s29, s31
	;; [unrolled: 1-line block ×3, first 2 shown]
	s_and_saveexec_b32 s31, s36
	s_cbranch_execz .LBB114_2
; %bb.54:                               ;   in Loop: Header=BB114_3 Depth=1
	v_add_nc_u32_e32 v0, s24, v0
	v_subrev_nc_u32_e32 v32, s24, v32
	s_and_not1_b32 s30, s30, exec_lo
	s_and_not1_b32 s28, s28, exec_lo
	s_and_not1_b32 s29, s29, exec_lo
	v_cmp_le_u32_e32 vcc_lo, s16, v0
	s_and_not1_b32 s27, s27, exec_lo
	s_or_not1_b32 s0, vcc_lo, exec_lo
	s_branch .LBB114_2
.LBB114_55:
	s_or_b32 exec_lo, exec_lo, s22
	s_xor_b32 s4, s25, -1
	s_xor_b32 s5, s26, -1
	;; [unrolled: 1-line block ×3, first 2 shown]
	s_mov_b32 s2, 0
	s_and_saveexec_b32 s3, s0
	s_delay_alu instid0(SALU_CYCLE_1)
	s_xor_b32 s0, exec_lo, s3
	s_cbranch_execz .LBB114_64
; %bb.56:
	s_mov_b32 s3, 0
	s_and_saveexec_b32 s2, s5
	s_delay_alu instid0(SALU_CYCLE_1)
	s_xor_b32 s2, exec_lo, s2
	s_cbranch_execz .LBB114_62
; %bb.57:
	s_and_saveexec_b32 s5, s4
	s_delay_alu instid0(SALU_CYCLE_1)
	s_xor_b32 s4, exec_lo, s5
	s_cbranch_execz .LBB114_60
; %bb.58:
	s_and_saveexec_b32 s5, s1
	s_delay_alu instid0(SALU_CYCLE_1)
	s_xor_b32 s1, exec_lo, s5
	s_cbranch_execnz .LBB114_78
.LBB114_59:
	s_or_b32 exec_lo, exec_lo, s1
	s_delay_alu instid0(SALU_CYCLE_1)
	s_and_b32 s3, s3, exec_lo
.LBB114_60:
	s_and_not1_saveexec_b32 s1, s4
	s_cbranch_execnz .LBB114_74
.LBB114_61:
	s_or_b32 exec_lo, exec_lo, s1
	s_delay_alu instid0(SALU_CYCLE_1)
	s_and_b32 s3, s3, exec_lo
.LBB114_62:
	s_and_not1_saveexec_b32 s1, s2
	s_cbranch_execnz .LBB114_70
.LBB114_63:
	s_or_b32 exec_lo, exec_lo, s1
	s_delay_alu instid0(SALU_CYCLE_1)
	s_and_b32 s2, s3, exec_lo
.LBB114_64:
	s_and_not1_saveexec_b32 s0, s0
	s_cbranch_execnz .LBB114_68
; %bb.65:
	s_or_b32 exec_lo, exec_lo, s0
	s_delay_alu instid0(SALU_CYCLE_1)
	s_and_b32 exec_lo, exec_lo, s2
.LBB114_66:
	; divergent unreachable
.LBB114_67:
	s_nop 0
	s_sendmsg sendmsg(MSG_DEALLOC_VGPRS)
	s_endpgm
.LBB114_68:
	s_cbranch_execnz .LBB114_72
; %bb.69:
	s_or_b32 s2, s2, exec_lo
	s_or_b32 exec_lo, exec_lo, s0
	s_delay_alu instid0(SALU_CYCLE_1)
	s_and_b32 exec_lo, exec_lo, s2
	s_cbranch_execnz .LBB114_66
	s_branch .LBB114_67
.LBB114_70:
	s_cbranch_execnz .LBB114_76
; %bb.71:
	s_or_b32 s3, s3, exec_lo
	s_branch .LBB114_63
.LBB114_72:
	s_trap 2
	s_sendmsg_rtn_b32 s0, sendmsg(MSG_RTN_GET_DOORBELL)
	s_mov_b32 ttmp2, m0
	s_waitcnt lgkmcnt(0)
	s_and_b32 s0, s0, 0x3ff
	s_delay_alu instid0(SALU_CYCLE_1) | instskip(NEXT) | instid1(SALU_CYCLE_1)
	s_bitset1_b32 s0, 10
	s_mov_b32 m0, s0
	s_sendmsg sendmsg(MSG_INTERRUPT)
	s_mov_b32 m0, ttmp2
.LBB114_73:                             ; =>This Inner Loop Header: Depth=1
	s_sethalt 5
	s_branch .LBB114_73
.LBB114_74:
	s_cbranch_execnz .LBB114_80
; %bb.75:
	s_or_b32 s3, s3, exec_lo
	s_branch .LBB114_61
.LBB114_76:
	s_trap 2
	s_sendmsg_rtn_b32 s0, sendmsg(MSG_RTN_GET_DOORBELL)
	s_mov_b32 ttmp2, m0
	s_waitcnt lgkmcnt(0)
	s_and_b32 s0, s0, 0x3ff
	s_delay_alu instid0(SALU_CYCLE_1) | instskip(NEXT) | instid1(SALU_CYCLE_1)
	s_bitset1_b32 s0, 10
	s_mov_b32 m0, s0
	s_sendmsg sendmsg(MSG_INTERRUPT)
	s_mov_b32 m0, ttmp2
.LBB114_77:                             ; =>This Inner Loop Header: Depth=1
	s_sethalt 5
	s_branch .LBB114_77
.LBB114_78:
	s_cbranch_execnz .LBB114_82
; %bb.79:
	s_mov_b32 s3, exec_lo
	s_branch .LBB114_59
.LBB114_80:
	s_trap 2
	s_sendmsg_rtn_b32 s0, sendmsg(MSG_RTN_GET_DOORBELL)
	s_mov_b32 ttmp2, m0
	s_waitcnt lgkmcnt(0)
	s_and_b32 s0, s0, 0x3ff
	s_delay_alu instid0(SALU_CYCLE_1) | instskip(NEXT) | instid1(SALU_CYCLE_1)
	s_bitset1_b32 s0, 10
	s_mov_b32 m0, s0
	s_sendmsg sendmsg(MSG_INTERRUPT)
	s_mov_b32 m0, ttmp2
.LBB114_81:                             ; =>This Inner Loop Header: Depth=1
	s_sethalt 5
	s_branch .LBB114_81
.LBB114_82:
	s_trap 2
	s_sendmsg_rtn_b32 s0, sendmsg(MSG_RTN_GET_DOORBELL)
	s_mov_b32 ttmp2, m0
	s_waitcnt lgkmcnt(0)
	s_and_b32 s0, s0, 0x3ff
	s_delay_alu instid0(SALU_CYCLE_1) | instskip(NEXT) | instid1(SALU_CYCLE_1)
	s_bitset1_b32 s0, 10
	s_mov_b32 m0, s0
	s_sendmsg sendmsg(MSG_INTERRUPT)
	s_mov_b32 m0, ttmp2
.LBB114_83:                             ; =>This Inner Loop Header: Depth=1
	s_sethalt 5
	s_branch .LBB114_83
	.section	.rodata,"a",@progbits
	.p2align	6, 0x0
	.amdhsa_kernel _ZN2at4cuda12_GLOBAL__N_121kernelPointwiseApply2IZNS_6native9templates4cuda28bernoulli_tensor_cuda_kernelIbfEEvRKNS_10TensorBaseES9_NS_15PhiloxCudaStateEEUliRbSB_SB_SB_RKfSD_SD_SD_E_bSC_jLi2ELi2ELi4ELi512ELi2EEEvNS0_6detail10TensorInfoIT0_T2_EENSG_IT1_SI_EESI_T_
		.amdhsa_group_segment_fixed_size 0
		.amdhsa_private_segment_fixed_size 0
		.amdhsa_kernarg_size 728
		.amdhsa_user_sgpr_count 15
		.amdhsa_user_sgpr_dispatch_ptr 0
		.amdhsa_user_sgpr_queue_ptr 0
		.amdhsa_user_sgpr_kernarg_segment_ptr 1
		.amdhsa_user_sgpr_dispatch_id 0
		.amdhsa_user_sgpr_private_segment_size 0
		.amdhsa_wavefront_size32 1
		.amdhsa_uses_dynamic_stack 0
		.amdhsa_enable_private_segment 0
		.amdhsa_system_sgpr_workgroup_id_x 1
		.amdhsa_system_sgpr_workgroup_id_y 0
		.amdhsa_system_sgpr_workgroup_id_z 0
		.amdhsa_system_sgpr_workgroup_info 0
		.amdhsa_system_vgpr_workitem_id 0
		.amdhsa_next_free_vgpr 44
		.amdhsa_next_free_sgpr 40
		.amdhsa_reserve_vcc 1
		.amdhsa_float_round_mode_32 0
		.amdhsa_float_round_mode_16_64 0
		.amdhsa_float_denorm_mode_32 3
		.amdhsa_float_denorm_mode_16_64 3
		.amdhsa_dx10_clamp 1
		.amdhsa_ieee_mode 1
		.amdhsa_fp16_overflow 0
		.amdhsa_workgroup_processor_mode 1
		.amdhsa_memory_ordered 1
		.amdhsa_forward_progress 0
		.amdhsa_shared_vgpr_count 0
		.amdhsa_exception_fp_ieee_invalid_op 0
		.amdhsa_exception_fp_denorm_src 0
		.amdhsa_exception_fp_ieee_div_zero 0
		.amdhsa_exception_fp_ieee_overflow 0
		.amdhsa_exception_fp_ieee_underflow 0
		.amdhsa_exception_fp_ieee_inexact 0
		.amdhsa_exception_int_div_zero 0
	.end_amdhsa_kernel
	.section	.text._ZN2at4cuda12_GLOBAL__N_121kernelPointwiseApply2IZNS_6native9templates4cuda28bernoulli_tensor_cuda_kernelIbfEEvRKNS_10TensorBaseES9_NS_15PhiloxCudaStateEEUliRbSB_SB_SB_RKfSD_SD_SD_E_bSC_jLi2ELi2ELi4ELi512ELi2EEEvNS0_6detail10TensorInfoIT0_T2_EENSG_IT1_SI_EESI_T_,"axG",@progbits,_ZN2at4cuda12_GLOBAL__N_121kernelPointwiseApply2IZNS_6native9templates4cuda28bernoulli_tensor_cuda_kernelIbfEEvRKNS_10TensorBaseES9_NS_15PhiloxCudaStateEEUliRbSB_SB_SB_RKfSD_SD_SD_E_bSC_jLi2ELi2ELi4ELi512ELi2EEEvNS0_6detail10TensorInfoIT0_T2_EENSG_IT1_SI_EESI_T_,comdat
.Lfunc_end114:
	.size	_ZN2at4cuda12_GLOBAL__N_121kernelPointwiseApply2IZNS_6native9templates4cuda28bernoulli_tensor_cuda_kernelIbfEEvRKNS_10TensorBaseES9_NS_15PhiloxCudaStateEEUliRbSB_SB_SB_RKfSD_SD_SD_E_bSC_jLi2ELi2ELi4ELi512ELi2EEEvNS0_6detail10TensorInfoIT0_T2_EENSG_IT1_SI_EESI_T_, .Lfunc_end114-_ZN2at4cuda12_GLOBAL__N_121kernelPointwiseApply2IZNS_6native9templates4cuda28bernoulli_tensor_cuda_kernelIbfEEvRKNS_10TensorBaseES9_NS_15PhiloxCudaStateEEUliRbSB_SB_SB_RKfSD_SD_SD_E_bSC_jLi2ELi2ELi4ELi512ELi2EEEvNS0_6detail10TensorInfoIT0_T2_EENSG_IT1_SI_EESI_T_
                                        ; -- End function
	.section	.AMDGPU.csdata,"",@progbits
; Kernel info:
; codeLenInByte = 4168
; NumSgprs: 42
; NumVgprs: 44
; ScratchSize: 0
; MemoryBound: 0
; FloatMode: 240
; IeeeMode: 1
; LDSByteSize: 0 bytes/workgroup (compile time only)
; SGPRBlocks: 5
; VGPRBlocks: 5
; NumSGPRsForWavesPerEU: 42
; NumVGPRsForWavesPerEU: 44
; Occupancy: 16
; WaveLimiterHint : 1
; COMPUTE_PGM_RSRC2:SCRATCH_EN: 0
; COMPUTE_PGM_RSRC2:USER_SGPR: 15
; COMPUTE_PGM_RSRC2:TRAP_HANDLER: 0
; COMPUTE_PGM_RSRC2:TGID_X_EN: 1
; COMPUTE_PGM_RSRC2:TGID_Y_EN: 0
; COMPUTE_PGM_RSRC2:TGID_Z_EN: 0
; COMPUTE_PGM_RSRC2:TIDIG_COMP_CNT: 0
	.section	.text._ZN2at4cuda12_GLOBAL__N_121kernelPointwiseApply2IZNS_6native9templates4cuda28bernoulli_tensor_cuda_kernelIbfEEvRKNS_10TensorBaseES9_NS_15PhiloxCudaStateEEUliRbSB_SB_SB_RKfSD_SD_SD_E_bSC_jLi2ELin1ELi4ELi512ELi2EEEvNS0_6detail10TensorInfoIT0_T2_EENSG_IT1_SI_EESI_T_,"axG",@progbits,_ZN2at4cuda12_GLOBAL__N_121kernelPointwiseApply2IZNS_6native9templates4cuda28bernoulli_tensor_cuda_kernelIbfEEvRKNS_10TensorBaseES9_NS_15PhiloxCudaStateEEUliRbSB_SB_SB_RKfSD_SD_SD_E_bSC_jLi2ELin1ELi4ELi512ELi2EEEvNS0_6detail10TensorInfoIT0_T2_EENSG_IT1_SI_EESI_T_,comdat
	.globl	_ZN2at4cuda12_GLOBAL__N_121kernelPointwiseApply2IZNS_6native9templates4cuda28bernoulli_tensor_cuda_kernelIbfEEvRKNS_10TensorBaseES9_NS_15PhiloxCudaStateEEUliRbSB_SB_SB_RKfSD_SD_SD_E_bSC_jLi2ELin1ELi4ELi512ELi2EEEvNS0_6detail10TensorInfoIT0_T2_EENSG_IT1_SI_EESI_T_ ; -- Begin function _ZN2at4cuda12_GLOBAL__N_121kernelPointwiseApply2IZNS_6native9templates4cuda28bernoulli_tensor_cuda_kernelIbfEEvRKNS_10TensorBaseES9_NS_15PhiloxCudaStateEEUliRbSB_SB_SB_RKfSD_SD_SD_E_bSC_jLi2ELin1ELi4ELi512ELi2EEEvNS0_6detail10TensorInfoIT0_T2_EENSG_IT1_SI_EESI_T_
	.p2align	8
	.type	_ZN2at4cuda12_GLOBAL__N_121kernelPointwiseApply2IZNS_6native9templates4cuda28bernoulli_tensor_cuda_kernelIbfEEvRKNS_10TensorBaseES9_NS_15PhiloxCudaStateEEUliRbSB_SB_SB_RKfSD_SD_SD_E_bSC_jLi2ELin1ELi4ELi512ELi2EEEvNS0_6detail10TensorInfoIT0_T2_EENSG_IT1_SI_EESI_T_,@function
_ZN2at4cuda12_GLOBAL__N_121kernelPointwiseApply2IZNS_6native9templates4cuda28bernoulli_tensor_cuda_kernelIbfEEvRKNS_10TensorBaseES9_NS_15PhiloxCudaStateEEUliRbSB_SB_SB_RKfSD_SD_SD_E_bSC_jLi2ELin1ELi4ELi512ELi2EEEvNS0_6detail10TensorInfoIT0_T2_EENSG_IT1_SI_EESI_T_: ; @_ZN2at4cuda12_GLOBAL__N_121kernelPointwiseApply2IZNS_6native9templates4cuda28bernoulli_tensor_cuda_kernelIbfEEvRKNS_10TensorBaseES9_NS_15PhiloxCudaStateEEUliRbSB_SB_SB_RKfSD_SD_SD_E_bSC_jLi2ELin1ELi4ELi512ELi2EEEvNS0_6detail10TensorInfoIT0_T2_EENSG_IT1_SI_EESI_T_
; %bb.0:
	s_clause 0x1
	s_load_b32 s2, s[0:1], 0x1e4
	s_load_b32 s18, s[0:1], 0x1b0
	s_add_u32 s4, s0, 0x1d8
	s_addc_u32 s5, s1, 0
	s_waitcnt lgkmcnt(0)
	s_and_b32 s14, s2, 0xffff
	s_mov_b32 s2, exec_lo
	v_mad_u64_u32 v[1:2], null, s15, s14, v[0:1]
	s_delay_alu instid0(VALU_DEP_1) | instskip(NEXT) | instid1(VALU_DEP_1)
	v_lshlrev_b32_e32 v27, 2, v1
	v_cmpx_gt_u32_e64 s18, v27
	s_cbranch_execz .LBB115_81
; %bb.1:
	s_clause 0x4
	s_load_b32 s19, s[0:1], 0xc
	s_load_b32 s16, s[0:1], 0x1a8
	;; [unrolled: 1-line block ×3, first 2 shown]
	s_load_b64 s[2:3], s[0:1], 0x6c
	s_load_b64 s[8:9], s[0:1], 0xd8
	s_add_u32 s17, s0, 0xd8
	s_load_b32 s15, s[4:5], 0x0
	s_load_b32 s20, s[0:1], 0x144
	s_addc_u32 s23, s1, 0
	s_load_b64 s[10:11], s[0:1], 0x0
	v_mad_u64_u32 v[2:3], null, 0xcd9e8d57, v1, 0
                                        ; implicit-def: $sgpr26
                                        ; implicit-def: $sgpr28
                                        ; implicit-def: $sgpr27
                                        ; implicit-def: $sgpr29
                                        ; implicit-def: $sgpr31
                                        ; implicit-def: $sgpr30
                                        ; implicit-def: $sgpr33
	s_delay_alu instid0(VALU_DEP_1)
	v_mov_b32_e32 v28, v3
	s_waitcnt lgkmcnt(0)
	v_cvt_f32_u32_e32 v0, s19
	s_cmp_gt_i32 s16, 1
	s_cselect_b32 s21, -1, 0
	s_bitcmp1_b32 s6, 0
	s_delay_alu instid0(VALU_DEP_1)
	v_rcp_iflag_f32_e32 v0, v0
	s_cselect_b32 s22, -1, 0
	s_sub_i32 s4, 0, s19
	s_mul_i32 s15, s15, s14
	s_add_i32 s25, s16, 1
	s_lshl_b32 s24, s15, 2
	s_waitcnt_depctr 0xfff
	v_mul_f32_e32 v0, 0x4f7ffffe, v0
	s_delay_alu instid0(VALU_DEP_1) | instskip(NEXT) | instid1(VALU_DEP_1)
	v_cvt_u32_f32_e32 v0, v0
	v_mul_lo_u32 v5, s4, v0
	s_clause 0x1
	s_load_b64 s[12:13], s[0:1], 0x1c8
	s_load_b128 s[4:7], s[0:1], 0x1b8
	s_mov_b32 s1, 0
	s_add_i32 s0, s16, -1
	s_delay_alu instid0(SALU_CYCLE_1) | instskip(NEXT) | instid1(SALU_CYCLE_1)
	s_lshl_b64 s[14:15], s[0:1], 2
	s_add_u32 s0, s14, s17
	v_mul_hi_u32 v5, v0, v5
	v_mov_b32_e32 v4, 0
	s_addc_u32 s15, s15, s23
	s_add_u32 s14, s0, 8
	s_addc_u32 s15, s15, 0
                                        ; implicit-def: $sgpr23
	s_delay_alu instid0(VALU_DEP_2)
	v_add_nc_u32_e32 v29, v0, v5
	s_branch .LBB115_3
.LBB115_2:                              ;   in Loop: Header=BB115_3 Depth=1
	s_or_b32 exec_lo, exec_lo, s16
	s_delay_alu instid0(SALU_CYCLE_1) | instskip(NEXT) | instid1(SALU_CYCLE_1)
	s_and_b32 s0, exec_lo, s0
	s_or_b32 s1, s0, s1
	s_and_not1_b32 s0, s23, exec_lo
	s_and_b32 s16, s33, exec_lo
	s_and_not1_b32 s17, s27, exec_lo
	s_and_b32 s27, s30, exec_lo
	s_or_b32 s23, s0, s16
	s_or_b32 s27, s17, s27
	s_and_not1_b32 s0, s28, exec_lo
	s_and_b32 s16, s31, exec_lo
	s_and_not1_b32 s17, s26, exec_lo
	s_and_b32 s26, s29, exec_lo
	s_or_b32 s28, s0, s16
	s_or_b32 s26, s17, s26
	s_and_not1_b32 exec_lo, exec_lo, s1
	s_cbranch_execz .LBB115_69
.LBB115_3:                              ; =>This Loop Header: Depth=1
                                        ;     Child Loop BB115_8 Depth 2
                                        ;     Child Loop BB115_15 Depth 2
	;; [unrolled: 1-line block ×4, first 2 shown]
	v_sub_nc_u32_e32 v30, s18, v27
	v_mov_b32_e32 v5, 0
	s_delay_alu instid0(VALU_DEP_2)
	v_cmp_lt_i32_e32 vcc_lo, 0, v30
	s_and_saveexec_b32 s16, vcc_lo
	s_cbranch_execz .LBB115_5
; %bb.4:                                ;   in Loop: Header=BB115_3 Depth=1
	v_mul_hi_u32 v0, v27, v29
	s_delay_alu instid0(VALU_DEP_1) | instskip(SKIP_1) | instid1(VALU_DEP_2)
	v_mul_lo_u32 v3, v0, s19
	v_add_nc_u32_e32 v5, 1, v0
	v_sub_nc_u32_e32 v3, v27, v3
	s_delay_alu instid0(VALU_DEP_1) | instskip(SKIP_1) | instid1(VALU_DEP_1)
	v_subrev_nc_u32_e32 v6, s19, v3
	v_cmp_le_u32_e64 s0, s19, v3
	v_cndmask_b32_e64 v0, v0, v5, s0
	s_delay_alu instid0(VALU_DEP_3) | instskip(NEXT) | instid1(VALU_DEP_2)
	v_cndmask_b32_e64 v3, v3, v6, s0
	v_add_nc_u32_e32 v5, 1, v0
	s_delay_alu instid0(VALU_DEP_2) | instskip(NEXT) | instid1(VALU_DEP_1)
	v_cmp_le_u32_e64 s0, s19, v3
	v_cndmask_b32_e64 v3, v0, v5, s0
	s_delay_alu instid0(VALU_DEP_1) | instskip(NEXT) | instid1(VALU_DEP_1)
	v_mul_lo_u32 v0, v3, s19
	v_sub_nc_u32_e32 v0, v27, v0
	s_delay_alu instid0(VALU_DEP_1) | instskip(NEXT) | instid1(VALU_DEP_1)
	v_mul_lo_u32 v0, v0, s3
	v_mad_u64_u32 v[5:6], null, v3, s2, v[0:1]
.LBB115_5:                              ;   in Loop: Header=BB115_3 Depth=1
	s_or_b32 exec_lo, exec_lo, s16
	v_mov_b32_e32 v3, 0
	s_and_saveexec_b32 s0, vcc_lo
	s_cbranch_execz .LBB115_10
; %bb.6:                                ;   in Loop: Header=BB115_3 Depth=1
	v_dual_mov_b32 v0, 0 :: v_dual_mov_b32 v3, v27
	s_and_not1_b32 vcc_lo, exec_lo, s21
	s_cbranch_vccnz .LBB115_9
; %bb.7:                                ;   in Loop: Header=BB115_3 Depth=1
	v_dual_mov_b32 v0, 0 :: v_dual_mov_b32 v3, v27
	s_mov_b64 s[16:17], s[14:15]
	s_mov_b32 s34, s25
	s_set_inst_prefetch_distance 0x1
	.p2align	6
.LBB115_8:                              ;   Parent Loop BB115_3 Depth=1
                                        ; =>  This Inner Loop Header: Depth=2
	s_clause 0x1
	s_load_b32 s35, s[16:17], 0x0
	s_load_b32 s36, s[16:17], 0x64
	s_add_i32 s34, s34, -1
	s_waitcnt lgkmcnt(0)
	v_cvt_f32_u32_e32 v6, s35
	s_sub_i32 s37, 0, s35
	s_add_u32 s16, s16, -4
	s_addc_u32 s17, s17, -1
	s_cmp_gt_u32 s34, 2
	v_rcp_iflag_f32_e32 v6, v6
	s_waitcnt_depctr 0xfff
	v_mul_f32_e32 v6, 0x4f7ffffe, v6
	s_delay_alu instid0(VALU_DEP_1) | instskip(NEXT) | instid1(VALU_DEP_1)
	v_cvt_u32_f32_e32 v6, v6
	v_mul_lo_u32 v7, s37, v6
	s_delay_alu instid0(VALU_DEP_1) | instskip(NEXT) | instid1(VALU_DEP_1)
	v_mul_hi_u32 v7, v6, v7
	v_dual_mov_b32 v8, v3 :: v_dual_add_nc_u32 v3, v6, v7
	s_delay_alu instid0(VALU_DEP_1) | instskip(NEXT) | instid1(VALU_DEP_1)
	v_mul_hi_u32 v3, v8, v3
	v_mul_lo_u32 v6, v3, s35
	v_add_nc_u32_e32 v7, 1, v3
	s_delay_alu instid0(VALU_DEP_2) | instskip(NEXT) | instid1(VALU_DEP_1)
	v_sub_nc_u32_e32 v6, v8, v6
	v_subrev_nc_u32_e32 v9, s35, v6
	v_cmp_le_u32_e32 vcc_lo, s35, v6
	s_delay_alu instid0(VALU_DEP_2) | instskip(NEXT) | instid1(VALU_DEP_1)
	v_dual_cndmask_b32 v3, v3, v7 :: v_dual_cndmask_b32 v6, v6, v9
	v_add_nc_u32_e32 v7, 1, v3
	s_delay_alu instid0(VALU_DEP_2) | instskip(NEXT) | instid1(VALU_DEP_2)
	v_cmp_le_u32_e32 vcc_lo, s35, v6
	v_cndmask_b32_e32 v3, v3, v7, vcc_lo
	s_delay_alu instid0(VALU_DEP_1) | instskip(NEXT) | instid1(VALU_DEP_1)
	v_mul_lo_u32 v6, v3, s35
	v_sub_nc_u32_e32 v8, v8, v6
	s_delay_alu instid0(VALU_DEP_1) | instskip(NEXT) | instid1(VALU_DEP_1)
	v_mad_u64_u32 v[6:7], null, s36, v8, v[0:1]
	v_mov_b32_e32 v0, v6
	s_cbranch_scc1 .LBB115_8
.LBB115_9:                              ;   in Loop: Header=BB115_3 Depth=1
	s_set_inst_prefetch_distance 0x2
	s_delay_alu instid0(VALU_DEP_1) | instskip(NEXT) | instid1(VALU_DEP_1)
	v_mad_u64_u32 v[6:7], null, s20, v3, v[0:1]
	v_mov_b32_e32 v3, v6
.LBB115_10:                             ;   in Loop: Header=BB115_3 Depth=1
	s_or_b32 exec_lo, exec_lo, s0
	v_or_b32_e32 v8, 1, v27
	v_cmp_lt_i32_e32 vcc_lo, 1, v30
	v_mov_b32_e32 v10, 0
	v_mov_b32_e32 v6, 0
	s_and_saveexec_b32 s16, vcc_lo
	s_cbranch_execz .LBB115_12
; %bb.11:                               ;   in Loop: Header=BB115_3 Depth=1
	v_mul_hi_u32 v0, v8, v29
	s_delay_alu instid0(VALU_DEP_1) | instskip(SKIP_1) | instid1(VALU_DEP_2)
	v_mul_lo_u32 v6, v0, s19
	v_add_nc_u32_e32 v7, 1, v0
	v_sub_nc_u32_e32 v6, v8, v6
	s_delay_alu instid0(VALU_DEP_1) | instskip(SKIP_1) | instid1(VALU_DEP_1)
	v_subrev_nc_u32_e32 v9, s19, v6
	v_cmp_le_u32_e64 s0, s19, v6
	v_cndmask_b32_e64 v0, v0, v7, s0
	s_delay_alu instid0(VALU_DEP_3) | instskip(NEXT) | instid1(VALU_DEP_2)
	v_cndmask_b32_e64 v6, v6, v9, s0
	v_add_nc_u32_e32 v7, 1, v0
	s_delay_alu instid0(VALU_DEP_2) | instskip(NEXT) | instid1(VALU_DEP_1)
	v_cmp_le_u32_e64 s0, s19, v6
	v_cndmask_b32_e64 v9, v0, v7, s0
	s_delay_alu instid0(VALU_DEP_1) | instskip(NEXT) | instid1(VALU_DEP_1)
	v_mul_lo_u32 v0, v9, s19
	v_sub_nc_u32_e32 v0, v8, v0
	s_delay_alu instid0(VALU_DEP_1) | instskip(NEXT) | instid1(VALU_DEP_1)
	v_mul_lo_u32 v0, v0, s3
	v_mad_u64_u32 v[6:7], null, v9, s2, v[0:1]
.LBB115_12:                             ;   in Loop: Header=BB115_3 Depth=1
	s_or_b32 exec_lo, exec_lo, s16
	s_and_saveexec_b32 s0, vcc_lo
	s_cbranch_execz .LBB115_17
; %bb.13:                               ;   in Loop: Header=BB115_3 Depth=1
	v_mov_b32_e32 v0, 0
	s_and_not1_b32 vcc_lo, exec_lo, s21
	s_cbranch_vccnz .LBB115_16
; %bb.14:                               ;   in Loop: Header=BB115_3 Depth=1
	v_mov_b32_e32 v0, 0
	s_mov_b64 s[16:17], s[14:15]
	s_mov_b32 s34, s25
	s_set_inst_prefetch_distance 0x1
	.p2align	6
.LBB115_15:                             ;   Parent Loop BB115_3 Depth=1
                                        ; =>  This Inner Loop Header: Depth=2
	s_clause 0x1
	s_load_b32 s35, s[16:17], 0x0
	s_load_b32 s36, s[16:17], 0x64
	s_add_i32 s34, s34, -1
	v_mov_b32_e32 v10, v8
	s_waitcnt lgkmcnt(0)
	v_cvt_f32_u32_e32 v7, s35
	s_sub_i32 s37, 0, s35
	s_add_u32 s16, s16, -4
	s_addc_u32 s17, s17, -1
	s_cmp_gt_u32 s34, 2
	v_rcp_iflag_f32_e32 v7, v7
	s_waitcnt_depctr 0xfff
	v_mul_f32_e32 v7, 0x4f7ffffe, v7
	s_delay_alu instid0(VALU_DEP_1) | instskip(NEXT) | instid1(VALU_DEP_1)
	v_cvt_u32_f32_e32 v7, v7
	v_mul_lo_u32 v9, s37, v7
	s_delay_alu instid0(VALU_DEP_1) | instskip(NEXT) | instid1(VALU_DEP_1)
	v_mul_hi_u32 v9, v7, v9
	v_add_nc_u32_e32 v7, v7, v9
	s_delay_alu instid0(VALU_DEP_1) | instskip(NEXT) | instid1(VALU_DEP_1)
	v_mul_hi_u32 v7, v10, v7
	v_mul_lo_u32 v8, v7, s35
	v_add_nc_u32_e32 v9, 1, v7
	s_delay_alu instid0(VALU_DEP_2) | instskip(NEXT) | instid1(VALU_DEP_1)
	v_sub_nc_u32_e32 v8, v10, v8
	v_subrev_nc_u32_e32 v11, s35, v8
	v_cmp_le_u32_e32 vcc_lo, s35, v8
	s_delay_alu instid0(VALU_DEP_2) | instskip(NEXT) | instid1(VALU_DEP_1)
	v_dual_cndmask_b32 v8, v8, v11 :: v_dual_cndmask_b32 v7, v7, v9
	v_cmp_le_u32_e32 vcc_lo, s35, v8
	s_delay_alu instid0(VALU_DEP_2) | instskip(NEXT) | instid1(VALU_DEP_1)
	v_add_nc_u32_e32 v9, 1, v7
	v_cndmask_b32_e32 v8, v7, v9, vcc_lo
	s_delay_alu instid0(VALU_DEP_1) | instskip(NEXT) | instid1(VALU_DEP_1)
	v_mul_lo_u32 v7, v8, s35
	v_sub_nc_u32_e32 v7, v10, v7
	s_delay_alu instid0(VALU_DEP_1) | instskip(NEXT) | instid1(VALU_DEP_1)
	v_mad_u64_u32 v[9:10], null, s36, v7, v[0:1]
	v_mov_b32_e32 v0, v9
	s_cbranch_scc1 .LBB115_15
.LBB115_16:                             ;   in Loop: Header=BB115_3 Depth=1
	s_set_inst_prefetch_distance 0x2
	s_delay_alu instid0(VALU_DEP_1)
	v_mad_u64_u32 v[10:11], null, s20, v8, v[0:1]
.LBB115_17:                             ;   in Loop: Header=BB115_3 Depth=1
	s_or_b32 exec_lo, exec_lo, s0
	v_or_b32_e32 v9, 2, v27
	v_cmp_lt_i32_e32 vcc_lo, 2, v30
	v_mov_b32_e32 v7, 0
	s_and_saveexec_b32 s16, vcc_lo
	s_cbranch_execz .LBB115_19
; %bb.18:                               ;   in Loop: Header=BB115_3 Depth=1
	v_mul_hi_u32 v0, v9, v29
	s_delay_alu instid0(VALU_DEP_1) | instskip(SKIP_1) | instid1(VALU_DEP_2)
	v_mul_lo_u32 v7, v0, s19
	v_add_nc_u32_e32 v8, 1, v0
	v_sub_nc_u32_e32 v7, v9, v7
	s_delay_alu instid0(VALU_DEP_1) | instskip(SKIP_1) | instid1(VALU_DEP_1)
	v_subrev_nc_u32_e32 v11, s19, v7
	v_cmp_le_u32_e64 s0, s19, v7
	v_cndmask_b32_e64 v0, v0, v8, s0
	s_delay_alu instid0(VALU_DEP_3) | instskip(NEXT) | instid1(VALU_DEP_2)
	v_cndmask_b32_e64 v7, v7, v11, s0
	v_add_nc_u32_e32 v8, 1, v0
	s_delay_alu instid0(VALU_DEP_2) | instskip(NEXT) | instid1(VALU_DEP_1)
	v_cmp_le_u32_e64 s0, s19, v7
	v_cndmask_b32_e64 v11, v0, v8, s0
	s_delay_alu instid0(VALU_DEP_1) | instskip(NEXT) | instid1(VALU_DEP_1)
	v_mul_lo_u32 v0, v11, s19
	v_sub_nc_u32_e32 v0, v9, v0
	s_delay_alu instid0(VALU_DEP_1) | instskip(NEXT) | instid1(VALU_DEP_1)
	v_mul_lo_u32 v0, v0, s3
	v_mad_u64_u32 v[7:8], null, v11, s2, v[0:1]
.LBB115_19:                             ;   in Loop: Header=BB115_3 Depth=1
	s_or_b32 exec_lo, exec_lo, s16
	v_mov_b32_e32 v12, 0
	v_mov_b32_e32 v13, 0
	s_and_saveexec_b32 s0, vcc_lo
	s_cbranch_execz .LBB115_24
; %bb.20:                               ;   in Loop: Header=BB115_3 Depth=1
	v_mov_b32_e32 v0, 0
	s_and_not1_b32 vcc_lo, exec_lo, s21
	s_cbranch_vccnz .LBB115_23
; %bb.21:                               ;   in Loop: Header=BB115_3 Depth=1
	v_mov_b32_e32 v0, 0
	s_mov_b64 s[16:17], s[14:15]
	s_mov_b32 s34, s25
	s_set_inst_prefetch_distance 0x1
	.p2align	6
.LBB115_22:                             ;   Parent Loop BB115_3 Depth=1
                                        ; =>  This Inner Loop Header: Depth=2
	s_clause 0x1
	s_load_b32 s35, s[16:17], 0x0
	s_load_b32 s36, s[16:17], 0x64
	v_mov_b32_e32 v12, v9
	s_add_i32 s34, s34, -1
	s_waitcnt lgkmcnt(0)
	v_cvt_f32_u32_e32 v8, s35
	s_sub_i32 s37, 0, s35
	s_add_u32 s16, s16, -4
	s_addc_u32 s17, s17, -1
	s_cmp_gt_u32 s34, 2
	v_rcp_iflag_f32_e32 v8, v8
	s_waitcnt_depctr 0xfff
	v_mul_f32_e32 v8, 0x4f7ffffe, v8
	s_delay_alu instid0(VALU_DEP_1) | instskip(NEXT) | instid1(VALU_DEP_1)
	v_cvt_u32_f32_e32 v8, v8
	v_mul_lo_u32 v11, s37, v8
	s_delay_alu instid0(VALU_DEP_1) | instskip(NEXT) | instid1(VALU_DEP_1)
	v_mul_hi_u32 v11, v8, v11
	v_add_nc_u32_e32 v8, v8, v11
	s_delay_alu instid0(VALU_DEP_1) | instskip(NEXT) | instid1(VALU_DEP_1)
	v_mul_hi_u32 v8, v12, v8
	v_mul_lo_u32 v9, v8, s35
	v_add_nc_u32_e32 v11, 1, v8
	s_delay_alu instid0(VALU_DEP_2) | instskip(NEXT) | instid1(VALU_DEP_1)
	v_sub_nc_u32_e32 v9, v12, v9
	v_subrev_nc_u32_e32 v13, s35, v9
	v_cmp_le_u32_e32 vcc_lo, s35, v9
	s_delay_alu instid0(VALU_DEP_2) | instskip(NEXT) | instid1(VALU_DEP_1)
	v_dual_cndmask_b32 v9, v9, v13 :: v_dual_cndmask_b32 v8, v8, v11
	v_cmp_le_u32_e32 vcc_lo, s35, v9
	s_delay_alu instid0(VALU_DEP_2) | instskip(NEXT) | instid1(VALU_DEP_1)
	v_add_nc_u32_e32 v11, 1, v8
	v_cndmask_b32_e32 v9, v8, v11, vcc_lo
	s_delay_alu instid0(VALU_DEP_1) | instskip(NEXT) | instid1(VALU_DEP_1)
	v_mul_lo_u32 v8, v9, s35
	v_sub_nc_u32_e32 v8, v12, v8
	s_delay_alu instid0(VALU_DEP_1) | instskip(NEXT) | instid1(VALU_DEP_1)
	v_mad_u64_u32 v[11:12], null, s36, v8, v[0:1]
	v_mov_b32_e32 v0, v11
	s_cbranch_scc1 .LBB115_22
.LBB115_23:                             ;   in Loop: Header=BB115_3 Depth=1
	s_set_inst_prefetch_distance 0x2
	s_delay_alu instid0(VALU_DEP_1)
	v_mad_u64_u32 v[12:13], null, s20, v9, v[0:1]
	v_mov_b32_e32 v13, v4
.LBB115_24:                             ;   in Loop: Header=BB115_3 Depth=1
	s_or_b32 exec_lo, exec_lo, s0
	v_mov_b32_e32 v14, 0
	v_mov_b32_e32 v15, 0
	v_or_b32_e32 v11, 3, v27
	v_cmp_lt_i32_e32 vcc_lo, 3, v30
	s_delay_alu instid0(VALU_DEP_3)
	v_dual_mov_b32 v8, v14 :: v_dual_mov_b32 v9, v15
	s_and_saveexec_b32 s16, vcc_lo
	s_cbranch_execz .LBB115_26
; %bb.25:                               ;   in Loop: Header=BB115_3 Depth=1
	v_mul_hi_u32 v0, v11, v29
	s_delay_alu instid0(VALU_DEP_1) | instskip(SKIP_1) | instid1(VALU_DEP_2)
	v_mul_lo_u32 v8, v0, s19
	v_add_nc_u32_e32 v9, 1, v0
	v_sub_nc_u32_e32 v8, v11, v8
	s_delay_alu instid0(VALU_DEP_1) | instskip(SKIP_1) | instid1(VALU_DEP_1)
	v_subrev_nc_u32_e32 v16, s19, v8
	v_cmp_le_u32_e64 s0, s19, v8
	v_cndmask_b32_e64 v0, v0, v9, s0
	s_delay_alu instid0(VALU_DEP_3) | instskip(NEXT) | instid1(VALU_DEP_2)
	v_cndmask_b32_e64 v8, v8, v16, s0
	v_add_nc_u32_e32 v9, 1, v0
	s_delay_alu instid0(VALU_DEP_2) | instskip(NEXT) | instid1(VALU_DEP_1)
	v_cmp_le_u32_e64 s0, s19, v8
	v_cndmask_b32_e64 v16, v0, v9, s0
	s_delay_alu instid0(VALU_DEP_1) | instskip(NEXT) | instid1(VALU_DEP_1)
	v_mul_lo_u32 v0, v16, s19
	v_sub_nc_u32_e32 v0, v11, v0
	s_delay_alu instid0(VALU_DEP_1) | instskip(NEXT) | instid1(VALU_DEP_1)
	v_mul_lo_u32 v0, v0, s3
	v_mad_u64_u32 v[8:9], null, v16, s2, v[0:1]
	v_mov_b32_e32 v9, v4
.LBB115_26:                             ;   in Loop: Header=BB115_3 Depth=1
	s_or_b32 exec_lo, exec_lo, s16
	s_and_saveexec_b32 s0, vcc_lo
	s_cbranch_execz .LBB115_31
; %bb.27:                               ;   in Loop: Header=BB115_3 Depth=1
	v_mov_b32_e32 v0, 0
	s_and_not1_b32 vcc_lo, exec_lo, s21
	s_cbranch_vccnz .LBB115_30
; %bb.28:                               ;   in Loop: Header=BB115_3 Depth=1
	v_mov_b32_e32 v0, 0
	s_mov_b64 s[16:17], s[14:15]
	s_mov_b32 s34, s25
	s_set_inst_prefetch_distance 0x1
	.p2align	6
.LBB115_29:                             ;   Parent Loop BB115_3 Depth=1
                                        ; =>  This Inner Loop Header: Depth=2
	s_clause 0x1
	s_load_b32 s35, s[16:17], 0x0
	s_load_b32 s36, s[16:17], 0x64
	s_add_i32 s34, s34, -1
	s_waitcnt lgkmcnt(0)
	v_cvt_f32_u32_e32 v14, s35
	s_sub_i32 s37, 0, s35
	s_add_u32 s16, s16, -4
	s_addc_u32 s17, s17, -1
	s_cmp_gt_u32 s34, 2
	v_rcp_iflag_f32_e32 v14, v14
	s_waitcnt_depctr 0xfff
	v_mul_f32_e32 v14, 0x4f7ffffe, v14
	s_delay_alu instid0(VALU_DEP_1) | instskip(NEXT) | instid1(VALU_DEP_1)
	v_cvt_u32_f32_e32 v14, v14
	v_mul_lo_u32 v15, s37, v14
	s_delay_alu instid0(VALU_DEP_1) | instskip(NEXT) | instid1(VALU_DEP_1)
	v_mul_hi_u32 v15, v14, v15
	v_dual_mov_b32 v16, v11 :: v_dual_add_nc_u32 v11, v14, v15
	s_delay_alu instid0(VALU_DEP_1) | instskip(NEXT) | instid1(VALU_DEP_1)
	v_mul_hi_u32 v11, v16, v11
	v_mul_lo_u32 v14, v11, s35
	v_add_nc_u32_e32 v15, 1, v11
	s_delay_alu instid0(VALU_DEP_2) | instskip(NEXT) | instid1(VALU_DEP_1)
	v_sub_nc_u32_e32 v14, v16, v14
	v_subrev_nc_u32_e32 v17, s35, v14
	v_cmp_le_u32_e32 vcc_lo, s35, v14
	s_delay_alu instid0(VALU_DEP_2) | instskip(NEXT) | instid1(VALU_DEP_1)
	v_dual_cndmask_b32 v11, v11, v15 :: v_dual_cndmask_b32 v14, v14, v17
	v_add_nc_u32_e32 v15, 1, v11
	s_delay_alu instid0(VALU_DEP_2) | instskip(NEXT) | instid1(VALU_DEP_2)
	v_cmp_le_u32_e32 vcc_lo, s35, v14
	v_cndmask_b32_e32 v11, v11, v15, vcc_lo
	s_delay_alu instid0(VALU_DEP_1) | instskip(NEXT) | instid1(VALU_DEP_1)
	v_mul_lo_u32 v14, v11, s35
	v_sub_nc_u32_e32 v16, v16, v14
	s_delay_alu instid0(VALU_DEP_1) | instskip(NEXT) | instid1(VALU_DEP_1)
	v_mad_u64_u32 v[14:15], null, s36, v16, v[0:1]
	v_mov_b32_e32 v0, v14
	s_cbranch_scc1 .LBB115_29
.LBB115_30:                             ;   in Loop: Header=BB115_3 Depth=1
	s_set_inst_prefetch_distance 0x2
	s_delay_alu instid0(VALU_DEP_1)
	v_mad_u64_u32 v[14:15], null, s20, v11, v[0:1]
	v_mov_b32_e32 v15, v4
.LBB115_31:                             ;   in Loop: Header=BB115_3 Depth=1
	s_or_b32 exec_lo, exec_lo, s0
	v_mov_b32_e32 v11, v4
	v_lshlrev_b64 v[16:17], 2, v[3:4]
	v_lshlrev_b64 v[12:13], 2, v[12:13]
	;; [unrolled: 1-line block ×3, first 2 shown]
	s_delay_alu instid0(VALU_DEP_4) | instskip(NEXT) | instid1(VALU_DEP_4)
	v_lshlrev_b64 v[10:11], 2, v[10:11]
	v_add_co_u32 v16, vcc_lo, s8, v16
	v_add_co_ci_u32_e32 v17, vcc_lo, s9, v17, vcc_lo
	s_delay_alu instid0(VALU_DEP_3) | instskip(NEXT) | instid1(VALU_DEP_4)
	v_add_co_u32 v10, vcc_lo, s8, v10
	v_add_co_ci_u32_e32 v11, vcc_lo, s9, v11, vcc_lo
	v_add_co_u32 v12, vcc_lo, s8, v12
	v_add_co_ci_u32_e32 v13, vcc_lo, s9, v13, vcc_lo
	;; [unrolled: 2-line block ×3, first 2 shown]
	s_clause 0x3
	global_load_b32 v0, v[16:17], off
	global_load_b32 v3, v[10:11], off
	;; [unrolled: 1-line block ×4, first 2 shown]
	s_waitcnt lgkmcnt(0)
	v_mov_b32_e32 v15, s7
	v_dual_mov_b32 v17, s5 :: v_dual_mov_b32 v16, s4
	v_mov_b32_e32 v14, s6
	s_and_not1_b32 vcc_lo, exec_lo, s22
	s_cbranch_vccnz .LBB115_33
; %bb.32:                               ;   in Loop: Header=BB115_3 Depth=1
	v_dual_mov_b32 v11, s7 :: v_dual_mov_b32 v10, s6
	v_dual_mov_b32 v13, s5 :: v_dual_mov_b32 v12, s4
	flat_load_b64 v[10:11], v[10:11]
	flat_load_b64 v[16:17], v[12:13]
	s_waitcnt vmcnt(1) lgkmcnt(1)
	v_add_co_u32 v14, vcc_lo, v10, s12
	v_add_co_ci_u32_e32 v15, vcc_lo, s13, v11, vcc_lo
.LBB115_33:                             ;   in Loop: Header=BB115_3 Depth=1
	s_delay_alu instid0(VALU_DEP_1)
	v_alignbit_b32 v13, v15, v14, 2
	v_lshrrev_b32_e32 v12, 2, v15
	s_waitcnt vmcnt(0) lgkmcnt(0)
	v_add_nc_u32_e32 v34, 0xbb67ae85, v17
	v_add_nc_u32_e32 v35, 0x76cf5d0a, v17
	v_add_nc_u32_e32 v36, 0xdaa66d2b, v16
	v_add_co_u32 v15, vcc_lo, v13, 1
	s_delay_alu instid0(VALU_DEP_1) | instskip(SKIP_4) | instid1(VALU_DEP_4)
	v_cndmask_b32_e64 v10, 0, 1, vcc_lo
	v_add_co_ci_u32_e32 v24, vcc_lo, 0, v12, vcc_lo
	v_xor3_b32 v20, v28, v16, v12
	v_add_nc_u32_e32 v37, 0x32370b8f, v17
	v_add_nc_u32_e32 v38, 0xed9eba14, v17
	v_cmp_eq_u32_e32 vcc_lo, 0, v24
	v_add_nc_u32_e32 v39, 0x1715609d, v16
	v_add_nc_u32_e32 v40, 0xa9066899, v17
	s_mov_b32 s0, exec_lo
	v_dual_cndmask_b32 v18, 0, v10 :: v_dual_add_nc_u32 v33, 0x9e3779b9, v16
	v_mad_u64_u32 v[10:11], null, 0xd2511f53, v15, 0
	s_delay_alu instid0(VALU_DEP_2) | instskip(NEXT) | instid1(VALU_DEP_2)
	v_add_nc_u32_e32 v15, v18, v1
	v_xor_b32_e32 v19, v11, v17
	s_delay_alu instid0(VALU_DEP_2) | instskip(SKIP_2) | instid1(VALU_DEP_1)
	v_cmp_eq_u32_e32 vcc_lo, 0, v15
	v_mad_u64_u32 v[11:12], null, 0xd2511f53, v13, 0
	v_cndmask_b32_e32 v18, 0, v18, vcc_lo
	v_xor_b32_e32 v13, v18, v19
	v_mad_u64_u32 v[18:19], null, 0xd2511f53, v20, 0
	v_mad_u64_u32 v[20:21], null, 0xcd9e8d57, v15, 0
	s_delay_alu instid0(VALU_DEP_3) | instskip(SKIP_3) | instid1(VALU_DEP_3)
	v_mad_u64_u32 v[22:23], null, 0xcd9e8d57, v13, 0
	v_xor_b32_e32 v13, v12, v17
	v_add_nc_u32_e32 v15, 0x3c6ef372, v16
	v_xor3_b32 v25, v34, v19, v11
	v_mad_u64_u32 v[11:12], null, 0xcd9e8d57, v13, 0
	v_xor3_b32 v13, v21, v16, v24
	v_xor3_b32 v21, v33, v23, v20
	s_delay_alu instid0(VALU_DEP_4) | instskip(NEXT) | instid1(VALU_DEP_3)
	v_mad_u64_u32 v[19:20], null, 0xcd9e8d57, v25, 0
	v_mad_u64_u32 v[23:24], null, 0xd2511f53, v13, 0
	s_delay_alu instid0(VALU_DEP_3) | instskip(SKIP_1) | instid1(VALU_DEP_4)
	v_mad_u64_u32 v[25:26], null, 0xd2511f53, v21, 0
	v_xor3_b32 v13, v2, v12, v33
	v_xor3_b32 v33, v15, v20, v11
	s_delay_alu instid0(VALU_DEP_4) | instskip(NEXT) | instid1(VALU_DEP_3)
	v_xor3_b32 v10, v34, v24, v10
	v_mad_u64_u32 v[11:12], null, 0xd2511f53, v13, 0
	v_xor3_b32 v13, v35, v26, v23
	s_delay_alu instid0(VALU_DEP_4) | instskip(NEXT) | instid1(VALU_DEP_4)
	v_mad_u64_u32 v[20:21], null, 0xd2511f53, v33, 0
	v_mad_u64_u32 v[23:24], null, 0xcd9e8d57, v10, 0
	s_delay_alu instid0(VALU_DEP_3) | instskip(SKIP_4) | instid1(VALU_DEP_4)
	v_mad_u64_u32 v[33:34], null, 0xcd9e8d57, v13, 0
	v_xor3_b32 v12, v35, v12, v18
	v_add_nc_u32_e32 v26, 0x78dde6e4, v16
	v_xor3_b32 v18, v37, v21, v11
	v_xor3_b32 v15, v15, v24, v22
	v_mad_u64_u32 v[10:11], null, 0xcd9e8d57, v12, 0
	v_xor3_b32 v34, v36, v34, v23
	s_delay_alu instid0(VALU_DEP_4) | instskip(NEXT) | instid1(VALU_DEP_4)
	v_mad_u64_u32 v[12:13], null, 0xcd9e8d57, v18, 0
	v_mad_u64_u32 v[21:22], null, 0xd2511f53, v15, 0
	s_delay_alu instid0(VALU_DEP_3) | instskip(SKIP_1) | instid1(VALU_DEP_4)
	v_mad_u64_u32 v[23:24], null, 0xd2511f53, v34, 0
	v_xor3_b32 v15, v36, v11, v19
	v_xor3_b32 v13, v26, v13, v10
	s_delay_alu instid0(VALU_DEP_2) | instskip(SKIP_2) | instid1(VALU_DEP_4)
	v_mad_u64_u32 v[10:11], null, 0xd2511f53, v15, 0
	v_xor3_b32 v15, v37, v22, v25
	v_xor3_b32 v21, v38, v24, v21
	v_mad_u64_u32 v[24:25], null, 0xd2511f53, v13, 0
	s_delay_alu instid0(VALU_DEP_3) | instskip(NEXT) | instid1(VALU_DEP_3)
	v_mad_u64_u32 v[18:19], null, 0xcd9e8d57, v15, 0
	v_mad_u64_u32 v[34:35], null, 0xcd9e8d57, v21, 0
	v_xor3_b32 v13, v38, v11, v20
	s_delay_alu instid0(VALU_DEP_4) | instskip(SKIP_2) | instid1(VALU_DEP_4)
	v_xor3_b32 v21, v40, v25, v10
	v_add_nc_u32_e32 v15, 0xb54cda56, v16
	v_add_nc_u32_e32 v20, 0x646e171e, v17
	v_mad_u64_u32 v[10:11], null, 0xcd9e8d57, v13, 0
	v_xor3_b32 v13, v26, v19, v33
	v_xor3_b32 v22, v39, v35, v18
	v_mad_u64_u32 v[35:36], null, 0xcd9e8d57, v21, 0
	v_add_nc_u32_e32 v26, 0x5384540f, v16
	s_delay_alu instid0(VALU_DEP_4) | instskip(NEXT) | instid1(VALU_DEP_4)
	v_mad_u64_u32 v[18:19], null, 0xd2511f53, v13, 0
	v_mad_u64_u32 v[37:38], null, 0xd2511f53, v22, 0
	v_xor3_b32 v12, v39, v11, v12
	v_xor3_b32 v13, v15, v36, v10
	v_add_nc_u32_e32 v39, 0x1fd5c5a3, v17
	v_add_co_u32 v33, null, 0xf1bbcdc8, v16
	v_xor3_b32 v21, v40, v19, v23
	v_xor3_b32 v23, v20, v38, v18
	v_mad_u64_u32 v[10:11], null, 0xd2511f53, v12, 0
	v_mad_u64_u32 v[18:19], null, 0xd2511f53, v13, 0
	s_delay_alu instid0(VALU_DEP_4) | instskip(NEXT) | instid1(VALU_DEP_4)
	v_mad_u64_u32 v[12:13], null, 0xcd9e8d57, v21, 0
	v_mad_u64_u32 v[21:22], null, 0xcd9e8d57, v23, 0
	s_delay_alu instid0(VALU_DEP_4) | instskip(NEXT) | instid1(VALU_DEP_4)
	v_xor3_b32 v20, v20, v11, v24
	v_xor3_b32 v23, v39, v19, v10
	s_delay_alu instid0(VALU_DEP_4) | instskip(NEXT) | instid1(VALU_DEP_3)
	v_xor3_b32 v15, v15, v13, v34
	v_mad_u64_u32 v[10:11], null, 0xcd9e8d57, v20, 0
	v_xor3_b32 v22, v26, v22, v12
	s_delay_alu instid0(VALU_DEP_4) | instskip(NEXT) | instid1(VALU_DEP_4)
	v_mad_u64_u32 v[19:20], null, 0xcd9e8d57, v23, 0
	v_mad_u64_u32 v[12:13], null, 0xd2511f53, v15, 0
	s_delay_alu instid0(VALU_DEP_3)
	v_mad_u64_u32 v[24:25], null, 0xd2511f53, v22, 0
	v_add_nc_u32_e32 v34, 0xdb3d7428, v17
	v_xor3_b32 v11, v26, v11, v35
	v_xor3_b32 v15, v33, v20, v10
	v_add_nc_u32_e32 v35, 0x96a522ad, v17
	v_xor3_b32 v13, v39, v13, v37
	v_and_b32_e32 v17, 3, v14
	v_xor3_b32 v20, v34, v25, v12
	v_mad_u64_u32 v[22:23], null, 0xd2511f53, v11, 0
	v_mad_u64_u32 v[10:11], null, 0xd2511f53, v15, 0
	;; [unrolled: 1-line block ×3, first 2 shown]
	s_delay_alu instid0(VALU_DEP_4) | instskip(SKIP_1) | instid1(VALU_DEP_4)
	v_mad_u64_u32 v[12:13], null, 0xcd9e8d57, v20, 0
	v_add_nc_u32_e32 v20, 0x8ff34781, v16
                                        ; implicit-def: $vgpr15
	v_xor3_b32 v16, v11, v22, v35
	s_delay_alu instid0(VALU_DEP_2)
	v_xor3_b32 v11, v13, v25, v20
	v_cmpx_lt_i32_e32 1, v17
	s_xor_b32 s0, exec_lo, s0
	s_cbranch_execz .LBB115_39
; %bb.34:                               ;   in Loop: Header=BB115_3 Depth=1
	s_mov_b32 s16, exec_lo
                                        ; implicit-def: $vgpr15
	v_cmpx_lt_i32_e32 2, v17
	s_xor_b32 s16, exec_lo, s16
; %bb.35:                               ;   in Loop: Header=BB115_3 Depth=1
	v_xor3_b32 v13, v33, v26, v21
                                        ; implicit-def: $vgpr16
	s_delay_alu instid0(VALU_DEP_1) | instskip(NEXT) | instid1(VALU_DEP_1)
	v_mul_hi_u32 v13, 0xd2511f53, v13
	v_xor3_b32 v15, v13, v24, v35
; %bb.36:                               ;   in Loop: Header=BB115_3 Depth=1
	s_and_not1_saveexec_b32 s16, s16
; %bb.37:                               ;   in Loop: Header=BB115_3 Depth=1
	v_dual_mov_b32 v15, v12 :: v_dual_mov_b32 v12, v11
	v_dual_mov_b32 v11, v10 :: v_dual_mov_b32 v10, v16
; %bb.38:                               ;   in Loop: Header=BB115_3 Depth=1
	s_or_b32 exec_lo, exec_lo, s16
                                        ; implicit-def: $vgpr18_vgpr19
                                        ; implicit-def: $vgpr17
                                        ; implicit-def: $vgpr16
                                        ; implicit-def: $vgpr34
                                        ; implicit-def: $vgpr22_vgpr23
                                        ; implicit-def: $vgpr19_vgpr20
                                        ; implicit-def: $vgpr20
.LBB115_39:                             ;   in Loop: Header=BB115_3 Depth=1
	s_and_not1_saveexec_b32 s0, s0
	s_cbranch_execz .LBB115_43
; %bb.40:                               ;   in Loop: Header=BB115_3 Depth=1
	v_xor3_b32 v12, v34, v23, v18
	v_cmp_eq_u32_e32 vcc_lo, 1, v17
	v_mov_b32_e32 v15, v10
	s_delay_alu instid0(VALU_DEP_3) | instskip(SKIP_1) | instid1(VALU_DEP_2)
	v_mad_u64_u32 v[13:14], null, 0xcd9e8d57, v12, 0
	v_mov_b32_e32 v12, v16
	v_xor3_b32 v17, v14, v19, v20
	s_delay_alu instid0(VALU_DEP_3)
	v_mov_b32_e32 v14, v13
	s_and_saveexec_b32 s16, vcc_lo
; %bb.41:                               ;   in Loop: Header=BB115_3 Depth=1
	v_dual_mov_b32 v15, v11 :: v_dual_mov_b32 v12, v10
	v_dual_mov_b32 v14, v16 :: v_dual_mov_b32 v17, v13
; %bb.42:                               ;   in Loop: Header=BB115_3 Depth=1
	s_or_b32 exec_lo, exec_lo, s16
	s_delay_alu instid0(VALU_DEP_1)
	v_dual_mov_b32 v10, v17 :: v_dual_mov_b32 v11, v14
.LBB115_43:                             ;   in Loop: Header=BB115_3 Depth=1
	s_or_b32 exec_lo, exec_lo, s0
	v_min_i32_e32 v13, 4, v30
	s_mov_b32 s16, 0
	s_mov_b32 s38, 0
	s_mov_b32 s17, 0
                                        ; implicit-def: $sgpr34
                                        ; implicit-def: $sgpr35
                                        ; implicit-def: $sgpr36
	s_mov_b32 s0, exec_lo
	v_cmpx_lt_i32_e32 2, v13
	s_xor_b32 s37, exec_lo, s0
	s_cbranch_execz .LBB115_55
; %bb.44:                               ;   in Loop: Header=BB115_3 Depth=1
	s_mov_b32 s0, -1
	s_mov_b32 s39, 0
	s_mov_b32 s35, exec_lo
                                        ; implicit-def: $sgpr17
                                        ; implicit-def: $sgpr34
	v_cmpx_lt_i32_e32 3, v13
	s_cbranch_execz .LBB115_50
; %bb.45:                               ;   in Loop: Header=BB115_3 Depth=1
	s_mov_b32 s0, 0
	s_mov_b32 s39, -1
	s_mov_b32 s36, exec_lo
                                        ; implicit-def: $sgpr17
                                        ; implicit-def: $sgpr34
	v_cmpx_eq_u32_e32 4, v13
	s_cbranch_execz .LBB115_49
; %bb.46:                               ;   in Loop: Header=BB115_3 Depth=1
	v_cmp_le_f32_e32 vcc_lo, 0, v32
	v_cmp_ge_f32_e64 s0, 1.0, v32
	s_mov_b32 s17, 0
	s_delay_alu instid0(VALU_DEP_1)
	s_and_b32 s39, vcc_lo, s0
	s_mov_b32 s0, 0
	s_and_saveexec_b32 s34, s39
	s_cbranch_execz .LBB115_48
; %bb.47:                               ;   in Loop: Header=BB115_3 Depth=1
	v_cvt_f32_u32_e32 v14, v15
	v_add_co_u32 v8, vcc_lo, s10, v8
	v_add_co_ci_u32_e32 v9, vcc_lo, s11, v9, vcc_lo
	s_delay_alu instid0(VALU_DEP_3) | instskip(SKIP_1) | instid1(VALU_DEP_1)
	v_fmaak_f32 v14, 0x2f800000, v14, 0x2f800000
	s_mov_b32 s0, exec_lo
	v_cmp_le_f32_e32 vcc_lo, v14, v32
	v_cndmask_b32_e64 v14, 0, 1, vcc_lo
	global_store_b8 v[8:9], v14, off
.LBB115_48:                             ;   in Loop: Header=BB115_3 Depth=1
	s_or_b32 exec_lo, exec_lo, s34
	s_mov_b32 s34, -1
	s_xor_b32 s39, exec_lo, -1
	s_and_b32 s0, s0, exec_lo
.LBB115_49:                             ;   in Loop: Header=BB115_3 Depth=1
	s_or_b32 exec_lo, exec_lo, s36
	s_delay_alu instid0(SALU_CYCLE_1)
	s_and_b32 s39, s39, exec_lo
	s_or_not1_b32 s0, s0, exec_lo
.LBB115_50:                             ;   in Loop: Header=BB115_3 Depth=1
	s_or_b32 exec_lo, exec_lo, s35
	s_mov_b32 s36, s17
	s_and_saveexec_b32 s35, s0
	s_cbranch_execz .LBB115_54
; %bb.51:                               ;   in Loop: Header=BB115_3 Depth=1
	v_cmp_le_f32_e32 vcc_lo, 0, v31
	v_cmp_ge_f32_e64 s0, 1.0, v31
	s_delay_alu instid0(VALU_DEP_1) | instskip(SKIP_2) | instid1(SALU_CYCLE_1)
	s_and_b32 s36, vcc_lo, s0
	s_mov_b32 s0, 0
	s_and_saveexec_b32 s38, s36
	s_xor_b32 s36, exec_lo, s38
	s_cbranch_execz .LBB115_53
; %bb.52:                               ;   in Loop: Header=BB115_3 Depth=1
	v_cvt_f32_u32_e32 v8, v12
	s_mov_b32 s0, exec_lo
	s_delay_alu instid0(VALU_DEP_1) | instskip(NEXT) | instid1(VALU_DEP_1)
	v_fmaak_f32 v8, 0x2f800000, v8, 0x2f800000
	v_cmp_le_f32_e32 vcc_lo, v8, v31
	v_cndmask_b32_e64 v8, 0, 1, vcc_lo
	global_store_b8 v7, v8, s[10:11]
.LBB115_53:                             ;   in Loop: Header=BB115_3 Depth=1
	s_or_b32 exec_lo, exec_lo, s36
	s_delay_alu instid0(SALU_CYCLE_1)
	s_and_not1_b32 s36, s17, exec_lo
	s_or_b32 s17, s17, exec_lo
	s_and_not1_b32 s34, s34, exec_lo
	s_and_b32 s38, s0, exec_lo
.LBB115_54:                             ;   in Loop: Header=BB115_3 Depth=1
	s_or_b32 exec_lo, exec_lo, s35
	s_delay_alu instid0(SALU_CYCLE_1)
	s_and_b32 s36, s36, exec_lo
	s_and_b32 s35, s17, exec_lo
	;; [unrolled: 1-line block ×5, first 2 shown]
.LBB115_55:                             ;   in Loop: Header=BB115_3 Depth=1
	s_and_not1_saveexec_b32 s0, s37
; %bb.56:                               ;   in Loop: Header=BB115_3 Depth=1
	v_cmp_lt_i32_e32 vcc_lo, 1, v13
	s_and_not1_b32 s37, s38, exec_lo
	s_mov_b32 s16, exec_lo
	s_and_not1_b32 s36, s36, exec_lo
	s_and_not1_b32 s35, s35, exec_lo
	s_and_b32 s38, vcc_lo, exec_lo
	s_and_not1_b32 s34, s34, exec_lo
	s_or_b32 s38, s37, s38
; %bb.57:                               ;   in Loop: Header=BB115_3 Depth=1
	s_or_b32 exec_lo, exec_lo, s0
	s_mov_b32 s0, 0
	s_mov_b32 s37, s36
	s_and_saveexec_b32 s39, s38
	s_cbranch_execnz .LBB115_60
; %bb.58:                               ;   in Loop: Header=BB115_3 Depth=1
	s_or_b32 exec_lo, exec_lo, s39
	s_and_saveexec_b32 s38, s16
	s_cbranch_execnz .LBB115_63
.LBB115_59:                             ;   in Loop: Header=BB115_3 Depth=1
	s_or_b32 exec_lo, exec_lo, s38
	s_and_saveexec_b32 s16, s0
	s_cbranch_execnz .LBB115_64
	s_branch .LBB115_67
.LBB115_60:                             ;   in Loop: Header=BB115_3 Depth=1
	v_cmp_le_f32_e32 vcc_lo, 0, v3
	v_cmp_ge_f32_e64 s0, 1.0, v3
	s_delay_alu instid0(VALU_DEP_1) | instskip(SKIP_2) | instid1(SALU_CYCLE_1)
	s_and_b32 s37, vcc_lo, s0
	s_mov_b32 s0, 0
	s_and_saveexec_b32 s38, s37
	s_xor_b32 s37, exec_lo, s38
	s_cbranch_execz .LBB115_62
; %bb.61:                               ;   in Loop: Header=BB115_3 Depth=1
	v_cvt_f32_u32_e32 v7, v11
	s_mov_b32 s0, exec_lo
	s_delay_alu instid0(VALU_DEP_1) | instskip(NEXT) | instid1(VALU_DEP_1)
	v_fmaak_f32 v7, 0x2f800000, v7, 0x2f800000
	v_cmp_le_f32_e32 vcc_lo, v7, v3
	v_cndmask_b32_e64 v3, 0, 1, vcc_lo
	global_store_b8 v6, v3, s[10:11]
.LBB115_62:                             ;   in Loop: Header=BB115_3 Depth=1
	s_or_b32 exec_lo, exec_lo, s37
	s_delay_alu instid0(SALU_CYCLE_1)
	s_and_not1_b32 s37, s36, exec_lo
	s_or_b32 s36, s36, exec_lo
	s_and_not1_b32 s35, s35, exec_lo
	s_and_not1_b32 s34, s34, exec_lo
	s_and_b32 s0, s0, exec_lo
	s_and_not1_b32 s16, s16, exec_lo
	s_or_b32 exec_lo, exec_lo, s39
	s_and_saveexec_b32 s38, s16
	s_cbranch_execz .LBB115_59
.LBB115_63:                             ;   in Loop: Header=BB115_3 Depth=1
	v_cmp_eq_u32_e32 vcc_lo, 1, v13
	s_and_not1_b32 s0, s0, exec_lo
	s_and_not1_b32 s37, s37, exec_lo
	;; [unrolled: 1-line block ×4, first 2 shown]
	s_and_b32 s16, vcc_lo, exec_lo
	s_and_not1_b32 s34, s34, exec_lo
	s_or_b32 s17, s17, exec_lo
	s_or_b32 s0, s0, s16
	s_or_b32 exec_lo, exec_lo, s38
	s_and_saveexec_b32 s16, s0
	s_cbranch_execz .LBB115_67
.LBB115_64:                             ;   in Loop: Header=BB115_3 Depth=1
	v_cmp_le_f32_e32 vcc_lo, 0, v0
	v_cmp_ge_f32_e64 s0, 1.0, v0
	s_delay_alu instid0(VALU_DEP_1)
	s_and_b32 s39, vcc_lo, s0
	s_mov_b32 s0, 0
	s_and_saveexec_b32 s38, s39
	s_cbranch_execz .LBB115_66
; %bb.65:                               ;   in Loop: Header=BB115_3 Depth=1
	v_cvt_f32_u32_e32 v3, v10
	s_mov_b32 s0, exec_lo
	s_delay_alu instid0(VALU_DEP_1) | instskip(NEXT) | instid1(VALU_DEP_1)
	v_fmaak_f32 v3, 0x2f800000, v3, 0x2f800000
	v_cmp_le_f32_e32 vcc_lo, v3, v0
	v_cndmask_b32_e64 v0, 0, 1, vcc_lo
	global_store_b8 v5, v0, s[10:11]
.LBB115_66:                             ;   in Loop: Header=BB115_3 Depth=1
	s_or_b32 exec_lo, exec_lo, s38
	s_delay_alu instid0(SALU_CYCLE_1)
	s_and_not1_b32 s17, s17, exec_lo
	s_and_b32 s0, s0, exec_lo
	s_or_b32 s37, s37, exec_lo
	s_and_not1_b32 s36, s36, exec_lo
	s_and_not1_b32 s35, s35, exec_lo
	;; [unrolled: 1-line block ×3, first 2 shown]
	s_or_b32 s17, s17, s0
.LBB115_67:                             ;   in Loop: Header=BB115_3 Depth=1
	s_or_b32 exec_lo, exec_lo, s16
	s_delay_alu instid0(SALU_CYCLE_1)
	s_and_not1_b32 s16, s33, exec_lo
	s_and_b32 s33, s37, exec_lo
	s_and_not1_b32 s30, s30, exec_lo
	s_and_b32 s36, s36, exec_lo
	s_or_b32 s33, s16, s33
	s_and_not1_b32 s16, s31, exec_lo
	s_and_b32 s31, s35, exec_lo
	s_and_not1_b32 s29, s29, exec_lo
	s_and_b32 s34, s34, exec_lo
	s_mov_b32 s0, -1
	s_or_b32 s30, s30, s36
	s_or_b32 s31, s16, s31
	;; [unrolled: 1-line block ×3, first 2 shown]
	s_and_saveexec_b32 s16, s17
	s_cbranch_execz .LBB115_2
; %bb.68:                               ;   in Loop: Header=BB115_3 Depth=1
	v_add_nc_u32_e32 v27, s24, v27
	s_and_not1_b32 s33, s33, exec_lo
	s_and_not1_b32 s30, s30, exec_lo
	;; [unrolled: 1-line block ×4, first 2 shown]
	v_cmp_le_u32_e32 vcc_lo, s18, v27
	s_or_not1_b32 s0, vcc_lo, exec_lo
	s_branch .LBB115_2
.LBB115_69:
	s_or_b32 exec_lo, exec_lo, s1
	s_xor_b32 s3, s27, -1
	s_xor_b32 s4, s28, -1
	;; [unrolled: 1-line block ×3, first 2 shown]
	s_mov_b32 s1, 0
	s_and_saveexec_b32 s2, s0
	s_delay_alu instid0(SALU_CYCLE_1)
	s_xor_b32 s0, exec_lo, s2
	s_cbranch_execz .LBB115_78
; %bb.70:
	s_mov_b32 s2, 0
	s_and_saveexec_b32 s1, s4
	s_delay_alu instid0(SALU_CYCLE_1)
	s_xor_b32 s1, exec_lo, s1
	s_cbranch_execz .LBB115_76
; %bb.71:
	s_and_saveexec_b32 s4, s3
	s_delay_alu instid0(SALU_CYCLE_1)
	s_xor_b32 s3, exec_lo, s4
	s_cbranch_execz .LBB115_74
; %bb.72:
	s_and_saveexec_b32 s4, s23
	s_delay_alu instid0(SALU_CYCLE_1)
	s_xor_b32 s4, exec_lo, s4
	s_cbranch_execnz .LBB115_92
.LBB115_73:
	s_or_b32 exec_lo, exec_lo, s4
	s_delay_alu instid0(SALU_CYCLE_1)
	s_and_b32 s2, s2, exec_lo
.LBB115_74:
	s_and_not1_saveexec_b32 s3, s3
	s_cbranch_execnz .LBB115_88
.LBB115_75:
	s_or_b32 exec_lo, exec_lo, s3
	s_delay_alu instid0(SALU_CYCLE_1)
	s_and_b32 s2, s2, exec_lo
.LBB115_76:
	s_and_not1_saveexec_b32 s1, s1
	s_cbranch_execnz .LBB115_84
.LBB115_77:
	s_or_b32 exec_lo, exec_lo, s1
	s_delay_alu instid0(SALU_CYCLE_1)
	s_and_b32 s1, s2, exec_lo
.LBB115_78:
	s_and_not1_saveexec_b32 s0, s0
	s_cbranch_execnz .LBB115_82
; %bb.79:
	s_or_b32 exec_lo, exec_lo, s0
	s_delay_alu instid0(SALU_CYCLE_1)
	s_and_b32 exec_lo, exec_lo, s1
.LBB115_80:
	; divergent unreachable
.LBB115_81:
	s_nop 0
	s_sendmsg sendmsg(MSG_DEALLOC_VGPRS)
	s_endpgm
.LBB115_82:
	s_cbranch_execnz .LBB115_86
; %bb.83:
	s_or_b32 s1, s1, exec_lo
	s_or_b32 exec_lo, exec_lo, s0
	s_delay_alu instid0(SALU_CYCLE_1)
	s_and_b32 exec_lo, exec_lo, s1
	s_cbranch_execnz .LBB115_80
	s_branch .LBB115_81
.LBB115_84:
	s_cbranch_execnz .LBB115_90
; %bb.85:
	s_or_b32 s2, s2, exec_lo
	s_branch .LBB115_77
.LBB115_86:
	s_trap 2
	s_sendmsg_rtn_b32 s0, sendmsg(MSG_RTN_GET_DOORBELL)
	s_mov_b32 ttmp2, m0
	s_waitcnt lgkmcnt(0)
	s_and_b32 s0, s0, 0x3ff
	s_delay_alu instid0(SALU_CYCLE_1) | instskip(NEXT) | instid1(SALU_CYCLE_1)
	s_bitset1_b32 s0, 10
	s_mov_b32 m0, s0
	s_sendmsg sendmsg(MSG_INTERRUPT)
	s_mov_b32 m0, ttmp2
.LBB115_87:                             ; =>This Inner Loop Header: Depth=1
	s_sethalt 5
	s_branch .LBB115_87
.LBB115_88:
	s_cbranch_execnz .LBB115_94
; %bb.89:
	s_or_b32 s2, s2, exec_lo
	s_branch .LBB115_75
.LBB115_90:
	s_trap 2
	s_sendmsg_rtn_b32 s0, sendmsg(MSG_RTN_GET_DOORBELL)
	s_mov_b32 ttmp2, m0
	s_waitcnt lgkmcnt(0)
	s_and_b32 s0, s0, 0x3ff
	s_delay_alu instid0(SALU_CYCLE_1) | instskip(NEXT) | instid1(SALU_CYCLE_1)
	s_bitset1_b32 s0, 10
	s_mov_b32 m0, s0
	s_sendmsg sendmsg(MSG_INTERRUPT)
	s_mov_b32 m0, ttmp2
.LBB115_91:                             ; =>This Inner Loop Header: Depth=1
	s_sethalt 5
	s_branch .LBB115_91
.LBB115_92:
	s_cbranch_execnz .LBB115_96
; %bb.93:
	s_mov_b32 s2, exec_lo
	s_branch .LBB115_73
.LBB115_94:
	s_trap 2
	s_sendmsg_rtn_b32 s0, sendmsg(MSG_RTN_GET_DOORBELL)
	s_mov_b32 ttmp2, m0
	s_waitcnt lgkmcnt(0)
	s_and_b32 s0, s0, 0x3ff
	s_delay_alu instid0(SALU_CYCLE_1) | instskip(NEXT) | instid1(SALU_CYCLE_1)
	s_bitset1_b32 s0, 10
	s_mov_b32 m0, s0
	s_sendmsg sendmsg(MSG_INTERRUPT)
	s_mov_b32 m0, ttmp2
.LBB115_95:                             ; =>This Inner Loop Header: Depth=1
	s_sethalt 5
	s_branch .LBB115_95
.LBB115_96:
	s_trap 2
	s_sendmsg_rtn_b32 s0, sendmsg(MSG_RTN_GET_DOORBELL)
	s_mov_b32 ttmp2, m0
	s_waitcnt lgkmcnt(0)
	s_and_b32 s0, s0, 0x3ff
	s_delay_alu instid0(SALU_CYCLE_1) | instskip(NEXT) | instid1(SALU_CYCLE_1)
	s_bitset1_b32 s0, 10
	s_mov_b32 m0, s0
	s_sendmsg sendmsg(MSG_INTERRUPT)
	s_mov_b32 m0, ttmp2
.LBB115_97:                             ; =>This Inner Loop Header: Depth=1
	s_sethalt 5
	s_branch .LBB115_97
	.section	.rodata,"a",@progbits
	.p2align	6, 0x0
	.amdhsa_kernel _ZN2at4cuda12_GLOBAL__N_121kernelPointwiseApply2IZNS_6native9templates4cuda28bernoulli_tensor_cuda_kernelIbfEEvRKNS_10TensorBaseES9_NS_15PhiloxCudaStateEEUliRbSB_SB_SB_RKfSD_SD_SD_E_bSC_jLi2ELin1ELi4ELi512ELi2EEEvNS0_6detail10TensorInfoIT0_T2_EENSG_IT1_SI_EESI_T_
		.amdhsa_group_segment_fixed_size 0
		.amdhsa_private_segment_fixed_size 0
		.amdhsa_kernarg_size 728
		.amdhsa_user_sgpr_count 15
		.amdhsa_user_sgpr_dispatch_ptr 0
		.amdhsa_user_sgpr_queue_ptr 0
		.amdhsa_user_sgpr_kernarg_segment_ptr 1
		.amdhsa_user_sgpr_dispatch_id 0
		.amdhsa_user_sgpr_private_segment_size 0
		.amdhsa_wavefront_size32 1
		.amdhsa_uses_dynamic_stack 0
		.amdhsa_enable_private_segment 0
		.amdhsa_system_sgpr_workgroup_id_x 1
		.amdhsa_system_sgpr_workgroup_id_y 0
		.amdhsa_system_sgpr_workgroup_id_z 0
		.amdhsa_system_sgpr_workgroup_info 0
		.amdhsa_system_vgpr_workitem_id 0
		.amdhsa_next_free_vgpr 41
		.amdhsa_next_free_sgpr 40
		.amdhsa_reserve_vcc 1
		.amdhsa_float_round_mode_32 0
		.amdhsa_float_round_mode_16_64 0
		.amdhsa_float_denorm_mode_32 3
		.amdhsa_float_denorm_mode_16_64 3
		.amdhsa_dx10_clamp 1
		.amdhsa_ieee_mode 1
		.amdhsa_fp16_overflow 0
		.amdhsa_workgroup_processor_mode 1
		.amdhsa_memory_ordered 1
		.amdhsa_forward_progress 0
		.amdhsa_shared_vgpr_count 0
		.amdhsa_exception_fp_ieee_invalid_op 0
		.amdhsa_exception_fp_denorm_src 0
		.amdhsa_exception_fp_ieee_div_zero 0
		.amdhsa_exception_fp_ieee_overflow 0
		.amdhsa_exception_fp_ieee_underflow 0
		.amdhsa_exception_fp_ieee_inexact 0
		.amdhsa_exception_int_div_zero 0
	.end_amdhsa_kernel
	.section	.text._ZN2at4cuda12_GLOBAL__N_121kernelPointwiseApply2IZNS_6native9templates4cuda28bernoulli_tensor_cuda_kernelIbfEEvRKNS_10TensorBaseES9_NS_15PhiloxCudaStateEEUliRbSB_SB_SB_RKfSD_SD_SD_E_bSC_jLi2ELin1ELi4ELi512ELi2EEEvNS0_6detail10TensorInfoIT0_T2_EENSG_IT1_SI_EESI_T_,"axG",@progbits,_ZN2at4cuda12_GLOBAL__N_121kernelPointwiseApply2IZNS_6native9templates4cuda28bernoulli_tensor_cuda_kernelIbfEEvRKNS_10TensorBaseES9_NS_15PhiloxCudaStateEEUliRbSB_SB_SB_RKfSD_SD_SD_E_bSC_jLi2ELin1ELi4ELi512ELi2EEEvNS0_6detail10TensorInfoIT0_T2_EENSG_IT1_SI_EESI_T_,comdat
.Lfunc_end115:
	.size	_ZN2at4cuda12_GLOBAL__N_121kernelPointwiseApply2IZNS_6native9templates4cuda28bernoulli_tensor_cuda_kernelIbfEEvRKNS_10TensorBaseES9_NS_15PhiloxCudaStateEEUliRbSB_SB_SB_RKfSD_SD_SD_E_bSC_jLi2ELin1ELi4ELi512ELi2EEEvNS0_6detail10TensorInfoIT0_T2_EENSG_IT1_SI_EESI_T_, .Lfunc_end115-_ZN2at4cuda12_GLOBAL__N_121kernelPointwiseApply2IZNS_6native9templates4cuda28bernoulli_tensor_cuda_kernelIbfEEvRKNS_10TensorBaseES9_NS_15PhiloxCudaStateEEUliRbSB_SB_SB_RKfSD_SD_SD_E_bSC_jLi2ELin1ELi4ELi512ELi2EEEvNS0_6detail10TensorInfoIT0_T2_EENSG_IT1_SI_EESI_T_
                                        ; -- End function
	.section	.AMDGPU.csdata,"",@progbits
; Kernel info:
; codeLenInByte = 4748
; NumSgprs: 42
; NumVgprs: 41
; ScratchSize: 0
; MemoryBound: 0
; FloatMode: 240
; IeeeMode: 1
; LDSByteSize: 0 bytes/workgroup (compile time only)
; SGPRBlocks: 5
; VGPRBlocks: 5
; NumSGPRsForWavesPerEU: 42
; NumVGPRsForWavesPerEU: 41
; Occupancy: 16
; WaveLimiterHint : 1
; COMPUTE_PGM_RSRC2:SCRATCH_EN: 0
; COMPUTE_PGM_RSRC2:USER_SGPR: 15
; COMPUTE_PGM_RSRC2:TRAP_HANDLER: 0
; COMPUTE_PGM_RSRC2:TGID_X_EN: 1
; COMPUTE_PGM_RSRC2:TGID_Y_EN: 0
; COMPUTE_PGM_RSRC2:TGID_Z_EN: 0
; COMPUTE_PGM_RSRC2:TIDIG_COMP_CNT: 0
	.section	.text._ZN2at4cuda12_GLOBAL__N_121kernelPointwiseApply2IZNS_6native9templates4cuda28bernoulli_tensor_cuda_kernelIbfEEvRKNS_10TensorBaseES9_NS_15PhiloxCudaStateEEUliRbSB_SB_SB_RKfSD_SD_SD_E_bSC_jLin1ELi1ELi4ELi512ELi2EEEvNS0_6detail10TensorInfoIT0_T2_EENSG_IT1_SI_EESI_T_,"axG",@progbits,_ZN2at4cuda12_GLOBAL__N_121kernelPointwiseApply2IZNS_6native9templates4cuda28bernoulli_tensor_cuda_kernelIbfEEvRKNS_10TensorBaseES9_NS_15PhiloxCudaStateEEUliRbSB_SB_SB_RKfSD_SD_SD_E_bSC_jLin1ELi1ELi4ELi512ELi2EEEvNS0_6detail10TensorInfoIT0_T2_EENSG_IT1_SI_EESI_T_,comdat
	.globl	_ZN2at4cuda12_GLOBAL__N_121kernelPointwiseApply2IZNS_6native9templates4cuda28bernoulli_tensor_cuda_kernelIbfEEvRKNS_10TensorBaseES9_NS_15PhiloxCudaStateEEUliRbSB_SB_SB_RKfSD_SD_SD_E_bSC_jLin1ELi1ELi4ELi512ELi2EEEvNS0_6detail10TensorInfoIT0_T2_EENSG_IT1_SI_EESI_T_ ; -- Begin function _ZN2at4cuda12_GLOBAL__N_121kernelPointwiseApply2IZNS_6native9templates4cuda28bernoulli_tensor_cuda_kernelIbfEEvRKNS_10TensorBaseES9_NS_15PhiloxCudaStateEEUliRbSB_SB_SB_RKfSD_SD_SD_E_bSC_jLin1ELi1ELi4ELi512ELi2EEEvNS0_6detail10TensorInfoIT0_T2_EENSG_IT1_SI_EESI_T_
	.p2align	8
	.type	_ZN2at4cuda12_GLOBAL__N_121kernelPointwiseApply2IZNS_6native9templates4cuda28bernoulli_tensor_cuda_kernelIbfEEvRKNS_10TensorBaseES9_NS_15PhiloxCudaStateEEUliRbSB_SB_SB_RKfSD_SD_SD_E_bSC_jLin1ELi1ELi4ELi512ELi2EEEvNS0_6detail10TensorInfoIT0_T2_EENSG_IT1_SI_EESI_T_,@function
_ZN2at4cuda12_GLOBAL__N_121kernelPointwiseApply2IZNS_6native9templates4cuda28bernoulli_tensor_cuda_kernelIbfEEvRKNS_10TensorBaseES9_NS_15PhiloxCudaStateEEUliRbSB_SB_SB_RKfSD_SD_SD_E_bSC_jLin1ELi1ELi4ELi512ELi2EEEvNS0_6detail10TensorInfoIT0_T2_EENSG_IT1_SI_EESI_T_: ; @_ZN2at4cuda12_GLOBAL__N_121kernelPointwiseApply2IZNS_6native9templates4cuda28bernoulli_tensor_cuda_kernelIbfEEvRKNS_10TensorBaseES9_NS_15PhiloxCudaStateEEUliRbSB_SB_SB_RKfSD_SD_SD_E_bSC_jLin1ELi1ELi4ELi512ELi2EEEvNS0_6detail10TensorInfoIT0_T2_EENSG_IT1_SI_EESI_T_
; %bb.0:
	s_clause 0x1
	s_load_b32 s4, s[0:1], 0x1e4
	s_load_b32 s20, s[0:1], 0x1b0
	s_add_u32 s2, s0, 0x1d8
	s_addc_u32 s3, s1, 0
	s_waitcnt lgkmcnt(0)
	s_and_b32 s14, s4, 0xffff
	s_mov_b32 s4, exec_lo
	v_mad_u64_u32 v[1:2], null, s15, s14, v[0:1]
	s_delay_alu instid0(VALU_DEP_1) | instskip(NEXT) | instid1(VALU_DEP_1)
	v_lshlrev_b32_e32 v29, 2, v1
	v_cmpx_gt_u32_e64 s20, v29
	s_cbranch_execz .LBB116_73
; %bb.1:
	s_load_b32 s16, s[0:1], 0xd0
	s_load_b32 s2, s[2:3], 0x0
	s_clause 0x6
	s_load_b32 s3, s[0:1], 0x1d0
	s_load_b64 s[8:9], s[0:1], 0xd8
	s_load_b64 s[10:11], s[0:1], 0x1c8
	s_load_b32 s21, s[0:1], 0x144
	s_load_b128 s[4:7], s[0:1], 0x1b8
	s_load_b32 s22, s[0:1], 0x6c
	s_load_b64 s[12:13], s[0:1], 0x0
	v_mad_u64_u32 v[2:3], null, 0xcd9e8d57, v1, 0
	s_mov_b32 s15, 0
	v_mov_b32_e32 v4, 0
                                        ; implicit-def: $sgpr27
                                        ; implicit-def: $sgpr29
                                        ; implicit-def: $sgpr28
                                        ; implicit-def: $sgpr30
                                        ; implicit-def: $sgpr33
                                        ; implicit-def: $sgpr31
                                        ; implicit-def: $sgpr34
	s_delay_alu instid0(VALU_DEP_2)
	v_mov_b32_e32 v30, v3
	s_waitcnt lgkmcnt(0)
	s_cmp_gt_i32 s16, 1
	s_mul_i32 s2, s2, s14
	s_cselect_b32 s23, -1, 0
	s_bitcmp1_b32 s3, 0
	s_cselect_b32 s24, -1, 0
	s_add_i32 s14, s16, -1
	s_lshl_b32 s25, s2, 2
	s_lshl_b64 s[2:3], s[14:15], 2
	s_add_i32 s26, s16, 1
	s_add_u32 s0, s2, s0
	s_addc_u32 s1, s3, s1
	s_add_u32 s16, s0, 8
	s_addc_u32 s17, s1, 0
                                        ; implicit-def: $sgpr14
	s_branch .LBB116_3
.LBB116_2:                              ;   in Loop: Header=BB116_3 Depth=1
	s_or_b32 exec_lo, exec_lo, s1
	s_delay_alu instid0(SALU_CYCLE_1) | instskip(NEXT) | instid1(SALU_CYCLE_1)
	s_and_b32 s0, exec_lo, s0
	s_or_b32 s15, s0, s15
	s_and_not1_b32 s0, s14, exec_lo
	s_and_b32 s1, s34, exec_lo
	s_and_not1_b32 s2, s28, exec_lo
	s_and_b32 s3, s31, exec_lo
	s_or_b32 s14, s0, s1
	s_or_b32 s28, s2, s3
	s_and_not1_b32 s0, s29, exec_lo
	s_and_b32 s1, s33, exec_lo
	s_and_not1_b32 s2, s27, exec_lo
	s_and_b32 s3, s30, exec_lo
	s_or_b32 s29, s0, s1
	s_or_b32 s27, s2, s3
	s_and_not1_b32 exec_lo, exec_lo, s15
	s_cbranch_execz .LBB116_61
.LBB116_3:                              ; =>This Loop Header: Depth=1
                                        ;     Child Loop BB116_6 Depth 2
                                        ;     Child Loop BB116_11 Depth 2
	;; [unrolled: 1-line block ×4, first 2 shown]
	v_sub_nc_u32_e32 v31, s20, v29
	v_mov_b32_e32 v5, 0
	s_delay_alu instid0(VALU_DEP_2) | instskip(NEXT) | instid1(VALU_DEP_1)
	v_cmp_lt_i32_e64 s0, 0, v31
	s_and_saveexec_b32 s1, s0
	s_cbranch_execz .LBB116_8
; %bb.4:                                ;   in Loop: Header=BB116_3 Depth=1
	v_dual_mov_b32 v0, 0 :: v_dual_mov_b32 v3, v29
	s_and_not1_b32 vcc_lo, exec_lo, s23
	s_cbranch_vccnz .LBB116_7
; %bb.5:                                ;   in Loop: Header=BB116_3 Depth=1
	v_dual_mov_b32 v0, 0 :: v_dual_mov_b32 v3, v29
	s_mov_b64 s[2:3], s[16:17]
	s_mov_b32 s18, s26
	s_set_inst_prefetch_distance 0x1
	.p2align	6
.LBB116_6:                              ;   Parent Loop BB116_3 Depth=1
                                        ; =>  This Inner Loop Header: Depth=2
	s_clause 0x1
	s_load_b32 s19, s[2:3], 0x0
	s_load_b32 s35, s[2:3], 0x64
	v_mov_b32_e32 v7, v3
	s_add_i32 s18, s18, -1
	s_waitcnt lgkmcnt(0)
	v_cvt_f32_u32_e32 v5, s19
	s_sub_i32 s36, 0, s19
	s_add_u32 s2, s2, -4
	s_addc_u32 s3, s3, -1
	s_cmp_gt_u32 s18, 2
	v_rcp_iflag_f32_e32 v5, v5
	s_waitcnt_depctr 0xfff
	v_mul_f32_e32 v5, 0x4f7ffffe, v5
	s_delay_alu instid0(VALU_DEP_1) | instskip(NEXT) | instid1(VALU_DEP_1)
	v_cvt_u32_f32_e32 v5, v5
	v_mul_lo_u32 v6, s36, v5
	s_delay_alu instid0(VALU_DEP_1) | instskip(NEXT) | instid1(VALU_DEP_1)
	v_mul_hi_u32 v6, v5, v6
	v_add_nc_u32_e32 v3, v5, v6
	s_delay_alu instid0(VALU_DEP_1) | instskip(NEXT) | instid1(VALU_DEP_1)
	v_mul_hi_u32 v3, v7, v3
	v_add_nc_u32_e32 v6, 1, v3
	v_mul_lo_u32 v5, v3, s19
	s_delay_alu instid0(VALU_DEP_1) | instskip(NEXT) | instid1(VALU_DEP_1)
	v_sub_nc_u32_e32 v5, v7, v5
	v_subrev_nc_u32_e32 v8, s19, v5
	v_cmp_le_u32_e32 vcc_lo, s19, v5
	v_cndmask_b32_e32 v3, v3, v6, vcc_lo
	s_delay_alu instid0(VALU_DEP_1) | instskip(NEXT) | instid1(VALU_DEP_1)
	v_dual_cndmask_b32 v5, v5, v8 :: v_dual_add_nc_u32 v6, 1, v3
	v_cmp_le_u32_e32 vcc_lo, s19, v5
	s_delay_alu instid0(VALU_DEP_2) | instskip(NEXT) | instid1(VALU_DEP_1)
	v_cndmask_b32_e32 v3, v3, v6, vcc_lo
	v_mul_lo_u32 v5, v3, s19
	s_delay_alu instid0(VALU_DEP_1) | instskip(NEXT) | instid1(VALU_DEP_1)
	v_sub_nc_u32_e32 v7, v7, v5
	v_mad_u64_u32 v[5:6], null, s35, v7, v[0:1]
	s_delay_alu instid0(VALU_DEP_1)
	v_mov_b32_e32 v0, v5
	s_cbranch_scc1 .LBB116_6
.LBB116_7:                              ;   in Loop: Header=BB116_3 Depth=1
	s_set_inst_prefetch_distance 0x2
	s_delay_alu instid0(VALU_DEP_1)
	v_mad_u64_u32 v[5:6], null, s22, v3, v[0:1]
.LBB116_8:                              ;   in Loop: Header=BB116_3 Depth=1
	s_or_b32 exec_lo, exec_lo, s1
	v_mov_b32_e32 v6, 0
	v_mov_b32_e32 v7, 0
	v_cmp_lt_i32_e64 s1, 1, v31
	s_delay_alu instid0(VALU_DEP_1)
	s_and_saveexec_b32 s18, s1
	s_cbranch_execz .LBB116_13
; %bb.9:                                ;   in Loop: Header=BB116_3 Depth=1
	v_or_b32_e32 v3, 1, v29
	v_mov_b32_e32 v0, 0
	s_and_not1_b32 vcc_lo, exec_lo, s23
	s_cbranch_vccnz .LBB116_12
; %bb.10:                               ;   in Loop: Header=BB116_3 Depth=1
	v_mov_b32_e32 v0, 0
	s_mov_b64 s[2:3], s[16:17]
	s_mov_b32 s19, s26
	s_set_inst_prefetch_distance 0x1
	.p2align	6
.LBB116_11:                             ;   Parent Loop BB116_3 Depth=1
                                        ; =>  This Inner Loop Header: Depth=2
	s_clause 0x1
	s_load_b32 s35, s[2:3], 0x0
	s_load_b32 s36, s[2:3], 0x64
	s_add_i32 s19, s19, -1
	s_waitcnt lgkmcnt(0)
	v_cvt_f32_u32_e32 v6, s35
	s_sub_i32 s37, 0, s35
	s_add_u32 s2, s2, -4
	s_addc_u32 s3, s3, -1
	s_cmp_gt_u32 s19, 2
	v_rcp_iflag_f32_e32 v6, v6
	s_waitcnt_depctr 0xfff
	v_mul_f32_e32 v6, 0x4f7ffffe, v6
	s_delay_alu instid0(VALU_DEP_1) | instskip(NEXT) | instid1(VALU_DEP_1)
	v_cvt_u32_f32_e32 v6, v6
	v_mul_lo_u32 v7, s37, v6
	s_delay_alu instid0(VALU_DEP_1) | instskip(NEXT) | instid1(VALU_DEP_1)
	v_mul_hi_u32 v7, v6, v7
	v_dual_mov_b32 v8, v3 :: v_dual_add_nc_u32 v3, v6, v7
	s_delay_alu instid0(VALU_DEP_1) | instskip(NEXT) | instid1(VALU_DEP_1)
	v_mul_hi_u32 v3, v8, v3
	v_mul_lo_u32 v6, v3, s35
	v_add_nc_u32_e32 v7, 1, v3
	s_delay_alu instid0(VALU_DEP_2) | instskip(NEXT) | instid1(VALU_DEP_1)
	v_sub_nc_u32_e32 v6, v8, v6
	v_subrev_nc_u32_e32 v9, s35, v6
	v_cmp_le_u32_e32 vcc_lo, s35, v6
	s_delay_alu instid0(VALU_DEP_2) | instskip(NEXT) | instid1(VALU_DEP_1)
	v_dual_cndmask_b32 v3, v3, v7 :: v_dual_cndmask_b32 v6, v6, v9
	v_add_nc_u32_e32 v7, 1, v3
	s_delay_alu instid0(VALU_DEP_2) | instskip(NEXT) | instid1(VALU_DEP_2)
	v_cmp_le_u32_e32 vcc_lo, s35, v6
	v_cndmask_b32_e32 v3, v3, v7, vcc_lo
	s_delay_alu instid0(VALU_DEP_1) | instskip(NEXT) | instid1(VALU_DEP_1)
	v_mul_lo_u32 v6, v3, s35
	v_sub_nc_u32_e32 v8, v8, v6
	s_delay_alu instid0(VALU_DEP_1) | instskip(NEXT) | instid1(VALU_DEP_1)
	v_mad_u64_u32 v[6:7], null, s36, v8, v[0:1]
	v_mov_b32_e32 v0, v6
	s_cbranch_scc1 .LBB116_11
.LBB116_12:                             ;   in Loop: Header=BB116_3 Depth=1
	s_set_inst_prefetch_distance 0x2
	s_delay_alu instid0(VALU_DEP_1)
	v_mad_u64_u32 v[6:7], null, s22, v3, v[0:1]
	v_mov_b32_e32 v7, v4
.LBB116_13:                             ;   in Loop: Header=BB116_3 Depth=1
	s_or_b32 exec_lo, exec_lo, s18
	v_mov_b32_e32 v8, 0
	v_mov_b32_e32 v9, 0
	v_cmp_lt_i32_e64 s2, 2, v31
	s_delay_alu instid0(VALU_DEP_1)
	s_and_saveexec_b32 s3, s2
	s_cbranch_execz .LBB116_18
; %bb.14:                               ;   in Loop: Header=BB116_3 Depth=1
	v_or_b32_e32 v3, 2, v29
	v_mov_b32_e32 v0, 0
	s_and_not1_b32 vcc_lo, exec_lo, s23
	s_cbranch_vccnz .LBB116_17
; %bb.15:                               ;   in Loop: Header=BB116_3 Depth=1
	v_mov_b32_e32 v0, 0
	s_mov_b64 s[18:19], s[16:17]
	s_mov_b32 s35, s26
	s_set_inst_prefetch_distance 0x1
	.p2align	6
.LBB116_16:                             ;   Parent Loop BB116_3 Depth=1
                                        ; =>  This Inner Loop Header: Depth=2
	s_clause 0x1
	s_load_b32 s36, s[18:19], 0x0
	s_load_b32 s37, s[18:19], 0x64
	s_add_i32 s35, s35, -1
	s_waitcnt lgkmcnt(0)
	v_cvt_f32_u32_e32 v8, s36
	s_sub_i32 s38, 0, s36
	s_add_u32 s18, s18, -4
	s_addc_u32 s19, s19, -1
	s_cmp_gt_u32 s35, 2
	v_rcp_iflag_f32_e32 v8, v8
	s_waitcnt_depctr 0xfff
	v_mul_f32_e32 v8, 0x4f7ffffe, v8
	s_delay_alu instid0(VALU_DEP_1) | instskip(NEXT) | instid1(VALU_DEP_1)
	v_cvt_u32_f32_e32 v8, v8
	v_mul_lo_u32 v9, s38, v8
	s_delay_alu instid0(VALU_DEP_1) | instskip(NEXT) | instid1(VALU_DEP_1)
	v_mul_hi_u32 v9, v8, v9
	v_dual_mov_b32 v10, v3 :: v_dual_add_nc_u32 v3, v8, v9
	s_delay_alu instid0(VALU_DEP_1) | instskip(NEXT) | instid1(VALU_DEP_1)
	v_mul_hi_u32 v3, v10, v3
	v_mul_lo_u32 v8, v3, s36
	v_add_nc_u32_e32 v9, 1, v3
	s_delay_alu instid0(VALU_DEP_2) | instskip(NEXT) | instid1(VALU_DEP_1)
	v_sub_nc_u32_e32 v8, v10, v8
	v_subrev_nc_u32_e32 v11, s36, v8
	v_cmp_le_u32_e32 vcc_lo, s36, v8
	s_delay_alu instid0(VALU_DEP_2) | instskip(NEXT) | instid1(VALU_DEP_1)
	v_dual_cndmask_b32 v3, v3, v9 :: v_dual_cndmask_b32 v8, v8, v11
	v_add_nc_u32_e32 v9, 1, v3
	s_delay_alu instid0(VALU_DEP_2) | instskip(NEXT) | instid1(VALU_DEP_2)
	v_cmp_le_u32_e32 vcc_lo, s36, v8
	v_cndmask_b32_e32 v3, v3, v9, vcc_lo
	s_delay_alu instid0(VALU_DEP_1) | instskip(NEXT) | instid1(VALU_DEP_1)
	v_mul_lo_u32 v8, v3, s36
	v_sub_nc_u32_e32 v10, v10, v8
	s_delay_alu instid0(VALU_DEP_1) | instskip(NEXT) | instid1(VALU_DEP_1)
	v_mad_u64_u32 v[8:9], null, s37, v10, v[0:1]
	v_mov_b32_e32 v0, v8
	s_cbranch_scc1 .LBB116_16
.LBB116_17:                             ;   in Loop: Header=BB116_3 Depth=1
	s_set_inst_prefetch_distance 0x2
	s_delay_alu instid0(VALU_DEP_1)
	v_mad_u64_u32 v[8:9], null, s22, v3, v[0:1]
	v_mov_b32_e32 v9, v4
.LBB116_18:                             ;   in Loop: Header=BB116_3 Depth=1
	s_or_b32 exec_lo, exec_lo, s3
	v_mov_b32_e32 v12, 0
	v_mov_b32_e32 v13, 0
	v_cmp_lt_i32_e64 s3, 3, v31
	s_delay_alu instid0(VALU_DEP_1)
	s_and_saveexec_b32 s35, s3
	s_cbranch_execz .LBB116_23
; %bb.19:                               ;   in Loop: Header=BB116_3 Depth=1
	v_or_b32_e32 v3, 3, v29
	v_mov_b32_e32 v0, 0
	s_and_not1_b32 vcc_lo, exec_lo, s23
	s_cbranch_vccnz .LBB116_22
; %bb.20:                               ;   in Loop: Header=BB116_3 Depth=1
	v_mov_b32_e32 v0, 0
	s_mov_b64 s[18:19], s[16:17]
	s_mov_b32 s36, s26
	s_set_inst_prefetch_distance 0x1
	.p2align	6
.LBB116_21:                             ;   Parent Loop BB116_3 Depth=1
                                        ; =>  This Inner Loop Header: Depth=2
	s_clause 0x1
	s_load_b32 s37, s[18:19], 0x0
	s_load_b32 s38, s[18:19], 0x64
	s_add_i32 s36, s36, -1
	s_waitcnt lgkmcnt(0)
	v_cvt_f32_u32_e32 v10, s37
	s_sub_i32 s39, 0, s37
	s_add_u32 s18, s18, -4
	s_addc_u32 s19, s19, -1
	s_cmp_gt_u32 s36, 2
	v_rcp_iflag_f32_e32 v10, v10
	s_waitcnt_depctr 0xfff
	v_mul_f32_e32 v10, 0x4f7ffffe, v10
	s_delay_alu instid0(VALU_DEP_1) | instskip(NEXT) | instid1(VALU_DEP_1)
	v_cvt_u32_f32_e32 v10, v10
	v_mul_lo_u32 v11, s39, v10
	s_delay_alu instid0(VALU_DEP_1) | instskip(NEXT) | instid1(VALU_DEP_1)
	v_mul_hi_u32 v11, v10, v11
	v_dual_mov_b32 v12, v3 :: v_dual_add_nc_u32 v3, v10, v11
	s_delay_alu instid0(VALU_DEP_1) | instskip(NEXT) | instid1(VALU_DEP_1)
	v_mul_hi_u32 v3, v12, v3
	v_mul_lo_u32 v10, v3, s37
	v_add_nc_u32_e32 v11, 1, v3
	s_delay_alu instid0(VALU_DEP_2) | instskip(NEXT) | instid1(VALU_DEP_1)
	v_sub_nc_u32_e32 v10, v12, v10
	v_subrev_nc_u32_e32 v13, s37, v10
	v_cmp_le_u32_e32 vcc_lo, s37, v10
	s_delay_alu instid0(VALU_DEP_2) | instskip(NEXT) | instid1(VALU_DEP_1)
	v_dual_cndmask_b32 v3, v3, v11 :: v_dual_cndmask_b32 v10, v10, v13
	v_add_nc_u32_e32 v11, 1, v3
	s_delay_alu instid0(VALU_DEP_2) | instskip(NEXT) | instid1(VALU_DEP_2)
	v_cmp_le_u32_e32 vcc_lo, s37, v10
	v_cndmask_b32_e32 v3, v3, v11, vcc_lo
	s_delay_alu instid0(VALU_DEP_1) | instskip(NEXT) | instid1(VALU_DEP_1)
	v_mul_lo_u32 v10, v3, s37
	v_sub_nc_u32_e32 v12, v12, v10
	s_delay_alu instid0(VALU_DEP_1) | instskip(NEXT) | instid1(VALU_DEP_1)
	v_mad_u64_u32 v[10:11], null, s38, v12, v[0:1]
	v_mov_b32_e32 v0, v10
	s_cbranch_scc1 .LBB116_21
.LBB116_22:                             ;   in Loop: Header=BB116_3 Depth=1
	s_set_inst_prefetch_distance 0x2
	s_delay_alu instid0(VALU_DEP_1)
	v_mad_u64_u32 v[12:13], null, s22, v3, v[0:1]
	v_mov_b32_e32 v13, v4
.LBB116_23:                             ;   in Loop: Header=BB116_3 Depth=1
	s_or_b32 exec_lo, exec_lo, s35
	v_mul_lo_u32 v0, v29, s21
	s_delay_alu instid0(VALU_DEP_1) | instskip(SKIP_1) | instid1(VALU_DEP_2)
	v_add_nc_u32_e32 v14, s21, v0
	v_cndmask_b32_e64 v3, 0, v0, s0
	v_add_nc_u32_e32 v0, s21, v14
	s_delay_alu instid0(VALU_DEP_2) | instskip(SKIP_1) | instid1(VALU_DEP_3)
	v_lshlrev_b64 v[10:11], 2, v[3:4]
	v_cndmask_b32_e64 v3, 0, v14, s1
	v_add_nc_u32_e32 v18, s21, v0
	s_delay_alu instid0(VALU_DEP_2) | instskip(SKIP_3) | instid1(VALU_DEP_3)
	v_lshlrev_b64 v[14:15], 2, v[3:4]
	v_cndmask_b32_e64 v3, 0, v0, s2
	v_add_co_u32 v10, vcc_lo, s8, v10
	v_add_co_ci_u32_e32 v11, vcc_lo, s9, v11, vcc_lo
	v_lshlrev_b64 v[16:17], 2, v[3:4]
	v_cndmask_b32_e64 v3, 0, v18, s3
	v_add_co_u32 v14, vcc_lo, s8, v14
	v_add_co_ci_u32_e32 v15, vcc_lo, s9, v15, vcc_lo
	s_delay_alu instid0(VALU_DEP_3) | instskip(SKIP_2) | instid1(VALU_DEP_3)
	v_lshlrev_b64 v[18:19], 2, v[3:4]
	v_add_co_u32 v16, vcc_lo, s8, v16
	v_add_co_ci_u32_e32 v17, vcc_lo, s9, v17, vcc_lo
	v_add_co_u32 v18, vcc_lo, s8, v18
	s_delay_alu instid0(VALU_DEP_4)
	v_add_co_ci_u32_e32 v19, vcc_lo, s9, v19, vcc_lo
	s_clause 0x3
	global_load_b32 v0, v[10:11], off
	global_load_b32 v3, v[14:15], off
	;; [unrolled: 1-line block ×4, first 2 shown]
	v_mov_b32_e32 v19, s5
	v_dual_mov_b32 v17, s7 :: v_dual_mov_b32 v16, s6
	v_mov_b32_e32 v18, s4
	s_and_not1_b32 vcc_lo, exec_lo, s24
	s_cbranch_vccnz .LBB116_25
; %bb.24:                               ;   in Loop: Header=BB116_3 Depth=1
	v_dual_mov_b32 v11, s7 :: v_dual_mov_b32 v10, s6
	v_dual_mov_b32 v15, s5 :: v_dual_mov_b32 v14, s4
	flat_load_b64 v[10:11], v[10:11]
	flat_load_b64 v[18:19], v[14:15]
	s_waitcnt vmcnt(1) lgkmcnt(1)
	v_add_co_u32 v16, vcc_lo, v10, s10
	v_add_co_ci_u32_e32 v17, vcc_lo, s11, v11, vcc_lo
.LBB116_25:                             ;   in Loop: Header=BB116_3 Depth=1
	s_delay_alu instid0(VALU_DEP_1)
	v_alignbit_b32 v20, v17, v16, 2
	v_lshrrev_b32_e32 v14, 2, v17
	s_waitcnt vmcnt(0) lgkmcnt(0)
	v_add_nc_u32_e32 v35, 0xbb67ae85, v19
	v_add_nc_u32_e32 v36, 0x3c6ef372, v18
	;; [unrolled: 1-line block ×3, first 2 shown]
	v_add_co_u32 v15, vcc_lo, v20, 1
	s_delay_alu instid0(VALU_DEP_1) | instskip(SKIP_4) | instid1(VALU_DEP_4)
	v_cndmask_b32_e64 v10, 0, 1, vcc_lo
	v_add_co_ci_u32_e32 v17, vcc_lo, 0, v14, vcc_lo
	v_xor3_b32 v22, v30, v18, v14
	v_add_nc_u32_e32 v39, 0xed9eba14, v19
	v_add_nc_u32_e32 v40, 0x1fd5c5a3, v19
	v_cmp_eq_u32_e32 vcc_lo, 0, v17
	s_mov_b32 s0, exec_lo
	v_dual_cndmask_b32 v21, 0, v10 :: v_dual_add_nc_u32 v38, 0x32370b8f, v19
	v_mad_u64_u32 v[10:11], null, 0xd2511f53, v15, 0
	v_mad_u64_u32 v[14:15], null, 0xd2511f53, v20, 0
	s_delay_alu instid0(VALU_DEP_3) | instskip(NEXT) | instid1(VALU_DEP_3)
	v_add_nc_u32_e32 v24, v21, v1
	v_xor_b32_e32 v11, v11, v19
	s_delay_alu instid0(VALU_DEP_2) | instskip(SKIP_1) | instid1(VALU_DEP_1)
	v_cmp_eq_u32_e32 vcc_lo, 0, v24
	v_dual_cndmask_b32 v21, 0, v21 :: v_dual_add_nc_u32 v34, 0x9e3779b9, v18
	v_xor_b32_e32 v11, v21, v11
	v_mad_u64_u32 v[20:21], null, 0xd2511f53, v22, 0
	v_mad_u64_u32 v[22:23], null, 0xcd9e8d57, v24, 0
	s_delay_alu instid0(VALU_DEP_3) | instskip(SKIP_1) | instid1(VALU_DEP_4)
	v_mad_u64_u32 v[24:25], null, 0xcd9e8d57, v11, 0
	v_xor_b32_e32 v11, v15, v19
	v_xor3_b32 v26, v35, v21, v14
	s_delay_alu instid0(VALU_DEP_2) | instskip(SKIP_2) | instid1(VALU_DEP_4)
	v_mad_u64_u32 v[14:15], null, 0xcd9e8d57, v11, 0
	v_xor3_b32 v11, v23, v18, v17
	v_xor3_b32 v17, v34, v25, v22
	v_mad_u64_u32 v[21:22], null, 0xcd9e8d57, v26, 0
	s_delay_alu instid0(VALU_DEP_3) | instskip(NEXT) | instid1(VALU_DEP_3)
	v_mad_u64_u32 v[25:26], null, 0xd2511f53, v11, 0
	v_mad_u64_u32 v[27:28], null, 0xd2511f53, v17, 0
	v_xor3_b32 v11, v2, v15, v34
	s_delay_alu instid0(VALU_DEP_4) | instskip(SKIP_2) | instid1(VALU_DEP_4)
	v_xor3_b32 v22, v36, v22, v14
	v_add_nc_u32_e32 v17, 0xdaa66d2b, v18
	v_xor3_b32 v26, v35, v26, v10
	v_mad_u64_u32 v[14:15], null, 0xd2511f53, v11, 0
	v_xor3_b32 v28, v37, v28, v25
	v_mad_u64_u32 v[10:11], null, 0xd2511f53, v22, 0
	s_delay_alu instid0(VALU_DEP_4) | instskip(NEXT) | instid1(VALU_DEP_3)
	v_mad_u64_u32 v[22:23], null, 0xcd9e8d57, v26, 0
	v_mad_u64_u32 v[25:26], null, 0xcd9e8d57, v28, 0
	v_xor3_b32 v20, v37, v15, v20
	v_add_nc_u32_e32 v28, 0x78dde6e4, v18
	v_xor3_b32 v11, v38, v11, v14
	s_delay_alu instid0(VALU_DEP_3) | instskip(SKIP_2) | instid1(VALU_DEP_4)
	v_mad_u64_u32 v[14:15], null, 0xcd9e8d57, v20, 0
	v_xor3_b32 v20, v36, v23, v24
	v_xor3_b32 v24, v17, v26, v22
	v_mad_u64_u32 v[22:23], null, 0xcd9e8d57, v11, 0
	s_delay_alu instid0(VALU_DEP_3) | instskip(NEXT) | instid1(VALU_DEP_3)
	v_mad_u64_u32 v[34:35], null, 0xd2511f53, v20, 0
	v_mad_u64_u32 v[36:37], null, 0xd2511f53, v24, 0
	v_xor3_b32 v11, v17, v15, v21
	s_delay_alu instid0(VALU_DEP_4) | instskip(SKIP_2) | instid1(VALU_DEP_4)
	v_xor3_b32 v20, v28, v23, v14
	v_add_nc_u32_e32 v17, 0x1715609d, v18
	v_add_nc_u32_e32 v24, 0xa9066899, v19
	v_mad_u64_u32 v[14:15], null, 0xd2511f53, v11, 0
	v_xor3_b32 v11, v38, v35, v27
	v_xor3_b32 v23, v39, v37, v34
	v_mad_u64_u32 v[26:27], null, 0xd2511f53, v20, 0
	v_add_nc_u32_e32 v35, 0xb54cda56, v18
	s_delay_alu instid0(VALU_DEP_4) | instskip(NEXT) | instid1(VALU_DEP_4)
	v_mad_u64_u32 v[20:21], null, 0xcd9e8d57, v11, 0
	v_mad_u64_u32 v[37:38], null, 0xcd9e8d57, v23, 0
	v_xor3_b32 v15, v39, v15, v10
	v_xor3_b32 v23, v24, v27, v14
	v_add_nc_u32_e32 v34, 0x646e171e, v19
	v_xor3_b32 v25, v28, v21, v25
	s_delay_alu instid0(VALU_DEP_4) | instskip(SKIP_2) | instid1(VALU_DEP_4)
	v_mad_u64_u32 v[10:11], null, 0xcd9e8d57, v15, 0
	v_xor3_b32 v27, v17, v38, v20
	v_mad_u64_u32 v[14:15], null, 0xcd9e8d57, v23, 0
	v_mad_u64_u32 v[20:21], null, 0xd2511f53, v25, 0
	s_delay_alu instid0(VALU_DEP_3) | instskip(SKIP_3) | instid1(VALU_DEP_3)
	v_mad_u64_u32 v[38:39], null, 0xd2511f53, v27, 0
	v_xor3_b32 v17, v17, v11, v22
	v_add_nc_u32_e32 v25, 0x5384540f, v18
	v_xor3_b32 v15, v35, v15, v10
	v_mad_u64_u32 v[10:11], null, 0xd2511f53, v17, 0
	v_xor3_b32 v17, v24, v21, v36
	v_xor3_b32 v22, v34, v39, v20
	s_delay_alu instid0(VALU_DEP_4) | instskip(NEXT) | instid1(VALU_DEP_3)
	v_mad_u64_u32 v[20:21], null, 0xd2511f53, v15, 0
	v_mad_u64_u32 v[27:28], null, 0xcd9e8d57, v17, 0
	s_delay_alu instid0(VALU_DEP_3) | instskip(SKIP_1) | instid1(VALU_DEP_4)
	v_mad_u64_u32 v[23:24], null, 0xcd9e8d57, v22, 0
	v_xor3_b32 v15, v34, v11, v26
	v_xor3_b32 v17, v40, v21, v10
	v_add_co_u32 v34, null, 0xf1bbcdc8, v18
	s_delay_alu instid0(VALU_DEP_3) | instskip(SKIP_4) | instid1(VALU_DEP_4)
	v_mad_u64_u32 v[10:11], null, 0xcd9e8d57, v15, 0
	v_xor3_b32 v15, v35, v28, v37
	v_xor3_b32 v24, v25, v24, v27
	v_mad_u64_u32 v[21:22], null, 0xcd9e8d57, v17, 0
	v_add_nc_u32_e32 v35, 0xdb3d7428, v19
	v_mad_u64_u32 v[36:37], null, 0xd2511f53, v15, 0
	s_delay_alu instid0(VALU_DEP_4) | instskip(SKIP_4) | instid1(VALU_DEP_4)
	v_mad_u64_u32 v[26:27], null, 0xd2511f53, v24, 0
	v_xor3_b32 v11, v25, v11, v14
	v_xor3_b32 v14, v34, v22, v10
	v_add_nc_u32_e32 v22, 0x8ff34781, v18
	v_xor3_b32 v15, v40, v37, v38
	v_mad_u64_u32 v[24:25], null, 0xd2511f53, v11, 0
	v_xor3_b32 v17, v35, v27, v36
	v_mad_u64_u32 v[10:11], null, 0xd2511f53, v14, 0
	s_delay_alu instid0(VALU_DEP_4) | instskip(NEXT) | instid1(VALU_DEP_3)
	v_mad_u64_u32 v[27:28], null, 0xcd9e8d57, v15, 0
	v_mad_u64_u32 v[14:15], null, 0xcd9e8d57, v17, 0
	v_add_nc_u32_e32 v36, 0x96a522ad, v19
	v_and_b32_e32 v19, 3, v16
                                        ; implicit-def: $vgpr17
	s_delay_alu instid0(VALU_DEP_2) | instskip(NEXT) | instid1(VALU_DEP_4)
	v_xor3_b32 v18, v11, v24, v36
	v_xor3_b32 v11, v15, v27, v22
	s_delay_alu instid0(VALU_DEP_3)
	v_cmpx_lt_i32_e32 1, v19
	s_xor_b32 s0, exec_lo, s0
	s_cbranch_execz .LBB116_31
; %bb.26:                               ;   in Loop: Header=BB116_3 Depth=1
	s_mov_b32 s1, exec_lo
                                        ; implicit-def: $vgpr17
	v_cmpx_lt_i32_e32 2, v19
	s_xor_b32 s1, exec_lo, s1
; %bb.27:                               ;   in Loop: Header=BB116_3 Depth=1
	v_xor3_b32 v15, v34, v28, v23
                                        ; implicit-def: $vgpr18
	s_delay_alu instid0(VALU_DEP_1) | instskip(NEXT) | instid1(VALU_DEP_1)
	v_mul_hi_u32 v15, 0xd2511f53, v15
	v_xor3_b32 v17, v15, v26, v36
; %bb.28:                               ;   in Loop: Header=BB116_3 Depth=1
	s_and_not1_saveexec_b32 s1, s1
; %bb.29:                               ;   in Loop: Header=BB116_3 Depth=1
	v_dual_mov_b32 v17, v14 :: v_dual_mov_b32 v14, v11
	v_mov_b32_e32 v11, v10
	v_mov_b32_e32 v10, v18
; %bb.30:                               ;   in Loop: Header=BB116_3 Depth=1
	s_or_b32 exec_lo, exec_lo, s1
                                        ; implicit-def: $vgpr20_vgpr21
                                        ; implicit-def: $vgpr19
                                        ; implicit-def: $vgpr18
                                        ; implicit-def: $vgpr35
                                        ; implicit-def: $vgpr24_vgpr25
                                        ; implicit-def: $vgpr21_vgpr22
                                        ; implicit-def: $vgpr22
.LBB116_31:                             ;   in Loop: Header=BB116_3 Depth=1
	s_and_not1_saveexec_b32 s0, s0
	s_cbranch_execz .LBB116_35
; %bb.32:                               ;   in Loop: Header=BB116_3 Depth=1
	v_xor3_b32 v14, v35, v25, v20
	v_cmp_eq_u32_e32 vcc_lo, 1, v19
	s_delay_alu instid0(VALU_DEP_2) | instskip(SKIP_2) | instid1(VALU_DEP_3)
	v_mad_u64_u32 v[15:16], null, 0xcd9e8d57, v14, 0
	v_mov_b32_e32 v17, v10
	v_mov_b32_e32 v14, v18
	v_xor3_b32 v19, v16, v21, v22
	s_delay_alu instid0(VALU_DEP_4)
	v_mov_b32_e32 v16, v15
	s_and_saveexec_b32 s1, vcc_lo
; %bb.33:                               ;   in Loop: Header=BB116_3 Depth=1
	v_dual_mov_b32 v17, v11 :: v_dual_mov_b32 v14, v10
	v_dual_mov_b32 v16, v18 :: v_dual_mov_b32 v19, v15
; %bb.34:                               ;   in Loop: Header=BB116_3 Depth=1
	s_or_b32 exec_lo, exec_lo, s1
	s_delay_alu instid0(VALU_DEP_1)
	v_dual_mov_b32 v10, v19 :: v_dual_mov_b32 v11, v16
.LBB116_35:                             ;   in Loop: Header=BB116_3 Depth=1
	s_or_b32 exec_lo, exec_lo, s0
	v_min_i32_e32 v15, 4, v31
	s_mov_b32 s1, 0
	s_mov_b32 s36, 0
	;; [unrolled: 1-line block ×3, first 2 shown]
                                        ; implicit-def: $sgpr3
                                        ; implicit-def: $sgpr18
                                        ; implicit-def: $sgpr19
	s_mov_b32 s0, exec_lo
	v_cmpx_lt_i32_e32 2, v15
	s_xor_b32 s35, exec_lo, s0
	s_cbranch_execz .LBB116_47
; %bb.36:                               ;   in Loop: Header=BB116_3 Depth=1
	s_mov_b32 s0, -1
	s_mov_b32 s37, 0
	s_mov_b32 s18, exec_lo
                                        ; implicit-def: $sgpr2
                                        ; implicit-def: $sgpr3
	v_cmpx_lt_i32_e32 3, v15
	s_cbranch_execz .LBB116_42
; %bb.37:                               ;   in Loop: Header=BB116_3 Depth=1
	s_mov_b32 s0, 0
	s_mov_b32 s37, -1
	s_mov_b32 s19, exec_lo
                                        ; implicit-def: $sgpr2
                                        ; implicit-def: $sgpr3
	v_cmpx_eq_u32_e32 4, v15
	s_cbranch_execz .LBB116_41
; %bb.38:                               ;   in Loop: Header=BB116_3 Depth=1
	v_cmp_le_f32_e32 vcc_lo, 0, v33
	v_cmp_ge_f32_e64 s0, 1.0, v33
	s_mov_b32 s2, 0
	s_delay_alu instid0(VALU_DEP_1)
	s_and_b32 s37, vcc_lo, s0
	s_mov_b32 s0, 0
	s_and_saveexec_b32 s3, s37
	s_cbranch_execz .LBB116_40
; %bb.39:                               ;   in Loop: Header=BB116_3 Depth=1
	v_cvt_f32_u32_e32 v16, v17
	v_add_co_u32 v12, vcc_lo, s12, v12
	v_add_co_ci_u32_e32 v13, vcc_lo, s13, v13, vcc_lo
	s_delay_alu instid0(VALU_DEP_3) | instskip(SKIP_1) | instid1(VALU_DEP_1)
	v_fmaak_f32 v16, 0x2f800000, v16, 0x2f800000
	s_mov_b32 s0, exec_lo
	v_cmp_le_f32_e32 vcc_lo, v16, v33
	v_cndmask_b32_e64 v16, 0, 1, vcc_lo
	global_store_b8 v[12:13], v16, off
.LBB116_40:                             ;   in Loop: Header=BB116_3 Depth=1
	s_or_b32 exec_lo, exec_lo, s3
	s_mov_b32 s3, -1
	s_xor_b32 s37, exec_lo, -1
	s_and_b32 s0, s0, exec_lo
.LBB116_41:                             ;   in Loop: Header=BB116_3 Depth=1
	s_or_b32 exec_lo, exec_lo, s19
	s_delay_alu instid0(SALU_CYCLE_1)
	s_and_b32 s37, s37, exec_lo
	s_or_not1_b32 s0, s0, exec_lo
.LBB116_42:                             ;   in Loop: Header=BB116_3 Depth=1
	s_or_b32 exec_lo, exec_lo, s18
	s_mov_b32 s19, s2
	s_and_saveexec_b32 s18, s0
	s_cbranch_execz .LBB116_46
; %bb.43:                               ;   in Loop: Header=BB116_3 Depth=1
	v_cmp_le_f32_e32 vcc_lo, 0, v32
	v_cmp_ge_f32_e64 s0, 1.0, v32
	s_delay_alu instid0(VALU_DEP_1) | instskip(SKIP_2) | instid1(SALU_CYCLE_1)
	s_and_b32 s19, vcc_lo, s0
	s_mov_b32 s0, 0
	s_and_saveexec_b32 s36, s19
	s_xor_b32 s19, exec_lo, s36
	s_cbranch_execz .LBB116_45
; %bb.44:                               ;   in Loop: Header=BB116_3 Depth=1
	v_cvt_f32_u32_e32 v12, v14
	v_add_co_u32 v8, vcc_lo, s12, v8
	v_add_co_ci_u32_e32 v9, vcc_lo, s13, v9, vcc_lo
	s_delay_alu instid0(VALU_DEP_3) | instskip(SKIP_1) | instid1(VALU_DEP_1)
	v_fmaak_f32 v12, 0x2f800000, v12, 0x2f800000
	s_mov_b32 s0, exec_lo
	v_cmp_le_f32_e32 vcc_lo, v12, v32
	v_cndmask_b32_e64 v12, 0, 1, vcc_lo
	global_store_b8 v[8:9], v12, off
.LBB116_45:                             ;   in Loop: Header=BB116_3 Depth=1
	s_or_b32 exec_lo, exec_lo, s19
	s_delay_alu instid0(SALU_CYCLE_1)
	s_and_not1_b32 s19, s2, exec_lo
	s_or_b32 s2, s2, exec_lo
	s_and_not1_b32 s3, s3, exec_lo
	s_and_b32 s36, s0, exec_lo
.LBB116_46:                             ;   in Loop: Header=BB116_3 Depth=1
	s_or_b32 exec_lo, exec_lo, s18
	s_delay_alu instid0(SALU_CYCLE_1)
	s_and_b32 s19, s19, exec_lo
	s_and_b32 s18, s2, exec_lo
	;; [unrolled: 1-line block ×5, first 2 shown]
.LBB116_47:                             ;   in Loop: Header=BB116_3 Depth=1
	s_and_not1_saveexec_b32 s0, s35
; %bb.48:                               ;   in Loop: Header=BB116_3 Depth=1
	v_cmp_lt_i32_e32 vcc_lo, 1, v15
	s_and_not1_b32 s35, s36, exec_lo
	s_mov_b32 s1, exec_lo
	s_and_not1_b32 s19, s19, exec_lo
	s_and_not1_b32 s18, s18, exec_lo
	s_and_b32 s36, vcc_lo, exec_lo
	s_and_not1_b32 s3, s3, exec_lo
	s_or_b32 s36, s35, s36
; %bb.49:                               ;   in Loop: Header=BB116_3 Depth=1
	s_or_b32 exec_lo, exec_lo, s0
	s_mov_b32 s0, 0
	s_mov_b32 s35, s19
	s_and_saveexec_b32 s37, s36
	s_cbranch_execnz .LBB116_52
; %bb.50:                               ;   in Loop: Header=BB116_3 Depth=1
	s_or_b32 exec_lo, exec_lo, s37
	s_and_saveexec_b32 s36, s1
	s_cbranch_execnz .LBB116_55
.LBB116_51:                             ;   in Loop: Header=BB116_3 Depth=1
	s_or_b32 exec_lo, exec_lo, s36
	s_and_saveexec_b32 s1, s0
	s_cbranch_execnz .LBB116_56
	s_branch .LBB116_59
.LBB116_52:                             ;   in Loop: Header=BB116_3 Depth=1
	v_cmp_le_f32_e32 vcc_lo, 0, v3
	v_cmp_ge_f32_e64 s0, 1.0, v3
	s_delay_alu instid0(VALU_DEP_1) | instskip(SKIP_2) | instid1(SALU_CYCLE_1)
	s_and_b32 s35, vcc_lo, s0
	s_mov_b32 s0, 0
	s_and_saveexec_b32 s36, s35
	s_xor_b32 s35, exec_lo, s36
	s_cbranch_execz .LBB116_54
; %bb.53:                               ;   in Loop: Header=BB116_3 Depth=1
	v_cvt_f32_u32_e32 v8, v11
	v_add_co_u32 v6, vcc_lo, s12, v6
	v_add_co_ci_u32_e32 v7, vcc_lo, s13, v7, vcc_lo
	s_delay_alu instid0(VALU_DEP_3) | instskip(SKIP_1) | instid1(VALU_DEP_1)
	v_fmaak_f32 v8, 0x2f800000, v8, 0x2f800000
	s_mov_b32 s0, exec_lo
	v_cmp_le_f32_e32 vcc_lo, v8, v3
	v_cndmask_b32_e64 v3, 0, 1, vcc_lo
	global_store_b8 v[6:7], v3, off
.LBB116_54:                             ;   in Loop: Header=BB116_3 Depth=1
	s_or_b32 exec_lo, exec_lo, s35
	s_delay_alu instid0(SALU_CYCLE_1)
	s_and_not1_b32 s35, s19, exec_lo
	s_or_b32 s19, s19, exec_lo
	s_and_not1_b32 s18, s18, exec_lo
	s_and_not1_b32 s3, s3, exec_lo
	s_and_b32 s0, s0, exec_lo
	s_and_not1_b32 s1, s1, exec_lo
	s_or_b32 exec_lo, exec_lo, s37
	s_and_saveexec_b32 s36, s1
	s_cbranch_execz .LBB116_51
.LBB116_55:                             ;   in Loop: Header=BB116_3 Depth=1
	v_cmp_eq_u32_e32 vcc_lo, 1, v15
	s_and_not1_b32 s0, s0, exec_lo
	s_and_not1_b32 s35, s35, exec_lo
	s_and_not1_b32 s19, s19, exec_lo
	s_and_not1_b32 s18, s18, exec_lo
	s_and_b32 s1, vcc_lo, exec_lo
	s_and_not1_b32 s3, s3, exec_lo
	s_or_b32 s2, s2, exec_lo
	s_or_b32 s0, s0, s1
	s_or_b32 exec_lo, exec_lo, s36
	s_and_saveexec_b32 s1, s0
	s_cbranch_execz .LBB116_59
.LBB116_56:                             ;   in Loop: Header=BB116_3 Depth=1
	v_cmp_le_f32_e32 vcc_lo, 0, v0
	v_cmp_ge_f32_e64 s0, 1.0, v0
	s_delay_alu instid0(VALU_DEP_1)
	s_and_b32 s37, vcc_lo, s0
	s_mov_b32 s0, 0
	s_and_saveexec_b32 s36, s37
	s_cbranch_execz .LBB116_58
; %bb.57:                               ;   in Loop: Header=BB116_3 Depth=1
	v_cvt_f32_u32_e32 v3, v10
	s_mov_b32 s0, exec_lo
	s_delay_alu instid0(VALU_DEP_1) | instskip(NEXT) | instid1(VALU_DEP_1)
	v_fmaak_f32 v3, 0x2f800000, v3, 0x2f800000
	v_cmp_le_f32_e32 vcc_lo, v3, v0
	v_cndmask_b32_e64 v0, 0, 1, vcc_lo
	global_store_b8 v5, v0, s[12:13]
.LBB116_58:                             ;   in Loop: Header=BB116_3 Depth=1
	s_or_b32 exec_lo, exec_lo, s36
	s_delay_alu instid0(SALU_CYCLE_1)
	s_and_not1_b32 s2, s2, exec_lo
	s_and_b32 s0, s0, exec_lo
	s_or_b32 s35, s35, exec_lo
	s_and_not1_b32 s19, s19, exec_lo
	s_and_not1_b32 s18, s18, exec_lo
	;; [unrolled: 1-line block ×3, first 2 shown]
	s_or_b32 s2, s2, s0
.LBB116_59:                             ;   in Loop: Header=BB116_3 Depth=1
	s_or_b32 exec_lo, exec_lo, s1
	s_delay_alu instid0(SALU_CYCLE_1)
	s_and_not1_b32 s1, s34, exec_lo
	s_and_b32 s34, s35, exec_lo
	s_and_not1_b32 s31, s31, exec_lo
	s_and_b32 s19, s19, exec_lo
	s_or_b32 s34, s1, s34
	s_or_b32 s31, s31, s19
	s_and_not1_b32 s1, s33, exec_lo
	s_and_b32 s18, s18, exec_lo
	s_and_not1_b32 s19, s30, exec_lo
	s_and_b32 s3, s3, exec_lo
	s_mov_b32 s0, -1
	s_or_b32 s33, s1, s18
	s_or_b32 s30, s19, s3
	s_and_saveexec_b32 s1, s2
	s_cbranch_execz .LBB116_2
; %bb.60:                               ;   in Loop: Header=BB116_3 Depth=1
	v_add_nc_u32_e32 v29, s25, v29
	s_and_not1_b32 s34, s34, exec_lo
	s_and_not1_b32 s31, s31, exec_lo
	;; [unrolled: 1-line block ×4, first 2 shown]
	v_cmp_le_u32_e32 vcc_lo, s20, v29
	s_or_not1_b32 s0, vcc_lo, exec_lo
	s_branch .LBB116_2
.LBB116_61:
	s_or_b32 exec_lo, exec_lo, s15
	s_xor_b32 s3, s28, -1
	s_xor_b32 s4, s29, -1
	;; [unrolled: 1-line block ×3, first 2 shown]
	s_mov_b32 s1, 0
	s_and_saveexec_b32 s2, s0
	s_delay_alu instid0(SALU_CYCLE_1)
	s_xor_b32 s0, exec_lo, s2
	s_cbranch_execz .LBB116_70
; %bb.62:
	s_mov_b32 s2, 0
	s_and_saveexec_b32 s1, s4
	s_delay_alu instid0(SALU_CYCLE_1)
	s_xor_b32 s1, exec_lo, s1
	s_cbranch_execz .LBB116_68
; %bb.63:
	s_and_saveexec_b32 s4, s3
	s_delay_alu instid0(SALU_CYCLE_1)
	s_xor_b32 s3, exec_lo, s4
	s_cbranch_execz .LBB116_66
; %bb.64:
	s_and_saveexec_b32 s4, s14
	s_delay_alu instid0(SALU_CYCLE_1)
	s_xor_b32 s4, exec_lo, s4
	s_cbranch_execnz .LBB116_84
.LBB116_65:
	s_or_b32 exec_lo, exec_lo, s4
	s_delay_alu instid0(SALU_CYCLE_1)
	s_and_b32 s2, s2, exec_lo
.LBB116_66:
	s_and_not1_saveexec_b32 s3, s3
	s_cbranch_execnz .LBB116_80
.LBB116_67:
	s_or_b32 exec_lo, exec_lo, s3
	s_delay_alu instid0(SALU_CYCLE_1)
	s_and_b32 s2, s2, exec_lo
.LBB116_68:
	s_and_not1_saveexec_b32 s1, s1
	s_cbranch_execnz .LBB116_76
.LBB116_69:
	s_or_b32 exec_lo, exec_lo, s1
	s_delay_alu instid0(SALU_CYCLE_1)
	s_and_b32 s1, s2, exec_lo
.LBB116_70:
	s_and_not1_saveexec_b32 s0, s0
	s_cbranch_execnz .LBB116_74
; %bb.71:
	s_or_b32 exec_lo, exec_lo, s0
	s_delay_alu instid0(SALU_CYCLE_1)
	s_and_b32 exec_lo, exec_lo, s1
.LBB116_72:
	; divergent unreachable
.LBB116_73:
	s_nop 0
	s_sendmsg sendmsg(MSG_DEALLOC_VGPRS)
	s_endpgm
.LBB116_74:
	s_cbranch_execnz .LBB116_78
; %bb.75:
	s_or_b32 s1, s1, exec_lo
	s_or_b32 exec_lo, exec_lo, s0
	s_delay_alu instid0(SALU_CYCLE_1)
	s_and_b32 exec_lo, exec_lo, s1
	s_cbranch_execnz .LBB116_72
	s_branch .LBB116_73
.LBB116_76:
	s_cbranch_execnz .LBB116_82
; %bb.77:
	s_or_b32 s2, s2, exec_lo
	s_branch .LBB116_69
.LBB116_78:
	s_trap 2
	s_sendmsg_rtn_b32 s0, sendmsg(MSG_RTN_GET_DOORBELL)
	s_mov_b32 ttmp2, m0
	s_waitcnt lgkmcnt(0)
	s_and_b32 s0, s0, 0x3ff
	s_delay_alu instid0(SALU_CYCLE_1) | instskip(NEXT) | instid1(SALU_CYCLE_1)
	s_bitset1_b32 s0, 10
	s_mov_b32 m0, s0
	s_sendmsg sendmsg(MSG_INTERRUPT)
	s_mov_b32 m0, ttmp2
.LBB116_79:                             ; =>This Inner Loop Header: Depth=1
	s_sethalt 5
	s_branch .LBB116_79
.LBB116_80:
	s_cbranch_execnz .LBB116_86
; %bb.81:
	s_or_b32 s2, s2, exec_lo
	s_branch .LBB116_67
.LBB116_82:
	s_trap 2
	s_sendmsg_rtn_b32 s0, sendmsg(MSG_RTN_GET_DOORBELL)
	s_mov_b32 ttmp2, m0
	s_waitcnt lgkmcnt(0)
	s_and_b32 s0, s0, 0x3ff
	s_delay_alu instid0(SALU_CYCLE_1) | instskip(NEXT) | instid1(SALU_CYCLE_1)
	s_bitset1_b32 s0, 10
	s_mov_b32 m0, s0
	s_sendmsg sendmsg(MSG_INTERRUPT)
	s_mov_b32 m0, ttmp2
.LBB116_83:                             ; =>This Inner Loop Header: Depth=1
	s_sethalt 5
	s_branch .LBB116_83
.LBB116_84:
	s_cbranch_execnz .LBB116_88
; %bb.85:
	s_mov_b32 s2, exec_lo
	s_branch .LBB116_65
.LBB116_86:
	s_trap 2
	s_sendmsg_rtn_b32 s0, sendmsg(MSG_RTN_GET_DOORBELL)
	s_mov_b32 ttmp2, m0
	s_waitcnt lgkmcnt(0)
	s_and_b32 s0, s0, 0x3ff
	s_delay_alu instid0(SALU_CYCLE_1) | instskip(NEXT) | instid1(SALU_CYCLE_1)
	s_bitset1_b32 s0, 10
	s_mov_b32 m0, s0
	s_sendmsg sendmsg(MSG_INTERRUPT)
	s_mov_b32 m0, ttmp2
.LBB116_87:                             ; =>This Inner Loop Header: Depth=1
	s_sethalt 5
	s_branch .LBB116_87
.LBB116_88:
	s_trap 2
	s_sendmsg_rtn_b32 s0, sendmsg(MSG_RTN_GET_DOORBELL)
	s_mov_b32 ttmp2, m0
	s_waitcnt lgkmcnt(0)
	s_and_b32 s0, s0, 0x3ff
	s_delay_alu instid0(SALU_CYCLE_1) | instskip(NEXT) | instid1(SALU_CYCLE_1)
	s_bitset1_b32 s0, 10
	s_mov_b32 m0, s0
	s_sendmsg sendmsg(MSG_INTERRUPT)
	s_mov_b32 m0, ttmp2
.LBB116_89:                             ; =>This Inner Loop Header: Depth=1
	s_sethalt 5
	s_branch .LBB116_89
	.section	.rodata,"a",@progbits
	.p2align	6, 0x0
	.amdhsa_kernel _ZN2at4cuda12_GLOBAL__N_121kernelPointwiseApply2IZNS_6native9templates4cuda28bernoulli_tensor_cuda_kernelIbfEEvRKNS_10TensorBaseES9_NS_15PhiloxCudaStateEEUliRbSB_SB_SB_RKfSD_SD_SD_E_bSC_jLin1ELi1ELi4ELi512ELi2EEEvNS0_6detail10TensorInfoIT0_T2_EENSG_IT1_SI_EESI_T_
		.amdhsa_group_segment_fixed_size 0
		.amdhsa_private_segment_fixed_size 0
		.amdhsa_kernarg_size 728
		.amdhsa_user_sgpr_count 15
		.amdhsa_user_sgpr_dispatch_ptr 0
		.amdhsa_user_sgpr_queue_ptr 0
		.amdhsa_user_sgpr_kernarg_segment_ptr 1
		.amdhsa_user_sgpr_dispatch_id 0
		.amdhsa_user_sgpr_private_segment_size 0
		.amdhsa_wavefront_size32 1
		.amdhsa_uses_dynamic_stack 0
		.amdhsa_enable_private_segment 0
		.amdhsa_system_sgpr_workgroup_id_x 1
		.amdhsa_system_sgpr_workgroup_id_y 0
		.amdhsa_system_sgpr_workgroup_id_z 0
		.amdhsa_system_sgpr_workgroup_info 0
		.amdhsa_system_vgpr_workitem_id 0
		.amdhsa_next_free_vgpr 41
		.amdhsa_next_free_sgpr 40
		.amdhsa_reserve_vcc 1
		.amdhsa_float_round_mode_32 0
		.amdhsa_float_round_mode_16_64 0
		.amdhsa_float_denorm_mode_32 3
		.amdhsa_float_denorm_mode_16_64 3
		.amdhsa_dx10_clamp 1
		.amdhsa_ieee_mode 1
		.amdhsa_fp16_overflow 0
		.amdhsa_workgroup_processor_mode 1
		.amdhsa_memory_ordered 1
		.amdhsa_forward_progress 0
		.amdhsa_shared_vgpr_count 0
		.amdhsa_exception_fp_ieee_invalid_op 0
		.amdhsa_exception_fp_denorm_src 0
		.amdhsa_exception_fp_ieee_div_zero 0
		.amdhsa_exception_fp_ieee_overflow 0
		.amdhsa_exception_fp_ieee_underflow 0
		.amdhsa_exception_fp_ieee_inexact 0
		.amdhsa_exception_int_div_zero 0
	.end_amdhsa_kernel
	.section	.text._ZN2at4cuda12_GLOBAL__N_121kernelPointwiseApply2IZNS_6native9templates4cuda28bernoulli_tensor_cuda_kernelIbfEEvRKNS_10TensorBaseES9_NS_15PhiloxCudaStateEEUliRbSB_SB_SB_RKfSD_SD_SD_E_bSC_jLin1ELi1ELi4ELi512ELi2EEEvNS0_6detail10TensorInfoIT0_T2_EENSG_IT1_SI_EESI_T_,"axG",@progbits,_ZN2at4cuda12_GLOBAL__N_121kernelPointwiseApply2IZNS_6native9templates4cuda28bernoulli_tensor_cuda_kernelIbfEEvRKNS_10TensorBaseES9_NS_15PhiloxCudaStateEEUliRbSB_SB_SB_RKfSD_SD_SD_E_bSC_jLin1ELi1ELi4ELi512ELi2EEEvNS0_6detail10TensorInfoIT0_T2_EENSG_IT1_SI_EESI_T_,comdat
.Lfunc_end116:
	.size	_ZN2at4cuda12_GLOBAL__N_121kernelPointwiseApply2IZNS_6native9templates4cuda28bernoulli_tensor_cuda_kernelIbfEEvRKNS_10TensorBaseES9_NS_15PhiloxCudaStateEEUliRbSB_SB_SB_RKfSD_SD_SD_E_bSC_jLin1ELi1ELi4ELi512ELi2EEEvNS0_6detail10TensorInfoIT0_T2_EENSG_IT1_SI_EESI_T_, .Lfunc_end116-_ZN2at4cuda12_GLOBAL__N_121kernelPointwiseApply2IZNS_6native9templates4cuda28bernoulli_tensor_cuda_kernelIbfEEvRKNS_10TensorBaseES9_NS_15PhiloxCudaStateEEUliRbSB_SB_SB_RKfSD_SD_SD_E_bSC_jLin1ELi1ELi4ELi512ELi2EEEvNS0_6detail10TensorInfoIT0_T2_EENSG_IT1_SI_EESI_T_
                                        ; -- End function
	.section	.AMDGPU.csdata,"",@progbits
; Kernel info:
; codeLenInByte = 4196
; NumSgprs: 42
; NumVgprs: 41
; ScratchSize: 0
; MemoryBound: 0
; FloatMode: 240
; IeeeMode: 1
; LDSByteSize: 0 bytes/workgroup (compile time only)
; SGPRBlocks: 5
; VGPRBlocks: 5
; NumSGPRsForWavesPerEU: 42
; NumVGPRsForWavesPerEU: 41
; Occupancy: 16
; WaveLimiterHint : 1
; COMPUTE_PGM_RSRC2:SCRATCH_EN: 0
; COMPUTE_PGM_RSRC2:USER_SGPR: 15
; COMPUTE_PGM_RSRC2:TRAP_HANDLER: 0
; COMPUTE_PGM_RSRC2:TGID_X_EN: 1
; COMPUTE_PGM_RSRC2:TGID_Y_EN: 0
; COMPUTE_PGM_RSRC2:TGID_Z_EN: 0
; COMPUTE_PGM_RSRC2:TIDIG_COMP_CNT: 0
	.section	.text._ZN2at4cuda12_GLOBAL__N_121kernelPointwiseApply2IZNS_6native9templates4cuda28bernoulli_tensor_cuda_kernelIbfEEvRKNS_10TensorBaseES9_NS_15PhiloxCudaStateEEUliRbSB_SB_SB_RKfSD_SD_SD_E_bSC_jLin1ELi2ELi4ELi512ELi2EEEvNS0_6detail10TensorInfoIT0_T2_EENSG_IT1_SI_EESI_T_,"axG",@progbits,_ZN2at4cuda12_GLOBAL__N_121kernelPointwiseApply2IZNS_6native9templates4cuda28bernoulli_tensor_cuda_kernelIbfEEvRKNS_10TensorBaseES9_NS_15PhiloxCudaStateEEUliRbSB_SB_SB_RKfSD_SD_SD_E_bSC_jLin1ELi2ELi4ELi512ELi2EEEvNS0_6detail10TensorInfoIT0_T2_EENSG_IT1_SI_EESI_T_,comdat
	.globl	_ZN2at4cuda12_GLOBAL__N_121kernelPointwiseApply2IZNS_6native9templates4cuda28bernoulli_tensor_cuda_kernelIbfEEvRKNS_10TensorBaseES9_NS_15PhiloxCudaStateEEUliRbSB_SB_SB_RKfSD_SD_SD_E_bSC_jLin1ELi2ELi4ELi512ELi2EEEvNS0_6detail10TensorInfoIT0_T2_EENSG_IT1_SI_EESI_T_ ; -- Begin function _ZN2at4cuda12_GLOBAL__N_121kernelPointwiseApply2IZNS_6native9templates4cuda28bernoulli_tensor_cuda_kernelIbfEEvRKNS_10TensorBaseES9_NS_15PhiloxCudaStateEEUliRbSB_SB_SB_RKfSD_SD_SD_E_bSC_jLin1ELi2ELi4ELi512ELi2EEEvNS0_6detail10TensorInfoIT0_T2_EENSG_IT1_SI_EESI_T_
	.p2align	8
	.type	_ZN2at4cuda12_GLOBAL__N_121kernelPointwiseApply2IZNS_6native9templates4cuda28bernoulli_tensor_cuda_kernelIbfEEvRKNS_10TensorBaseES9_NS_15PhiloxCudaStateEEUliRbSB_SB_SB_RKfSD_SD_SD_E_bSC_jLin1ELi2ELi4ELi512ELi2EEEvNS0_6detail10TensorInfoIT0_T2_EENSG_IT1_SI_EESI_T_,@function
_ZN2at4cuda12_GLOBAL__N_121kernelPointwiseApply2IZNS_6native9templates4cuda28bernoulli_tensor_cuda_kernelIbfEEvRKNS_10TensorBaseES9_NS_15PhiloxCudaStateEEUliRbSB_SB_SB_RKfSD_SD_SD_E_bSC_jLin1ELi2ELi4ELi512ELi2EEEvNS0_6detail10TensorInfoIT0_T2_EENSG_IT1_SI_EESI_T_: ; @_ZN2at4cuda12_GLOBAL__N_121kernelPointwiseApply2IZNS_6native9templates4cuda28bernoulli_tensor_cuda_kernelIbfEEvRKNS_10TensorBaseES9_NS_15PhiloxCudaStateEEUliRbSB_SB_SB_RKfSD_SD_SD_E_bSC_jLin1ELi2ELi4ELi512ELi2EEEvNS0_6detail10TensorInfoIT0_T2_EENSG_IT1_SI_EESI_T_
; %bb.0:
	s_clause 0x1
	s_load_b32 s2, s[0:1], 0x1e4
	s_load_b32 s20, s[0:1], 0x1b0
	s_add_u32 s4, s0, 0x1d8
	s_addc_u32 s5, s1, 0
	s_waitcnt lgkmcnt(0)
	s_and_b32 s12, s2, 0xffff
	s_mov_b32 s2, exec_lo
	v_mad_u64_u32 v[1:2], null, s15, s12, v[0:1]
	s_delay_alu instid0(VALU_DEP_1) | instskip(NEXT) | instid1(VALU_DEP_1)
	v_lshlrev_b32_e32 v28, 2, v1
	v_cmpx_gt_u32_e64 s20, v28
	s_cbranch_execz .LBB117_81
; %bb.1:
	s_clause 0x3
	s_load_b32 s21, s[0:1], 0xe4
	s_load_b32 s18, s[0:1], 0xd0
	s_load_b64 s[2:3], s[0:1], 0x144
	s_load_b32 s6, s[0:1], 0x1d0
	v_mad_u64_u32 v[2:3], null, 0xcd9e8d57, v1, 0
	s_load_b32 s16, s[4:5], 0x0
	s_clause 0x2
	s_load_b32 s22, s[0:1], 0x6c
	s_load_b64 s[8:9], s[0:1], 0xd8
	s_load_b64 s[14:15], s[0:1], 0x0
	v_mov_b32_e32 v4, 0
                                        ; implicit-def: $sgpr26
                                        ; implicit-def: $sgpr28
                                        ; implicit-def: $sgpr27
                                        ; implicit-def: $sgpr29
                                        ; implicit-def: $sgpr31
                                        ; implicit-def: $sgpr30
                                        ; implicit-def: $sgpr33
	s_delay_alu instid0(VALU_DEP_2)
	v_mov_b32_e32 v29, v3
	s_waitcnt lgkmcnt(0)
	v_cvt_f32_u32_e32 v0, s21
	s_cmp_gt_i32 s18, 1
	s_cselect_b32 s23, -1, 0
	s_bitcmp1_b32 s6, 0
	s_delay_alu instid0(VALU_DEP_1)
	v_rcp_iflag_f32_e32 v0, v0
	s_cselect_b32 s24, -1, 0
	s_sub_i32 s13, 0, s21
	s_clause 0x1
	s_load_b64 s[10:11], s[0:1], 0x1c8
	s_load_b128 s[4:7], s[0:1], 0x1b8
	s_mul_i32 s16, s16, s12
	s_add_i32 s12, s18, -1
	s_lshl_b32 s25, s16, 2
	s_waitcnt_depctr 0xfff
	v_mul_f32_e32 v0, 0x4f7ffffe, v0
	s_delay_alu instid0(VALU_DEP_1) | instskip(NEXT) | instid1(VALU_DEP_1)
	v_cvt_u32_f32_e32 v0, v0
	v_mul_lo_u32 v5, s13, v0
	s_mov_b32 s13, 0
	s_delay_alu instid0(SALU_CYCLE_1) | instskip(SKIP_4) | instid1(VALU_DEP_1)
	s_lshl_b64 s[16:17], s[12:13], 2
	s_add_i32 s12, s18, 1
	s_add_u32 s0, s16, s0
	s_addc_u32 s1, s17, s1
	s_add_u32 s16, s0, 8
	v_mul_hi_u32 v5, v0, v5
	s_addc_u32 s17, s1, 0
                                        ; implicit-def: $sgpr1
	s_delay_alu instid0(VALU_DEP_1)
	v_add_nc_u32_e32 v30, v0, v5
	s_branch .LBB117_3
.LBB117_2:                              ;   in Loop: Header=BB117_3 Depth=1
	s_or_b32 exec_lo, exec_lo, s18
	s_delay_alu instid0(SALU_CYCLE_1) | instskip(NEXT) | instid1(SALU_CYCLE_1)
	s_and_b32 s0, exec_lo, s0
	s_or_b32 s13, s0, s13
	s_and_not1_b32 s0, s1, exec_lo
	s_and_b32 s1, s33, exec_lo
	s_and_not1_b32 s18, s27, exec_lo
	s_and_b32 s19, s30, exec_lo
	s_or_b32 s1, s0, s1
	s_or_b32 s27, s18, s19
	s_and_not1_b32 s0, s28, exec_lo
	s_and_b32 s18, s31, exec_lo
	s_and_not1_b32 s19, s26, exec_lo
	s_and_b32 s26, s29, exec_lo
	s_or_b32 s28, s0, s18
	s_or_b32 s26, s19, s26
	s_and_not1_b32 exec_lo, exec_lo, s13
	s_cbranch_execz .LBB117_69
.LBB117_3:                              ; =>This Loop Header: Depth=1
                                        ;     Child Loop BB117_6 Depth 2
                                        ;     Child Loop BB117_13 Depth 2
	;; [unrolled: 1-line block ×4, first 2 shown]
	v_sub_nc_u32_e32 v31, s20, v28
	v_mov_b32_e32 v5, 0
	s_delay_alu instid0(VALU_DEP_2) | instskip(NEXT) | instid1(VALU_DEP_1)
	v_cmp_lt_i32_e64 s0, 0, v31
	s_and_saveexec_b32 s34, s0
	s_cbranch_execz .LBB117_8
; %bb.4:                                ;   in Loop: Header=BB117_3 Depth=1
	v_dual_mov_b32 v0, 0 :: v_dual_mov_b32 v3, v28
	s_and_not1_b32 vcc_lo, exec_lo, s23
	s_cbranch_vccnz .LBB117_7
; %bb.5:                                ;   in Loop: Header=BB117_3 Depth=1
	v_dual_mov_b32 v0, 0 :: v_dual_mov_b32 v3, v28
	s_mov_b64 s[18:19], s[16:17]
	s_mov_b32 s35, s12
	s_set_inst_prefetch_distance 0x1
	.p2align	6
.LBB117_6:                              ;   Parent Loop BB117_3 Depth=1
                                        ; =>  This Inner Loop Header: Depth=2
	s_clause 0x1
	s_load_b32 s36, s[18:19], 0x0
	s_load_b32 s37, s[18:19], 0x64
	v_mov_b32_e32 v7, v3
	s_add_i32 s35, s35, -1
	s_waitcnt lgkmcnt(0)
	v_cvt_f32_u32_e32 v5, s36
	s_sub_i32 s38, 0, s36
	s_add_u32 s18, s18, -4
	s_addc_u32 s19, s19, -1
	s_cmp_gt_u32 s35, 2
	v_rcp_iflag_f32_e32 v5, v5
	s_waitcnt_depctr 0xfff
	v_mul_f32_e32 v5, 0x4f7ffffe, v5
	s_delay_alu instid0(VALU_DEP_1) | instskip(NEXT) | instid1(VALU_DEP_1)
	v_cvt_u32_f32_e32 v5, v5
	v_mul_lo_u32 v6, s38, v5
	s_delay_alu instid0(VALU_DEP_1) | instskip(NEXT) | instid1(VALU_DEP_1)
	v_mul_hi_u32 v6, v5, v6
	v_add_nc_u32_e32 v3, v5, v6
	s_delay_alu instid0(VALU_DEP_1) | instskip(NEXT) | instid1(VALU_DEP_1)
	v_mul_hi_u32 v3, v7, v3
	v_add_nc_u32_e32 v6, 1, v3
	v_mul_lo_u32 v5, v3, s36
	s_delay_alu instid0(VALU_DEP_1) | instskip(NEXT) | instid1(VALU_DEP_1)
	v_sub_nc_u32_e32 v5, v7, v5
	v_subrev_nc_u32_e32 v8, s36, v5
	v_cmp_le_u32_e32 vcc_lo, s36, v5
	v_cndmask_b32_e32 v3, v3, v6, vcc_lo
	s_delay_alu instid0(VALU_DEP_1) | instskip(NEXT) | instid1(VALU_DEP_1)
	v_dual_cndmask_b32 v5, v5, v8 :: v_dual_add_nc_u32 v6, 1, v3
	v_cmp_le_u32_e32 vcc_lo, s36, v5
	s_delay_alu instid0(VALU_DEP_2) | instskip(NEXT) | instid1(VALU_DEP_1)
	v_cndmask_b32_e32 v3, v3, v6, vcc_lo
	v_mul_lo_u32 v5, v3, s36
	s_delay_alu instid0(VALU_DEP_1) | instskip(NEXT) | instid1(VALU_DEP_1)
	v_sub_nc_u32_e32 v7, v7, v5
	v_mad_u64_u32 v[5:6], null, s37, v7, v[0:1]
	s_delay_alu instid0(VALU_DEP_1)
	v_mov_b32_e32 v0, v5
	s_cbranch_scc1 .LBB117_6
.LBB117_7:                              ;   in Loop: Header=BB117_3 Depth=1
	s_set_inst_prefetch_distance 0x2
	s_delay_alu instid0(VALU_DEP_1)
	v_mad_u64_u32 v[5:6], null, s22, v3, v[0:1]
.LBB117_8:                              ;   in Loop: Header=BB117_3 Depth=1
	s_or_b32 exec_lo, exec_lo, s34
	v_dual_mov_b32 v6, 0 :: v_dual_mov_b32 v3, 0
	s_and_saveexec_b32 s18, s0
	s_cbranch_execz .LBB117_10
; %bb.9:                                ;   in Loop: Header=BB117_3 Depth=1
	v_mul_hi_u32 v0, v28, v30
	s_delay_alu instid0(VALU_DEP_1) | instskip(SKIP_1) | instid1(VALU_DEP_2)
	v_mul_lo_u32 v3, v0, s21
	v_add_nc_u32_e32 v7, 1, v0
	v_sub_nc_u32_e32 v3, v28, v3
	s_delay_alu instid0(VALU_DEP_1) | instskip(SKIP_1) | instid1(VALU_DEP_2)
	v_subrev_nc_u32_e32 v8, s21, v3
	v_cmp_le_u32_e32 vcc_lo, s21, v3
	v_dual_cndmask_b32 v0, v0, v7 :: v_dual_cndmask_b32 v3, v3, v8
	s_delay_alu instid0(VALU_DEP_1) | instskip(NEXT) | instid1(VALU_DEP_2)
	v_add_nc_u32_e32 v7, 1, v0
	v_cmp_le_u32_e32 vcc_lo, s21, v3
	s_delay_alu instid0(VALU_DEP_2) | instskip(NEXT) | instid1(VALU_DEP_1)
	v_cndmask_b32_e32 v3, v0, v7, vcc_lo
	v_mul_lo_u32 v0, v3, s21
	s_delay_alu instid0(VALU_DEP_1) | instskip(NEXT) | instid1(VALU_DEP_1)
	v_sub_nc_u32_e32 v0, v28, v0
	v_mul_lo_u32 v0, v0, s3
	s_delay_alu instid0(VALU_DEP_1) | instskip(NEXT) | instid1(VALU_DEP_1)
	v_mad_u64_u32 v[7:8], null, v3, s2, v[0:1]
	v_mov_b32_e32 v3, v7
.LBB117_10:                             ;   in Loop: Header=BB117_3 Depth=1
	s_or_b32 exec_lo, exec_lo, s18
	v_or_b32_e32 v8, 1, v28
	v_cmp_lt_i32_e64 s0, 1, v31
	s_delay_alu instid0(VALU_DEP_1)
	s_and_saveexec_b32 s34, s0
	s_cbranch_execz .LBB117_15
; %bb.11:                               ;   in Loop: Header=BB117_3 Depth=1
	s_delay_alu instid0(VALU_DEP_2)
	v_dual_mov_b32 v0, 0 :: v_dual_mov_b32 v9, v8
	s_and_not1_b32 vcc_lo, exec_lo, s23
	s_cbranch_vccnz .LBB117_14
; %bb.12:                               ;   in Loop: Header=BB117_3 Depth=1
	v_dual_mov_b32 v0, 0 :: v_dual_mov_b32 v9, v8
	s_mov_b64 s[18:19], s[16:17]
	s_mov_b32 s35, s12
	s_set_inst_prefetch_distance 0x1
	.p2align	6
.LBB117_13:                             ;   Parent Loop BB117_3 Depth=1
                                        ; =>  This Inner Loop Header: Depth=2
	s_clause 0x1
	s_load_b32 s36, s[18:19], 0x0
	s_load_b32 s37, s[18:19], 0x64
	v_mov_b32_e32 v10, v9
	s_add_i32 s35, s35, -1
	s_waitcnt lgkmcnt(0)
	v_cvt_f32_u32_e32 v6, s36
	s_sub_i32 s38, 0, s36
	s_add_u32 s18, s18, -4
	s_addc_u32 s19, s19, -1
	s_cmp_gt_u32 s35, 2
	v_rcp_iflag_f32_e32 v6, v6
	s_waitcnt_depctr 0xfff
	v_mul_f32_e32 v6, 0x4f7ffffe, v6
	s_delay_alu instid0(VALU_DEP_1) | instskip(NEXT) | instid1(VALU_DEP_1)
	v_cvt_u32_f32_e32 v6, v6
	v_mul_lo_u32 v7, s38, v6
	s_delay_alu instid0(VALU_DEP_1) | instskip(NEXT) | instid1(VALU_DEP_1)
	v_mul_hi_u32 v7, v6, v7
	v_add_nc_u32_e32 v6, v6, v7
	s_delay_alu instid0(VALU_DEP_1) | instskip(NEXT) | instid1(VALU_DEP_1)
	v_mul_hi_u32 v6, v10, v6
	v_mul_lo_u32 v7, v6, s36
	v_add_nc_u32_e32 v9, 1, v6
	s_delay_alu instid0(VALU_DEP_2) | instskip(NEXT) | instid1(VALU_DEP_1)
	v_sub_nc_u32_e32 v7, v10, v7
	v_subrev_nc_u32_e32 v11, s36, v7
	v_cmp_le_u32_e32 vcc_lo, s36, v7
	s_delay_alu instid0(VALU_DEP_2) | instskip(NEXT) | instid1(VALU_DEP_1)
	v_dual_cndmask_b32 v7, v7, v11 :: v_dual_cndmask_b32 v6, v6, v9
	v_cmp_le_u32_e32 vcc_lo, s36, v7
	s_delay_alu instid0(VALU_DEP_2) | instskip(NEXT) | instid1(VALU_DEP_1)
	v_add_nc_u32_e32 v9, 1, v6
	v_cndmask_b32_e32 v9, v6, v9, vcc_lo
	s_delay_alu instid0(VALU_DEP_1) | instskip(NEXT) | instid1(VALU_DEP_1)
	v_mul_lo_u32 v6, v9, s36
	v_sub_nc_u32_e32 v10, v10, v6
	s_delay_alu instid0(VALU_DEP_1) | instskip(NEXT) | instid1(VALU_DEP_1)
	v_mad_u64_u32 v[6:7], null, s37, v10, v[0:1]
	v_mov_b32_e32 v0, v6
	s_cbranch_scc1 .LBB117_13
.LBB117_14:                             ;   in Loop: Header=BB117_3 Depth=1
	s_set_inst_prefetch_distance 0x2
	s_delay_alu instid0(VALU_DEP_1)
	v_mad_u64_u32 v[6:7], null, s22, v9, v[0:1]
.LBB117_15:                             ;   in Loop: Header=BB117_3 Depth=1
	s_or_b32 exec_lo, exec_lo, s34
	v_mov_b32_e32 v11, 0
	s_and_saveexec_b32 s18, s0
	s_cbranch_execz .LBB117_17
; %bb.16:                               ;   in Loop: Header=BB117_3 Depth=1
	v_mul_hi_u32 v0, v8, v30
	s_delay_alu instid0(VALU_DEP_1) | instskip(SKIP_1) | instid1(VALU_DEP_2)
	v_mul_lo_u32 v7, v0, s21
	v_add_nc_u32_e32 v9, 1, v0
	v_sub_nc_u32_e32 v7, v8, v7
	s_delay_alu instid0(VALU_DEP_1) | instskip(SKIP_1) | instid1(VALU_DEP_2)
	v_subrev_nc_u32_e32 v10, s21, v7
	v_cmp_le_u32_e32 vcc_lo, s21, v7
	v_dual_cndmask_b32 v0, v0, v9 :: v_dual_cndmask_b32 v7, v7, v10
	s_delay_alu instid0(VALU_DEP_1) | instskip(NEXT) | instid1(VALU_DEP_2)
	v_add_nc_u32_e32 v9, 1, v0
	v_cmp_le_u32_e32 vcc_lo, s21, v7
	s_delay_alu instid0(VALU_DEP_2) | instskip(NEXT) | instid1(VALU_DEP_1)
	v_cndmask_b32_e32 v7, v0, v9, vcc_lo
	v_mul_lo_u32 v0, v7, s21
	s_delay_alu instid0(VALU_DEP_1) | instskip(NEXT) | instid1(VALU_DEP_1)
	v_sub_nc_u32_e32 v0, v8, v0
	v_mul_lo_u32 v0, v0, s3
	s_delay_alu instid0(VALU_DEP_1)
	v_mad_u64_u32 v[11:12], null, v7, s2, v[0:1]
.LBB117_17:                             ;   in Loop: Header=BB117_3 Depth=1
	s_or_b32 exec_lo, exec_lo, s18
	v_mov_b32_e32 v7, 0
	v_or_b32_e32 v12, 2, v28
	v_mov_b32_e32 v8, 0
	v_cmp_lt_i32_e64 s0, 2, v31
	s_delay_alu instid0(VALU_DEP_1)
	s_and_saveexec_b32 s34, s0
	s_cbranch_execz .LBB117_22
; %bb.18:                               ;   in Loop: Header=BB117_3 Depth=1
	v_dual_mov_b32 v0, 0 :: v_dual_mov_b32 v9, v12
	s_and_not1_b32 vcc_lo, exec_lo, s23
	s_cbranch_vccnz .LBB117_21
; %bb.19:                               ;   in Loop: Header=BB117_3 Depth=1
	v_dual_mov_b32 v0, 0 :: v_dual_mov_b32 v9, v12
	s_mov_b64 s[18:19], s[16:17]
	s_mov_b32 s35, s12
	s_set_inst_prefetch_distance 0x1
	.p2align	6
.LBB117_20:                             ;   Parent Loop BB117_3 Depth=1
                                        ; =>  This Inner Loop Header: Depth=2
	s_clause 0x1
	s_load_b32 s36, s[18:19], 0x0
	s_load_b32 s37, s[18:19], 0x64
	s_add_i32 s35, s35, -1
	v_mov_b32_e32 v10, v9
	s_waitcnt lgkmcnt(0)
	v_cvt_f32_u32_e32 v7, s36
	s_sub_i32 s38, 0, s36
	s_add_u32 s18, s18, -4
	s_addc_u32 s19, s19, -1
	s_cmp_gt_u32 s35, 2
	v_rcp_iflag_f32_e32 v7, v7
	s_waitcnt_depctr 0xfff
	v_mul_f32_e32 v7, 0x4f7ffffe, v7
	s_delay_alu instid0(VALU_DEP_1) | instskip(NEXT) | instid1(VALU_DEP_1)
	v_cvt_u32_f32_e32 v7, v7
	v_mul_lo_u32 v8, s38, v7
	s_delay_alu instid0(VALU_DEP_1) | instskip(NEXT) | instid1(VALU_DEP_1)
	v_mul_hi_u32 v8, v7, v8
	v_add_nc_u32_e32 v7, v7, v8
	s_delay_alu instid0(VALU_DEP_1) | instskip(NEXT) | instid1(VALU_DEP_1)
	v_mul_hi_u32 v7, v10, v7
	v_mul_lo_u32 v8, v7, s36
	v_add_nc_u32_e32 v9, 1, v7
	s_delay_alu instid0(VALU_DEP_2) | instskip(NEXT) | instid1(VALU_DEP_1)
	v_sub_nc_u32_e32 v8, v10, v8
	v_subrev_nc_u32_e32 v13, s36, v8
	v_cmp_le_u32_e32 vcc_lo, s36, v8
	s_delay_alu instid0(VALU_DEP_4) | instskip(NEXT) | instid1(VALU_DEP_1)
	v_cndmask_b32_e32 v7, v7, v9, vcc_lo
	v_dual_cndmask_b32 v8, v8, v13 :: v_dual_add_nc_u32 v9, 1, v7
	s_delay_alu instid0(VALU_DEP_1) | instskip(NEXT) | instid1(VALU_DEP_2)
	v_cmp_le_u32_e32 vcc_lo, s36, v8
	v_cndmask_b32_e32 v9, v7, v9, vcc_lo
	s_delay_alu instid0(VALU_DEP_1) | instskip(NEXT) | instid1(VALU_DEP_1)
	v_mul_lo_u32 v7, v9, s36
	v_sub_nc_u32_e32 v10, v10, v7
	s_delay_alu instid0(VALU_DEP_1) | instskip(NEXT) | instid1(VALU_DEP_1)
	v_mad_u64_u32 v[7:8], null, s37, v10, v[0:1]
	v_mov_b32_e32 v0, v7
	s_cbranch_scc1 .LBB117_20
.LBB117_21:                             ;   in Loop: Header=BB117_3 Depth=1
	s_set_inst_prefetch_distance 0x2
	s_delay_alu instid0(VALU_DEP_1)
	v_mad_u64_u32 v[7:8], null, s22, v9, v[0:1]
	v_mov_b32_e32 v8, v4
.LBB117_22:                             ;   in Loop: Header=BB117_3 Depth=1
	s_or_b32 exec_lo, exec_lo, s34
	v_mov_b32_e32 v9, 0
	v_mov_b32_e32 v10, 0
	s_delay_alu instid0(VALU_DEP_1)
	v_dual_mov_b32 v14, v10 :: v_dual_mov_b32 v13, v9
	s_and_saveexec_b32 s18, s0
	s_cbranch_execz .LBB117_24
; %bb.23:                               ;   in Loop: Header=BB117_3 Depth=1
	v_mul_hi_u32 v0, v12, v30
	s_delay_alu instid0(VALU_DEP_1) | instskip(NEXT) | instid1(VALU_DEP_1)
	v_mul_lo_u32 v13, v0, s21
	v_sub_nc_u32_e32 v13, v12, v13
	s_delay_alu instid0(VALU_DEP_1) | instskip(SKIP_1) | instid1(VALU_DEP_2)
	v_subrev_nc_u32_e32 v15, s21, v13
	v_cmp_le_u32_e32 vcc_lo, s21, v13
	v_dual_cndmask_b32 v13, v13, v15 :: v_dual_add_nc_u32 v14, 1, v0
	s_delay_alu instid0(VALU_DEP_1) | instskip(NEXT) | instid1(VALU_DEP_2)
	v_cndmask_b32_e32 v0, v0, v14, vcc_lo
	v_cmp_le_u32_e32 vcc_lo, s21, v13
	s_delay_alu instid0(VALU_DEP_2) | instskip(NEXT) | instid1(VALU_DEP_1)
	v_add_nc_u32_e32 v14, 1, v0
	v_cndmask_b32_e32 v15, v0, v14, vcc_lo
	s_delay_alu instid0(VALU_DEP_1) | instskip(NEXT) | instid1(VALU_DEP_1)
	v_mul_lo_u32 v0, v15, s21
	v_sub_nc_u32_e32 v0, v12, v0
	s_delay_alu instid0(VALU_DEP_1) | instskip(NEXT) | instid1(VALU_DEP_1)
	v_mul_lo_u32 v0, v0, s3
	v_mad_u64_u32 v[13:14], null, v15, s2, v[0:1]
	v_mov_b32_e32 v14, v4
.LBB117_24:                             ;   in Loop: Header=BB117_3 Depth=1
	s_or_b32 exec_lo, exec_lo, s18
	v_or_b32_e32 v12, 3, v28
	v_cmp_lt_i32_e64 s0, 3, v31
	s_delay_alu instid0(VALU_DEP_1)
	s_and_saveexec_b32 s34, s0
	s_cbranch_execz .LBB117_29
; %bb.25:                               ;   in Loop: Header=BB117_3 Depth=1
	s_delay_alu instid0(VALU_DEP_2)
	v_dual_mov_b32 v0, 0 :: v_dual_mov_b32 v15, v12
	s_and_not1_b32 vcc_lo, exec_lo, s23
	s_cbranch_vccnz .LBB117_28
; %bb.26:                               ;   in Loop: Header=BB117_3 Depth=1
	v_dual_mov_b32 v0, 0 :: v_dual_mov_b32 v15, v12
	s_mov_b64 s[18:19], s[16:17]
	s_mov_b32 s35, s12
	s_set_inst_prefetch_distance 0x1
	.p2align	6
.LBB117_27:                             ;   Parent Loop BB117_3 Depth=1
                                        ; =>  This Inner Loop Header: Depth=2
	s_clause 0x1
	s_load_b32 s36, s[18:19], 0x0
	s_load_b32 s37, s[18:19], 0x64
	s_add_i32 s35, s35, -1
	v_mov_b32_e32 v16, v15
	s_waitcnt lgkmcnt(0)
	v_cvt_f32_u32_e32 v9, s36
	s_sub_i32 s38, 0, s36
	s_add_u32 s18, s18, -4
	s_addc_u32 s19, s19, -1
	s_cmp_gt_u32 s35, 2
	v_rcp_iflag_f32_e32 v9, v9
	s_waitcnt_depctr 0xfff
	v_mul_f32_e32 v9, 0x4f7ffffe, v9
	s_delay_alu instid0(VALU_DEP_1) | instskip(NEXT) | instid1(VALU_DEP_1)
	v_cvt_u32_f32_e32 v9, v9
	v_mul_lo_u32 v10, s38, v9
	s_delay_alu instid0(VALU_DEP_1) | instskip(NEXT) | instid1(VALU_DEP_1)
	v_mul_hi_u32 v10, v9, v10
	v_add_nc_u32_e32 v9, v9, v10
	s_delay_alu instid0(VALU_DEP_1) | instskip(NEXT) | instid1(VALU_DEP_1)
	v_mul_hi_u32 v9, v16, v9
	v_mul_lo_u32 v10, v9, s36
	v_add_nc_u32_e32 v15, 1, v9
	s_delay_alu instid0(VALU_DEP_2) | instskip(NEXT) | instid1(VALU_DEP_1)
	v_sub_nc_u32_e32 v10, v16, v10
	v_subrev_nc_u32_e32 v17, s36, v10
	v_cmp_le_u32_e32 vcc_lo, s36, v10
	s_delay_alu instid0(VALU_DEP_2) | instskip(NEXT) | instid1(VALU_DEP_1)
	v_dual_cndmask_b32 v9, v9, v15 :: v_dual_cndmask_b32 v10, v10, v17
	v_add_nc_u32_e32 v15, 1, v9
	s_delay_alu instid0(VALU_DEP_2) | instskip(NEXT) | instid1(VALU_DEP_2)
	v_cmp_le_u32_e32 vcc_lo, s36, v10
	v_cndmask_b32_e32 v15, v9, v15, vcc_lo
	s_delay_alu instid0(VALU_DEP_1) | instskip(NEXT) | instid1(VALU_DEP_1)
	v_mul_lo_u32 v9, v15, s36
	v_sub_nc_u32_e32 v16, v16, v9
	s_delay_alu instid0(VALU_DEP_1) | instskip(NEXT) | instid1(VALU_DEP_1)
	v_mad_u64_u32 v[9:10], null, s37, v16, v[0:1]
	v_mov_b32_e32 v0, v9
	s_cbranch_scc1 .LBB117_27
.LBB117_28:                             ;   in Loop: Header=BB117_3 Depth=1
	s_set_inst_prefetch_distance 0x2
	s_delay_alu instid0(VALU_DEP_1)
	v_mad_u64_u32 v[9:10], null, s22, v15, v[0:1]
	v_mov_b32_e32 v10, v4
.LBB117_29:                             ;   in Loop: Header=BB117_3 Depth=1
	s_or_b32 exec_lo, exec_lo, s34
	v_mov_b32_e32 v15, 0
	v_mov_b32_e32 v16, 0
	s_and_saveexec_b32 s18, s0
	s_cbranch_execz .LBB117_31
; %bb.30:                               ;   in Loop: Header=BB117_3 Depth=1
	v_mul_hi_u32 v0, v12, v30
	s_delay_alu instid0(VALU_DEP_1) | instskip(NEXT) | instid1(VALU_DEP_1)
	v_mul_lo_u32 v15, v0, s21
	v_sub_nc_u32_e32 v15, v12, v15
	s_delay_alu instid0(VALU_DEP_1) | instskip(SKIP_1) | instid1(VALU_DEP_2)
	v_subrev_nc_u32_e32 v17, s21, v15
	v_cmp_le_u32_e32 vcc_lo, s21, v15
	v_dual_cndmask_b32 v15, v15, v17 :: v_dual_add_nc_u32 v16, 1, v0
	s_delay_alu instid0(VALU_DEP_1) | instskip(NEXT) | instid1(VALU_DEP_2)
	v_cndmask_b32_e32 v0, v0, v16, vcc_lo
	v_cmp_le_u32_e32 vcc_lo, s21, v15
	s_delay_alu instid0(VALU_DEP_2) | instskip(NEXT) | instid1(VALU_DEP_1)
	v_add_nc_u32_e32 v16, 1, v0
	v_cndmask_b32_e32 v17, v0, v16, vcc_lo
	s_delay_alu instid0(VALU_DEP_1) | instskip(NEXT) | instid1(VALU_DEP_1)
	v_mul_lo_u32 v0, v17, s21
	v_sub_nc_u32_e32 v0, v12, v0
	s_delay_alu instid0(VALU_DEP_1) | instskip(NEXT) | instid1(VALU_DEP_1)
	v_mul_lo_u32 v0, v0, s3
	v_mad_u64_u32 v[15:16], null, v17, s2, v[0:1]
	v_mov_b32_e32 v16, v4
.LBB117_31:                             ;   in Loop: Header=BB117_3 Depth=1
	s_or_b32 exec_lo, exec_lo, s18
	v_mov_b32_e32 v12, v4
	v_lshlrev_b64 v[17:18], 2, v[3:4]
	v_lshlrev_b64 v[13:14], 2, v[13:14]
	;; [unrolled: 1-line block ×3, first 2 shown]
	s_delay_alu instid0(VALU_DEP_4) | instskip(NEXT) | instid1(VALU_DEP_4)
	v_lshlrev_b64 v[11:12], 2, v[11:12]
	v_add_co_u32 v17, vcc_lo, s8, v17
	v_add_co_ci_u32_e32 v18, vcc_lo, s9, v18, vcc_lo
	s_delay_alu instid0(VALU_DEP_3) | instskip(NEXT) | instid1(VALU_DEP_4)
	v_add_co_u32 v11, vcc_lo, s8, v11
	v_add_co_ci_u32_e32 v12, vcc_lo, s9, v12, vcc_lo
	v_add_co_u32 v13, vcc_lo, s8, v13
	v_add_co_ci_u32_e32 v14, vcc_lo, s9, v14, vcc_lo
	;; [unrolled: 2-line block ×3, first 2 shown]
	s_clause 0x3
	global_load_b32 v0, v[17:18], off
	global_load_b32 v3, v[11:12], off
	;; [unrolled: 1-line block ×4, first 2 shown]
	s_waitcnt lgkmcnt(0)
	v_mov_b32_e32 v16, s7
	v_dual_mov_b32 v18, s5 :: v_dual_mov_b32 v17, s4
	v_mov_b32_e32 v15, s6
	s_and_not1_b32 vcc_lo, exec_lo, s24
	s_cbranch_vccnz .LBB117_33
; %bb.32:                               ;   in Loop: Header=BB117_3 Depth=1
	v_dual_mov_b32 v12, s7 :: v_dual_mov_b32 v11, s6
	v_dual_mov_b32 v14, s5 :: v_dual_mov_b32 v13, s4
	flat_load_b64 v[11:12], v[11:12]
	flat_load_b64 v[17:18], v[13:14]
	s_waitcnt vmcnt(1) lgkmcnt(1)
	v_add_co_u32 v15, vcc_lo, v11, s10
	v_add_co_ci_u32_e32 v16, vcc_lo, s11, v12, vcc_lo
.LBB117_33:                             ;   in Loop: Header=BB117_3 Depth=1
	s_delay_alu instid0(VALU_DEP_1)
	v_alignbit_b32 v14, v16, v15, 2
	v_lshrrev_b32_e32 v13, 2, v16
	s_waitcnt vmcnt(0) lgkmcnt(0)
	v_add_nc_u32_e32 v35, 0xbb67ae85, v18
	v_add_nc_u32_e32 v36, 0x76cf5d0a, v18
	;; [unrolled: 1-line block ×3, first 2 shown]
	v_add_co_u32 v16, vcc_lo, v14, 1
	s_delay_alu instid0(VALU_DEP_1) | instskip(SKIP_4) | instid1(VALU_DEP_4)
	v_cndmask_b32_e64 v11, 0, 1, vcc_lo
	v_add_co_ci_u32_e32 v25, vcc_lo, 0, v13, vcc_lo
	v_xor3_b32 v21, v29, v17, v13
	v_add_nc_u32_e32 v38, 0x32370b8f, v18
	v_add_nc_u32_e32 v39, 0xed9eba14, v18
	v_cmp_eq_u32_e32 vcc_lo, 0, v25
	v_add_nc_u32_e32 v40, 0x1715609d, v17
	v_add_nc_u32_e32 v41, 0xa9066899, v18
	s_mov_b32 s0, exec_lo
	v_dual_cndmask_b32 v19, 0, v11 :: v_dual_add_nc_u32 v34, 0x9e3779b9, v17
	v_mad_u64_u32 v[11:12], null, 0xd2511f53, v16, 0
	s_delay_alu instid0(VALU_DEP_2) | instskip(NEXT) | instid1(VALU_DEP_2)
	v_add_nc_u32_e32 v16, v19, v1
	v_xor_b32_e32 v20, v12, v18
	s_delay_alu instid0(VALU_DEP_2) | instskip(SKIP_2) | instid1(VALU_DEP_1)
	v_cmp_eq_u32_e32 vcc_lo, 0, v16
	v_mad_u64_u32 v[12:13], null, 0xd2511f53, v14, 0
	v_cndmask_b32_e32 v19, 0, v19, vcc_lo
	v_xor_b32_e32 v14, v19, v20
	v_mad_u64_u32 v[19:20], null, 0xd2511f53, v21, 0
	v_mad_u64_u32 v[21:22], null, 0xcd9e8d57, v16, 0
	s_delay_alu instid0(VALU_DEP_3) | instskip(SKIP_3) | instid1(VALU_DEP_3)
	v_mad_u64_u32 v[23:24], null, 0xcd9e8d57, v14, 0
	v_xor_b32_e32 v14, v13, v18
	v_add_nc_u32_e32 v16, 0x3c6ef372, v17
	v_xor3_b32 v26, v35, v20, v12
	v_mad_u64_u32 v[12:13], null, 0xcd9e8d57, v14, 0
	v_xor3_b32 v14, v22, v17, v25
	v_xor3_b32 v22, v34, v24, v21
	s_delay_alu instid0(VALU_DEP_4) | instskip(NEXT) | instid1(VALU_DEP_3)
	v_mad_u64_u32 v[20:21], null, 0xcd9e8d57, v26, 0
	v_mad_u64_u32 v[24:25], null, 0xd2511f53, v14, 0
	s_delay_alu instid0(VALU_DEP_3) | instskip(SKIP_1) | instid1(VALU_DEP_4)
	v_mad_u64_u32 v[26:27], null, 0xd2511f53, v22, 0
	v_xor3_b32 v14, v2, v13, v34
	v_xor3_b32 v34, v16, v21, v12
	s_delay_alu instid0(VALU_DEP_4) | instskip(NEXT) | instid1(VALU_DEP_3)
	v_xor3_b32 v11, v35, v25, v11
	v_mad_u64_u32 v[12:13], null, 0xd2511f53, v14, 0
	v_xor3_b32 v14, v36, v27, v24
	s_delay_alu instid0(VALU_DEP_4) | instskip(NEXT) | instid1(VALU_DEP_4)
	v_mad_u64_u32 v[21:22], null, 0xd2511f53, v34, 0
	v_mad_u64_u32 v[24:25], null, 0xcd9e8d57, v11, 0
	s_delay_alu instid0(VALU_DEP_3) | instskip(SKIP_4) | instid1(VALU_DEP_4)
	v_mad_u64_u32 v[34:35], null, 0xcd9e8d57, v14, 0
	v_xor3_b32 v13, v36, v13, v19
	v_add_nc_u32_e32 v27, 0x78dde6e4, v17
	v_xor3_b32 v19, v38, v22, v12
	v_xor3_b32 v16, v16, v25, v23
	v_mad_u64_u32 v[11:12], null, 0xcd9e8d57, v13, 0
	v_xor3_b32 v35, v37, v35, v24
	s_delay_alu instid0(VALU_DEP_4) | instskip(NEXT) | instid1(VALU_DEP_4)
	v_mad_u64_u32 v[13:14], null, 0xcd9e8d57, v19, 0
	v_mad_u64_u32 v[22:23], null, 0xd2511f53, v16, 0
	s_delay_alu instid0(VALU_DEP_3) | instskip(SKIP_1) | instid1(VALU_DEP_4)
	v_mad_u64_u32 v[24:25], null, 0xd2511f53, v35, 0
	v_xor3_b32 v16, v37, v12, v20
	v_xor3_b32 v14, v27, v14, v11
	s_delay_alu instid0(VALU_DEP_2) | instskip(SKIP_2) | instid1(VALU_DEP_4)
	v_mad_u64_u32 v[11:12], null, 0xd2511f53, v16, 0
	v_xor3_b32 v16, v38, v23, v26
	v_xor3_b32 v22, v39, v25, v22
	v_mad_u64_u32 v[25:26], null, 0xd2511f53, v14, 0
	s_delay_alu instid0(VALU_DEP_3) | instskip(NEXT) | instid1(VALU_DEP_3)
	v_mad_u64_u32 v[19:20], null, 0xcd9e8d57, v16, 0
	v_mad_u64_u32 v[35:36], null, 0xcd9e8d57, v22, 0
	v_xor3_b32 v14, v39, v12, v21
	s_delay_alu instid0(VALU_DEP_4) | instskip(SKIP_2) | instid1(VALU_DEP_4)
	v_xor3_b32 v22, v41, v26, v11
	v_add_nc_u32_e32 v16, 0xb54cda56, v17
	v_add_nc_u32_e32 v21, 0x646e171e, v18
	v_mad_u64_u32 v[11:12], null, 0xcd9e8d57, v14, 0
	v_xor3_b32 v14, v27, v20, v34
	v_xor3_b32 v23, v40, v36, v19
	v_mad_u64_u32 v[36:37], null, 0xcd9e8d57, v22, 0
	v_add_nc_u32_e32 v27, 0x5384540f, v17
	s_delay_alu instid0(VALU_DEP_4) | instskip(NEXT) | instid1(VALU_DEP_4)
	v_mad_u64_u32 v[19:20], null, 0xd2511f53, v14, 0
	v_mad_u64_u32 v[38:39], null, 0xd2511f53, v23, 0
	v_xor3_b32 v13, v40, v12, v13
	v_xor3_b32 v14, v16, v37, v11
	v_add_nc_u32_e32 v40, 0x1fd5c5a3, v18
	v_add_co_u32 v34, null, 0xf1bbcdc8, v17
	v_xor3_b32 v22, v41, v20, v24
	v_xor3_b32 v24, v21, v39, v19
	v_mad_u64_u32 v[11:12], null, 0xd2511f53, v13, 0
	v_mad_u64_u32 v[19:20], null, 0xd2511f53, v14, 0
	s_delay_alu instid0(VALU_DEP_4) | instskip(NEXT) | instid1(VALU_DEP_4)
	v_mad_u64_u32 v[13:14], null, 0xcd9e8d57, v22, 0
	v_mad_u64_u32 v[22:23], null, 0xcd9e8d57, v24, 0
	s_delay_alu instid0(VALU_DEP_4) | instskip(NEXT) | instid1(VALU_DEP_4)
	v_xor3_b32 v21, v21, v12, v25
	v_xor3_b32 v24, v40, v20, v11
	s_delay_alu instid0(VALU_DEP_4) | instskip(NEXT) | instid1(VALU_DEP_3)
	v_xor3_b32 v16, v16, v14, v35
	v_mad_u64_u32 v[11:12], null, 0xcd9e8d57, v21, 0
	v_xor3_b32 v23, v27, v23, v13
	s_delay_alu instid0(VALU_DEP_4) | instskip(NEXT) | instid1(VALU_DEP_4)
	v_mad_u64_u32 v[20:21], null, 0xcd9e8d57, v24, 0
	v_mad_u64_u32 v[13:14], null, 0xd2511f53, v16, 0
	s_delay_alu instid0(VALU_DEP_3)
	v_mad_u64_u32 v[25:26], null, 0xd2511f53, v23, 0
	v_add_nc_u32_e32 v35, 0xdb3d7428, v18
	v_xor3_b32 v12, v27, v12, v36
	v_xor3_b32 v16, v34, v21, v11
	v_add_nc_u32_e32 v36, 0x96a522ad, v18
	v_xor3_b32 v14, v40, v14, v38
	v_and_b32_e32 v18, 3, v15
	v_xor3_b32 v21, v35, v26, v13
	v_mad_u64_u32 v[23:24], null, 0xd2511f53, v12, 0
	v_mad_u64_u32 v[11:12], null, 0xd2511f53, v16, 0
	;; [unrolled: 1-line block ×3, first 2 shown]
	s_delay_alu instid0(VALU_DEP_4) | instskip(SKIP_1) | instid1(VALU_DEP_4)
	v_mad_u64_u32 v[13:14], null, 0xcd9e8d57, v21, 0
	v_add_nc_u32_e32 v21, 0x8ff34781, v17
                                        ; implicit-def: $vgpr16
	v_xor3_b32 v17, v12, v23, v36
	s_delay_alu instid0(VALU_DEP_2)
	v_xor3_b32 v12, v14, v26, v21
	v_cmpx_lt_i32_e32 1, v18
	s_xor_b32 s0, exec_lo, s0
	s_cbranch_execz .LBB117_39
; %bb.34:                               ;   in Loop: Header=BB117_3 Depth=1
	s_mov_b32 s18, exec_lo
                                        ; implicit-def: $vgpr16
	v_cmpx_lt_i32_e32 2, v18
	s_xor_b32 s18, exec_lo, s18
; %bb.35:                               ;   in Loop: Header=BB117_3 Depth=1
	v_xor3_b32 v14, v34, v27, v22
                                        ; implicit-def: $vgpr17
	s_delay_alu instid0(VALU_DEP_1) | instskip(NEXT) | instid1(VALU_DEP_1)
	v_mul_hi_u32 v14, 0xd2511f53, v14
	v_xor3_b32 v16, v14, v25, v36
; %bb.36:                               ;   in Loop: Header=BB117_3 Depth=1
	s_and_not1_saveexec_b32 s18, s18
; %bb.37:                               ;   in Loop: Header=BB117_3 Depth=1
	v_dual_mov_b32 v16, v13 :: v_dual_mov_b32 v13, v12
	v_dual_mov_b32 v12, v11 :: v_dual_mov_b32 v11, v17
; %bb.38:                               ;   in Loop: Header=BB117_3 Depth=1
	s_or_b32 exec_lo, exec_lo, s18
                                        ; implicit-def: $vgpr19_vgpr20
                                        ; implicit-def: $vgpr18
                                        ; implicit-def: $vgpr17
                                        ; implicit-def: $vgpr35
                                        ; implicit-def: $vgpr23_vgpr24
                                        ; implicit-def: $vgpr20_vgpr21
                                        ; implicit-def: $vgpr21
.LBB117_39:                             ;   in Loop: Header=BB117_3 Depth=1
	s_and_not1_saveexec_b32 s0, s0
	s_cbranch_execz .LBB117_43
; %bb.40:                               ;   in Loop: Header=BB117_3 Depth=1
	v_xor3_b32 v13, v35, v24, v19
	v_cmp_eq_u32_e32 vcc_lo, 1, v18
	v_mov_b32_e32 v16, v11
	s_delay_alu instid0(VALU_DEP_3) | instskip(SKIP_1) | instid1(VALU_DEP_2)
	v_mad_u64_u32 v[14:15], null, 0xcd9e8d57, v13, 0
	v_mov_b32_e32 v13, v17
	v_xor3_b32 v18, v15, v20, v21
	s_delay_alu instid0(VALU_DEP_3)
	v_mov_b32_e32 v15, v14
	s_and_saveexec_b32 s18, vcc_lo
; %bb.41:                               ;   in Loop: Header=BB117_3 Depth=1
	v_dual_mov_b32 v16, v12 :: v_dual_mov_b32 v13, v11
	v_dual_mov_b32 v15, v17 :: v_dual_mov_b32 v18, v14
; %bb.42:                               ;   in Loop: Header=BB117_3 Depth=1
	s_or_b32 exec_lo, exec_lo, s18
	s_delay_alu instid0(VALU_DEP_1)
	v_dual_mov_b32 v11, v18 :: v_dual_mov_b32 v12, v15
.LBB117_43:                             ;   in Loop: Header=BB117_3 Depth=1
	s_or_b32 exec_lo, exec_lo, s0
	v_min_i32_e32 v14, 4, v31
	s_mov_b32 s18, 0
	s_mov_b32 s38, 0
	;; [unrolled: 1-line block ×3, first 2 shown]
                                        ; implicit-def: $sgpr34
                                        ; implicit-def: $sgpr35
                                        ; implicit-def: $sgpr36
	s_mov_b32 s0, exec_lo
	v_cmpx_lt_i32_e32 2, v14
	s_xor_b32 s37, exec_lo, s0
	s_cbranch_execz .LBB117_55
; %bb.44:                               ;   in Loop: Header=BB117_3 Depth=1
	s_mov_b32 s0, -1
	s_mov_b32 s39, 0
	s_mov_b32 s35, exec_lo
                                        ; implicit-def: $sgpr19
                                        ; implicit-def: $sgpr34
	v_cmpx_lt_i32_e32 3, v14
	s_cbranch_execz .LBB117_50
; %bb.45:                               ;   in Loop: Header=BB117_3 Depth=1
	s_mov_b32 s0, 0
	s_mov_b32 s39, -1
	s_mov_b32 s36, exec_lo
                                        ; implicit-def: $sgpr19
                                        ; implicit-def: $sgpr34
	v_cmpx_eq_u32_e32 4, v14
	s_cbranch_execz .LBB117_49
; %bb.46:                               ;   in Loop: Header=BB117_3 Depth=1
	v_cmp_le_f32_e32 vcc_lo, 0, v33
	v_cmp_ge_f32_e64 s0, 1.0, v33
	s_mov_b32 s19, 0
	s_delay_alu instid0(VALU_DEP_1)
	s_and_b32 s39, vcc_lo, s0
	s_mov_b32 s0, 0
	s_and_saveexec_b32 s34, s39
	s_cbranch_execz .LBB117_48
; %bb.47:                               ;   in Loop: Header=BB117_3 Depth=1
	v_cvt_f32_u32_e32 v15, v16
	v_add_co_u32 v9, vcc_lo, s14, v9
	v_add_co_ci_u32_e32 v10, vcc_lo, s15, v10, vcc_lo
	s_delay_alu instid0(VALU_DEP_3) | instskip(SKIP_1) | instid1(VALU_DEP_1)
	v_fmaak_f32 v15, 0x2f800000, v15, 0x2f800000
	s_mov_b32 s0, exec_lo
	v_cmp_le_f32_e32 vcc_lo, v15, v33
	v_cndmask_b32_e64 v15, 0, 1, vcc_lo
	global_store_b8 v[9:10], v15, off
.LBB117_48:                             ;   in Loop: Header=BB117_3 Depth=1
	s_or_b32 exec_lo, exec_lo, s34
	s_mov_b32 s34, -1
	s_xor_b32 s39, exec_lo, -1
	s_and_b32 s0, s0, exec_lo
.LBB117_49:                             ;   in Loop: Header=BB117_3 Depth=1
	s_or_b32 exec_lo, exec_lo, s36
	s_delay_alu instid0(SALU_CYCLE_1)
	s_and_b32 s39, s39, exec_lo
	s_or_not1_b32 s0, s0, exec_lo
.LBB117_50:                             ;   in Loop: Header=BB117_3 Depth=1
	s_or_b32 exec_lo, exec_lo, s35
	s_mov_b32 s36, s19
	s_and_saveexec_b32 s35, s0
	s_cbranch_execz .LBB117_54
; %bb.51:                               ;   in Loop: Header=BB117_3 Depth=1
	v_cmp_le_f32_e32 vcc_lo, 0, v32
	v_cmp_ge_f32_e64 s0, 1.0, v32
	s_delay_alu instid0(VALU_DEP_1) | instskip(SKIP_2) | instid1(SALU_CYCLE_1)
	s_and_b32 s36, vcc_lo, s0
	s_mov_b32 s0, 0
	s_and_saveexec_b32 s38, s36
	s_xor_b32 s36, exec_lo, s38
	s_cbranch_execz .LBB117_53
; %bb.52:                               ;   in Loop: Header=BB117_3 Depth=1
	v_cvt_f32_u32_e32 v9, v13
	v_add_co_u32 v7, vcc_lo, s14, v7
	v_add_co_ci_u32_e32 v8, vcc_lo, s15, v8, vcc_lo
	s_delay_alu instid0(VALU_DEP_3) | instskip(SKIP_1) | instid1(VALU_DEP_1)
	v_fmaak_f32 v9, 0x2f800000, v9, 0x2f800000
	s_mov_b32 s0, exec_lo
	v_cmp_le_f32_e32 vcc_lo, v9, v32
	v_cndmask_b32_e64 v9, 0, 1, vcc_lo
	global_store_b8 v[7:8], v9, off
.LBB117_53:                             ;   in Loop: Header=BB117_3 Depth=1
	s_or_b32 exec_lo, exec_lo, s36
	s_delay_alu instid0(SALU_CYCLE_1)
	s_and_not1_b32 s36, s19, exec_lo
	s_or_b32 s19, s19, exec_lo
	s_and_not1_b32 s34, s34, exec_lo
	s_and_b32 s38, s0, exec_lo
.LBB117_54:                             ;   in Loop: Header=BB117_3 Depth=1
	s_or_b32 exec_lo, exec_lo, s35
	s_delay_alu instid0(SALU_CYCLE_1)
	s_and_b32 s36, s36, exec_lo
	s_and_b32 s35, s19, exec_lo
	;; [unrolled: 1-line block ×5, first 2 shown]
.LBB117_55:                             ;   in Loop: Header=BB117_3 Depth=1
	s_and_not1_saveexec_b32 s0, s37
; %bb.56:                               ;   in Loop: Header=BB117_3 Depth=1
	v_cmp_lt_i32_e32 vcc_lo, 1, v14
	s_and_not1_b32 s37, s38, exec_lo
	s_mov_b32 s18, exec_lo
	s_and_not1_b32 s36, s36, exec_lo
	s_and_not1_b32 s35, s35, exec_lo
	s_and_b32 s38, vcc_lo, exec_lo
	s_and_not1_b32 s34, s34, exec_lo
	s_or_b32 s38, s37, s38
; %bb.57:                               ;   in Loop: Header=BB117_3 Depth=1
	s_or_b32 exec_lo, exec_lo, s0
	s_mov_b32 s0, 0
	s_mov_b32 s37, s36
	s_and_saveexec_b32 s39, s38
	s_cbranch_execnz .LBB117_60
; %bb.58:                               ;   in Loop: Header=BB117_3 Depth=1
	s_or_b32 exec_lo, exec_lo, s39
	s_and_saveexec_b32 s38, s18
	s_cbranch_execnz .LBB117_63
.LBB117_59:                             ;   in Loop: Header=BB117_3 Depth=1
	s_or_b32 exec_lo, exec_lo, s38
	s_and_saveexec_b32 s18, s0
	s_cbranch_execnz .LBB117_64
	s_branch .LBB117_67
.LBB117_60:                             ;   in Loop: Header=BB117_3 Depth=1
	v_cmp_le_f32_e32 vcc_lo, 0, v3
	v_cmp_ge_f32_e64 s0, 1.0, v3
	s_delay_alu instid0(VALU_DEP_1) | instskip(SKIP_2) | instid1(SALU_CYCLE_1)
	s_and_b32 s37, vcc_lo, s0
	s_mov_b32 s0, 0
	s_and_saveexec_b32 s38, s37
	s_xor_b32 s37, exec_lo, s38
	s_cbranch_execz .LBB117_62
; %bb.61:                               ;   in Loop: Header=BB117_3 Depth=1
	v_cvt_f32_u32_e32 v7, v12
	s_mov_b32 s0, exec_lo
	s_delay_alu instid0(VALU_DEP_1) | instskip(NEXT) | instid1(VALU_DEP_1)
	v_fmaak_f32 v7, 0x2f800000, v7, 0x2f800000
	v_cmp_le_f32_e32 vcc_lo, v7, v3
	v_cndmask_b32_e64 v3, 0, 1, vcc_lo
	global_store_b8 v6, v3, s[14:15]
.LBB117_62:                             ;   in Loop: Header=BB117_3 Depth=1
	s_or_b32 exec_lo, exec_lo, s37
	s_delay_alu instid0(SALU_CYCLE_1)
	s_and_not1_b32 s37, s36, exec_lo
	s_or_b32 s36, s36, exec_lo
	s_and_not1_b32 s35, s35, exec_lo
	s_and_not1_b32 s34, s34, exec_lo
	s_and_b32 s0, s0, exec_lo
	s_and_not1_b32 s18, s18, exec_lo
	s_or_b32 exec_lo, exec_lo, s39
	s_and_saveexec_b32 s38, s18
	s_cbranch_execz .LBB117_59
.LBB117_63:                             ;   in Loop: Header=BB117_3 Depth=1
	v_cmp_eq_u32_e32 vcc_lo, 1, v14
	s_and_not1_b32 s0, s0, exec_lo
	s_and_not1_b32 s37, s37, exec_lo
	;; [unrolled: 1-line block ×4, first 2 shown]
	s_and_b32 s18, vcc_lo, exec_lo
	s_and_not1_b32 s34, s34, exec_lo
	s_or_b32 s19, s19, exec_lo
	s_or_b32 s0, s0, s18
	s_or_b32 exec_lo, exec_lo, s38
	s_and_saveexec_b32 s18, s0
	s_cbranch_execz .LBB117_67
.LBB117_64:                             ;   in Loop: Header=BB117_3 Depth=1
	v_cmp_le_f32_e32 vcc_lo, 0, v0
	v_cmp_ge_f32_e64 s0, 1.0, v0
	s_delay_alu instid0(VALU_DEP_1)
	s_and_b32 s39, vcc_lo, s0
	s_mov_b32 s0, 0
	s_and_saveexec_b32 s38, s39
	s_cbranch_execz .LBB117_66
; %bb.65:                               ;   in Loop: Header=BB117_3 Depth=1
	v_cvt_f32_u32_e32 v3, v11
	s_mov_b32 s0, exec_lo
	s_delay_alu instid0(VALU_DEP_1) | instskip(NEXT) | instid1(VALU_DEP_1)
	v_fmaak_f32 v3, 0x2f800000, v3, 0x2f800000
	v_cmp_le_f32_e32 vcc_lo, v3, v0
	v_cndmask_b32_e64 v0, 0, 1, vcc_lo
	global_store_b8 v5, v0, s[14:15]
.LBB117_66:                             ;   in Loop: Header=BB117_3 Depth=1
	s_or_b32 exec_lo, exec_lo, s38
	s_delay_alu instid0(SALU_CYCLE_1)
	s_and_not1_b32 s19, s19, exec_lo
	s_and_b32 s0, s0, exec_lo
	s_or_b32 s37, s37, exec_lo
	s_and_not1_b32 s36, s36, exec_lo
	s_and_not1_b32 s35, s35, exec_lo
	;; [unrolled: 1-line block ×3, first 2 shown]
	s_or_b32 s19, s19, s0
.LBB117_67:                             ;   in Loop: Header=BB117_3 Depth=1
	s_or_b32 exec_lo, exec_lo, s18
	s_delay_alu instid0(SALU_CYCLE_1)
	s_and_not1_b32 s18, s33, exec_lo
	s_and_b32 s33, s37, exec_lo
	s_and_not1_b32 s30, s30, exec_lo
	s_and_b32 s36, s36, exec_lo
	s_or_b32 s33, s18, s33
	s_and_not1_b32 s18, s31, exec_lo
	s_and_b32 s31, s35, exec_lo
	s_and_not1_b32 s29, s29, exec_lo
	s_and_b32 s34, s34, exec_lo
	s_mov_b32 s0, -1
	s_or_b32 s30, s30, s36
	s_or_b32 s31, s18, s31
	;; [unrolled: 1-line block ×3, first 2 shown]
	s_and_saveexec_b32 s18, s19
	s_cbranch_execz .LBB117_2
; %bb.68:                               ;   in Loop: Header=BB117_3 Depth=1
	v_add_nc_u32_e32 v28, s25, v28
	s_and_not1_b32 s33, s33, exec_lo
	s_and_not1_b32 s30, s30, exec_lo
	;; [unrolled: 1-line block ×4, first 2 shown]
	v_cmp_le_u32_e32 vcc_lo, s20, v28
	s_or_not1_b32 s0, vcc_lo, exec_lo
	s_branch .LBB117_2
.LBB117_69:
	s_or_b32 exec_lo, exec_lo, s13
	s_xor_b32 s4, s27, -1
	s_xor_b32 s5, s28, -1
	;; [unrolled: 1-line block ×3, first 2 shown]
	s_mov_b32 s2, 0
	s_and_saveexec_b32 s3, s0
	s_delay_alu instid0(SALU_CYCLE_1)
	s_xor_b32 s0, exec_lo, s3
	s_cbranch_execz .LBB117_78
; %bb.70:
	s_mov_b32 s3, 0
	s_and_saveexec_b32 s2, s5
	s_delay_alu instid0(SALU_CYCLE_1)
	s_xor_b32 s2, exec_lo, s2
	s_cbranch_execz .LBB117_76
; %bb.71:
	s_and_saveexec_b32 s5, s4
	s_delay_alu instid0(SALU_CYCLE_1)
	s_xor_b32 s4, exec_lo, s5
	s_cbranch_execz .LBB117_74
; %bb.72:
	s_and_saveexec_b32 s5, s1
	s_delay_alu instid0(SALU_CYCLE_1)
	s_xor_b32 s1, exec_lo, s5
	s_cbranch_execnz .LBB117_92
.LBB117_73:
	s_or_b32 exec_lo, exec_lo, s1
	s_delay_alu instid0(SALU_CYCLE_1)
	s_and_b32 s3, s3, exec_lo
.LBB117_74:
	s_and_not1_saveexec_b32 s1, s4
	s_cbranch_execnz .LBB117_88
.LBB117_75:
	s_or_b32 exec_lo, exec_lo, s1
	s_delay_alu instid0(SALU_CYCLE_1)
	s_and_b32 s3, s3, exec_lo
.LBB117_76:
	s_and_not1_saveexec_b32 s1, s2
	s_cbranch_execnz .LBB117_84
.LBB117_77:
	s_or_b32 exec_lo, exec_lo, s1
	s_delay_alu instid0(SALU_CYCLE_1)
	s_and_b32 s2, s3, exec_lo
.LBB117_78:
	s_and_not1_saveexec_b32 s0, s0
	s_cbranch_execnz .LBB117_82
; %bb.79:
	s_or_b32 exec_lo, exec_lo, s0
	s_delay_alu instid0(SALU_CYCLE_1)
	s_and_b32 exec_lo, exec_lo, s2
.LBB117_80:
	; divergent unreachable
.LBB117_81:
	s_nop 0
	s_sendmsg sendmsg(MSG_DEALLOC_VGPRS)
	s_endpgm
.LBB117_82:
	s_cbranch_execnz .LBB117_86
; %bb.83:
	s_or_b32 s2, s2, exec_lo
	s_or_b32 exec_lo, exec_lo, s0
	s_delay_alu instid0(SALU_CYCLE_1)
	s_and_b32 exec_lo, exec_lo, s2
	s_cbranch_execnz .LBB117_80
	s_branch .LBB117_81
.LBB117_84:
	s_cbranch_execnz .LBB117_90
; %bb.85:
	s_or_b32 s3, s3, exec_lo
	s_branch .LBB117_77
.LBB117_86:
	s_trap 2
	s_sendmsg_rtn_b32 s0, sendmsg(MSG_RTN_GET_DOORBELL)
	s_mov_b32 ttmp2, m0
	s_waitcnt lgkmcnt(0)
	s_and_b32 s0, s0, 0x3ff
	s_delay_alu instid0(SALU_CYCLE_1) | instskip(NEXT) | instid1(SALU_CYCLE_1)
	s_bitset1_b32 s0, 10
	s_mov_b32 m0, s0
	s_sendmsg sendmsg(MSG_INTERRUPT)
	s_mov_b32 m0, ttmp2
.LBB117_87:                             ; =>This Inner Loop Header: Depth=1
	s_sethalt 5
	s_branch .LBB117_87
.LBB117_88:
	s_cbranch_execnz .LBB117_94
; %bb.89:
	s_or_b32 s3, s3, exec_lo
	s_branch .LBB117_75
.LBB117_90:
	s_trap 2
	s_sendmsg_rtn_b32 s0, sendmsg(MSG_RTN_GET_DOORBELL)
	s_mov_b32 ttmp2, m0
	s_waitcnt lgkmcnt(0)
	s_and_b32 s0, s0, 0x3ff
	s_delay_alu instid0(SALU_CYCLE_1) | instskip(NEXT) | instid1(SALU_CYCLE_1)
	s_bitset1_b32 s0, 10
	s_mov_b32 m0, s0
	s_sendmsg sendmsg(MSG_INTERRUPT)
	s_mov_b32 m0, ttmp2
.LBB117_91:                             ; =>This Inner Loop Header: Depth=1
	s_sethalt 5
	s_branch .LBB117_91
.LBB117_92:
	s_cbranch_execnz .LBB117_96
; %bb.93:
	s_mov_b32 s3, exec_lo
	s_branch .LBB117_73
.LBB117_94:
	s_trap 2
	s_sendmsg_rtn_b32 s0, sendmsg(MSG_RTN_GET_DOORBELL)
	s_mov_b32 ttmp2, m0
	s_waitcnt lgkmcnt(0)
	s_and_b32 s0, s0, 0x3ff
	s_delay_alu instid0(SALU_CYCLE_1) | instskip(NEXT) | instid1(SALU_CYCLE_1)
	s_bitset1_b32 s0, 10
	s_mov_b32 m0, s0
	s_sendmsg sendmsg(MSG_INTERRUPT)
	s_mov_b32 m0, ttmp2
.LBB117_95:                             ; =>This Inner Loop Header: Depth=1
	s_sethalt 5
	s_branch .LBB117_95
.LBB117_96:
	s_trap 2
	s_sendmsg_rtn_b32 s0, sendmsg(MSG_RTN_GET_DOORBELL)
	s_mov_b32 ttmp2, m0
	s_waitcnt lgkmcnt(0)
	s_and_b32 s0, s0, 0x3ff
	s_delay_alu instid0(SALU_CYCLE_1) | instskip(NEXT) | instid1(SALU_CYCLE_1)
	s_bitset1_b32 s0, 10
	s_mov_b32 m0, s0
	s_sendmsg sendmsg(MSG_INTERRUPT)
	s_mov_b32 m0, ttmp2
.LBB117_97:                             ; =>This Inner Loop Header: Depth=1
	s_sethalt 5
	s_branch .LBB117_97
	.section	.rodata,"a",@progbits
	.p2align	6, 0x0
	.amdhsa_kernel _ZN2at4cuda12_GLOBAL__N_121kernelPointwiseApply2IZNS_6native9templates4cuda28bernoulli_tensor_cuda_kernelIbfEEvRKNS_10TensorBaseES9_NS_15PhiloxCudaStateEEUliRbSB_SB_SB_RKfSD_SD_SD_E_bSC_jLin1ELi2ELi4ELi512ELi2EEEvNS0_6detail10TensorInfoIT0_T2_EENSG_IT1_SI_EESI_T_
		.amdhsa_group_segment_fixed_size 0
		.amdhsa_private_segment_fixed_size 0
		.amdhsa_kernarg_size 728
		.amdhsa_user_sgpr_count 15
		.amdhsa_user_sgpr_dispatch_ptr 0
		.amdhsa_user_sgpr_queue_ptr 0
		.amdhsa_user_sgpr_kernarg_segment_ptr 1
		.amdhsa_user_sgpr_dispatch_id 0
		.amdhsa_user_sgpr_private_segment_size 0
		.amdhsa_wavefront_size32 1
		.amdhsa_uses_dynamic_stack 0
		.amdhsa_enable_private_segment 0
		.amdhsa_system_sgpr_workgroup_id_x 1
		.amdhsa_system_sgpr_workgroup_id_y 0
		.amdhsa_system_sgpr_workgroup_id_z 0
		.amdhsa_system_sgpr_workgroup_info 0
		.amdhsa_system_vgpr_workitem_id 0
		.amdhsa_next_free_vgpr 42
		.amdhsa_next_free_sgpr 40
		.amdhsa_reserve_vcc 1
		.amdhsa_float_round_mode_32 0
		.amdhsa_float_round_mode_16_64 0
		.amdhsa_float_denorm_mode_32 3
		.amdhsa_float_denorm_mode_16_64 3
		.amdhsa_dx10_clamp 1
		.amdhsa_ieee_mode 1
		.amdhsa_fp16_overflow 0
		.amdhsa_workgroup_processor_mode 1
		.amdhsa_memory_ordered 1
		.amdhsa_forward_progress 0
		.amdhsa_shared_vgpr_count 0
		.amdhsa_exception_fp_ieee_invalid_op 0
		.amdhsa_exception_fp_denorm_src 0
		.amdhsa_exception_fp_ieee_div_zero 0
		.amdhsa_exception_fp_ieee_overflow 0
		.amdhsa_exception_fp_ieee_underflow 0
		.amdhsa_exception_fp_ieee_inexact 0
		.amdhsa_exception_int_div_zero 0
	.end_amdhsa_kernel
	.section	.text._ZN2at4cuda12_GLOBAL__N_121kernelPointwiseApply2IZNS_6native9templates4cuda28bernoulli_tensor_cuda_kernelIbfEEvRKNS_10TensorBaseES9_NS_15PhiloxCudaStateEEUliRbSB_SB_SB_RKfSD_SD_SD_E_bSC_jLin1ELi2ELi4ELi512ELi2EEEvNS0_6detail10TensorInfoIT0_T2_EENSG_IT1_SI_EESI_T_,"axG",@progbits,_ZN2at4cuda12_GLOBAL__N_121kernelPointwiseApply2IZNS_6native9templates4cuda28bernoulli_tensor_cuda_kernelIbfEEvRKNS_10TensorBaseES9_NS_15PhiloxCudaStateEEUliRbSB_SB_SB_RKfSD_SD_SD_E_bSC_jLin1ELi2ELi4ELi512ELi2EEEvNS0_6detail10TensorInfoIT0_T2_EENSG_IT1_SI_EESI_T_,comdat
.Lfunc_end117:
	.size	_ZN2at4cuda12_GLOBAL__N_121kernelPointwiseApply2IZNS_6native9templates4cuda28bernoulli_tensor_cuda_kernelIbfEEvRKNS_10TensorBaseES9_NS_15PhiloxCudaStateEEUliRbSB_SB_SB_RKfSD_SD_SD_E_bSC_jLin1ELi2ELi4ELi512ELi2EEEvNS0_6detail10TensorInfoIT0_T2_EENSG_IT1_SI_EESI_T_, .Lfunc_end117-_ZN2at4cuda12_GLOBAL__N_121kernelPointwiseApply2IZNS_6native9templates4cuda28bernoulli_tensor_cuda_kernelIbfEEvRKNS_10TensorBaseES9_NS_15PhiloxCudaStateEEUliRbSB_SB_SB_RKfSD_SD_SD_E_bSC_jLin1ELi2ELi4ELi512ELi2EEEvNS0_6detail10TensorInfoIT0_T2_EENSG_IT1_SI_EESI_T_
                                        ; -- End function
	.section	.AMDGPU.csdata,"",@progbits
; Kernel info:
; codeLenInByte = 4740
; NumSgprs: 42
; NumVgprs: 42
; ScratchSize: 0
; MemoryBound: 0
; FloatMode: 240
; IeeeMode: 1
; LDSByteSize: 0 bytes/workgroup (compile time only)
; SGPRBlocks: 5
; VGPRBlocks: 5
; NumSGPRsForWavesPerEU: 42
; NumVGPRsForWavesPerEU: 42
; Occupancy: 16
; WaveLimiterHint : 1
; COMPUTE_PGM_RSRC2:SCRATCH_EN: 0
; COMPUTE_PGM_RSRC2:USER_SGPR: 15
; COMPUTE_PGM_RSRC2:TRAP_HANDLER: 0
; COMPUTE_PGM_RSRC2:TGID_X_EN: 1
; COMPUTE_PGM_RSRC2:TGID_Y_EN: 0
; COMPUTE_PGM_RSRC2:TGID_Z_EN: 0
; COMPUTE_PGM_RSRC2:TIDIG_COMP_CNT: 0
	.section	.text._ZN2at4cuda12_GLOBAL__N_121kernelPointwiseApply2IZNS_6native9templates4cuda28bernoulli_tensor_cuda_kernelIbfEEvRKNS_10TensorBaseES9_NS_15PhiloxCudaStateEEUliRbSB_SB_SB_RKfSD_SD_SD_E_bSC_jLin1ELin1ELi4ELi512ELi2EEEvNS0_6detail10TensorInfoIT0_T2_EENSG_IT1_SI_EESI_T_,"axG",@progbits,_ZN2at4cuda12_GLOBAL__N_121kernelPointwiseApply2IZNS_6native9templates4cuda28bernoulli_tensor_cuda_kernelIbfEEvRKNS_10TensorBaseES9_NS_15PhiloxCudaStateEEUliRbSB_SB_SB_RKfSD_SD_SD_E_bSC_jLin1ELin1ELi4ELi512ELi2EEEvNS0_6detail10TensorInfoIT0_T2_EENSG_IT1_SI_EESI_T_,comdat
	.globl	_ZN2at4cuda12_GLOBAL__N_121kernelPointwiseApply2IZNS_6native9templates4cuda28bernoulli_tensor_cuda_kernelIbfEEvRKNS_10TensorBaseES9_NS_15PhiloxCudaStateEEUliRbSB_SB_SB_RKfSD_SD_SD_E_bSC_jLin1ELin1ELi4ELi512ELi2EEEvNS0_6detail10TensorInfoIT0_T2_EENSG_IT1_SI_EESI_T_ ; -- Begin function _ZN2at4cuda12_GLOBAL__N_121kernelPointwiseApply2IZNS_6native9templates4cuda28bernoulli_tensor_cuda_kernelIbfEEvRKNS_10TensorBaseES9_NS_15PhiloxCudaStateEEUliRbSB_SB_SB_RKfSD_SD_SD_E_bSC_jLin1ELin1ELi4ELi512ELi2EEEvNS0_6detail10TensorInfoIT0_T2_EENSG_IT1_SI_EESI_T_
	.p2align	8
	.type	_ZN2at4cuda12_GLOBAL__N_121kernelPointwiseApply2IZNS_6native9templates4cuda28bernoulli_tensor_cuda_kernelIbfEEvRKNS_10TensorBaseES9_NS_15PhiloxCudaStateEEUliRbSB_SB_SB_RKfSD_SD_SD_E_bSC_jLin1ELin1ELi4ELi512ELi2EEEvNS0_6detail10TensorInfoIT0_T2_EENSG_IT1_SI_EESI_T_,@function
_ZN2at4cuda12_GLOBAL__N_121kernelPointwiseApply2IZNS_6native9templates4cuda28bernoulli_tensor_cuda_kernelIbfEEvRKNS_10TensorBaseES9_NS_15PhiloxCudaStateEEUliRbSB_SB_SB_RKfSD_SD_SD_E_bSC_jLin1ELin1ELi4ELi512ELi2EEEvNS0_6detail10TensorInfoIT0_T2_EENSG_IT1_SI_EESI_T_: ; @_ZN2at4cuda12_GLOBAL__N_121kernelPointwiseApply2IZNS_6native9templates4cuda28bernoulli_tensor_cuda_kernelIbfEEvRKNS_10TensorBaseES9_NS_15PhiloxCudaStateEEUliRbSB_SB_SB_RKfSD_SD_SD_E_bSC_jLin1ELin1ELi4ELi512ELi2EEEvNS0_6detail10TensorInfoIT0_T2_EENSG_IT1_SI_EESI_T_
; %bb.0:
	s_clause 0x1
	s_load_b32 s4, s[0:1], 0x1e4
	s_load_b32 s20, s[0:1], 0x1b0
	s_add_u32 s2, s0, 0x1d8
	s_addc_u32 s3, s1, 0
	s_waitcnt lgkmcnt(0)
	s_and_b32 s12, s4, 0xffff
	s_mov_b32 s4, exec_lo
	v_mad_u64_u32 v[1:2], null, s15, s12, v[0:1]
	s_delay_alu instid0(VALU_DEP_1) | instskip(NEXT) | instid1(VALU_DEP_1)
	v_lshlrev_b32_e32 v27, 2, v1
	v_cmpx_gt_u32_e64 s20, v27
	s_cbranch_execz .LBB118_93
; %bb.1:
	s_clause 0x2
	s_load_b32 s16, s[0:1], 0xd0
	s_load_b32 s17, s[0:1], 0x1a8
	s_load_b32 s14, s[0:1], 0x1d0
	s_load_b32 s15, s[2:3], 0x0
	s_clause 0x1
	s_load_b64 s[2:3], s[0:1], 0x1c8
	s_load_b128 s[4:7], s[0:1], 0x1b8
	s_add_u32 s18, s0, 0xd8
	s_addc_u32 s19, s1, 0
	s_clause 0x3
	s_load_b32 s21, s[0:1], 0x144
	s_load_b64 s[8:9], s[0:1], 0xd8
	s_load_b32 s22, s[0:1], 0x6c
	s_load_b64 s[10:11], s[0:1], 0x0
	s_mov_b32 s13, 0
	v_mad_u64_u32 v[2:3], null, 0xcd9e8d57, v1, 0
	v_mov_b32_e32 v4, 0
                                        ; implicit-def: $sgpr29
                                        ; implicit-def: $sgpr31
                                        ; implicit-def: $sgpr30
                                        ; implicit-def: $sgpr33
                                        ; implicit-def: $sgpr35
                                        ; implicit-def: $sgpr34
                                        ; implicit-def: $sgpr36
	s_delay_alu instid0(VALU_DEP_2)
	v_mov_b32_e32 v28, v3
	s_waitcnt lgkmcnt(0)
	s_cmp_gt_i32 s16, 1
	s_cselect_b32 s23, -1, 0
	s_cmp_gt_i32 s17, 1
	s_mul_i32 s15, s15, s12
	s_cselect_b32 s24, -1, 0
	s_bitcmp1_b32 s14, 0
	s_cselect_b32 s25, -1, 0
	s_add_i32 s12, s16, -1
	s_lshl_b32 s26, s15, 2
	s_lshl_b64 s[14:15], s[12:13], 2
	s_add_i32 s27, s16, 1
	s_add_u32 s0, s14, s0
	s_addc_u32 s1, s15, s1
	s_add_u32 s14, s0, 8
	s_addc_u32 s15, s1, 0
	s_add_i32 s12, s17, -1
	s_add_i32 s28, s17, 1
	s_lshl_b64 s[0:1], s[12:13], 2
                                        ; implicit-def: $sgpr12
	s_delay_alu instid0(SALU_CYCLE_1)
	s_add_u32 s0, s0, s18
	s_addc_u32 s1, s1, s19
	s_add_u32 s16, s0, 8
	s_addc_u32 s17, s1, 0
	s_branch .LBB118_3
.LBB118_2:                              ;   in Loop: Header=BB118_3 Depth=1
	s_or_b32 exec_lo, exec_lo, s1
	s_delay_alu instid0(SALU_CYCLE_1) | instskip(NEXT) | instid1(SALU_CYCLE_1)
	s_and_b32 s0, exec_lo, s0
	s_or_b32 s13, s0, s13
	s_and_not1_b32 s0, s12, exec_lo
	s_and_b32 s1, s36, exec_lo
	s_and_not1_b32 s18, s30, exec_lo
	s_and_b32 s19, s34, exec_lo
	s_or_b32 s12, s0, s1
	s_or_b32 s30, s18, s19
	s_and_not1_b32 s0, s31, exec_lo
	s_and_b32 s1, s35, exec_lo
	s_and_not1_b32 s18, s29, exec_lo
	s_and_b32 s19, s33, exec_lo
	s_or_b32 s31, s0, s1
	s_or_b32 s29, s18, s19
	s_and_not1_b32 exec_lo, exec_lo, s13
	s_cbranch_execz .LBB118_81
.LBB118_3:                              ; =>This Loop Header: Depth=1
                                        ;     Child Loop BB118_6 Depth 2
                                        ;     Child Loop BB118_11 Depth 2
	;; [unrolled: 1-line block ×8, first 2 shown]
	v_sub_nc_u32_e32 v29, s20, v27
	v_mov_b32_e32 v5, 0
	s_delay_alu instid0(VALU_DEP_2) | instskip(NEXT) | instid1(VALU_DEP_1)
	v_cmp_lt_i32_e64 s0, 0, v29
	s_and_saveexec_b32 s1, s0
	s_cbranch_execz .LBB118_8
; %bb.4:                                ;   in Loop: Header=BB118_3 Depth=1
	v_dual_mov_b32 v0, 0 :: v_dual_mov_b32 v3, v27
	s_and_not1_b32 vcc_lo, exec_lo, s23
	s_cbranch_vccnz .LBB118_7
; %bb.5:                                ;   in Loop: Header=BB118_3 Depth=1
	v_dual_mov_b32 v0, 0 :: v_dual_mov_b32 v3, v27
	s_mov_b64 s[18:19], s[14:15]
	s_mov_b32 s37, s27
	s_set_inst_prefetch_distance 0x1
	.p2align	6
.LBB118_6:                              ;   Parent Loop BB118_3 Depth=1
                                        ; =>  This Inner Loop Header: Depth=2
	s_clause 0x1
	s_load_b32 s38, s[18:19], 0x0
	s_load_b32 s39, s[18:19], 0x64
	v_mov_b32_e32 v7, v3
	s_add_i32 s37, s37, -1
	s_waitcnt lgkmcnt(0)
	v_cvt_f32_u32_e32 v5, s38
	s_sub_i32 s40, 0, s38
	s_add_u32 s18, s18, -4
	s_addc_u32 s19, s19, -1
	s_cmp_gt_u32 s37, 2
	v_rcp_iflag_f32_e32 v5, v5
	s_waitcnt_depctr 0xfff
	v_mul_f32_e32 v5, 0x4f7ffffe, v5
	s_delay_alu instid0(VALU_DEP_1) | instskip(NEXT) | instid1(VALU_DEP_1)
	v_cvt_u32_f32_e32 v5, v5
	v_mul_lo_u32 v6, s40, v5
	s_delay_alu instid0(VALU_DEP_1) | instskip(NEXT) | instid1(VALU_DEP_1)
	v_mul_hi_u32 v6, v5, v6
	v_add_nc_u32_e32 v3, v5, v6
	s_delay_alu instid0(VALU_DEP_1) | instskip(NEXT) | instid1(VALU_DEP_1)
	v_mul_hi_u32 v3, v7, v3
	v_add_nc_u32_e32 v6, 1, v3
	v_mul_lo_u32 v5, v3, s38
	s_delay_alu instid0(VALU_DEP_1) | instskip(NEXT) | instid1(VALU_DEP_1)
	v_sub_nc_u32_e32 v5, v7, v5
	v_subrev_nc_u32_e32 v8, s38, v5
	v_cmp_le_u32_e32 vcc_lo, s38, v5
	v_cndmask_b32_e32 v3, v3, v6, vcc_lo
	s_delay_alu instid0(VALU_DEP_1) | instskip(NEXT) | instid1(VALU_DEP_1)
	v_dual_cndmask_b32 v5, v5, v8 :: v_dual_add_nc_u32 v6, 1, v3
	v_cmp_le_u32_e32 vcc_lo, s38, v5
	s_delay_alu instid0(VALU_DEP_2) | instskip(NEXT) | instid1(VALU_DEP_1)
	v_cndmask_b32_e32 v3, v3, v6, vcc_lo
	v_mul_lo_u32 v5, v3, s38
	s_delay_alu instid0(VALU_DEP_1) | instskip(NEXT) | instid1(VALU_DEP_1)
	v_sub_nc_u32_e32 v7, v7, v5
	v_mad_u64_u32 v[5:6], null, s39, v7, v[0:1]
	s_delay_alu instid0(VALU_DEP_1)
	v_mov_b32_e32 v0, v5
	s_cbranch_scc1 .LBB118_6
.LBB118_7:                              ;   in Loop: Header=BB118_3 Depth=1
	s_set_inst_prefetch_distance 0x2
	s_delay_alu instid0(VALU_DEP_1)
	v_mad_u64_u32 v[5:6], null, s22, v3, v[0:1]
.LBB118_8:                              ;   in Loop: Header=BB118_3 Depth=1
	s_or_b32 exec_lo, exec_lo, s1
	v_mov_b32_e32 v3, 0
	s_and_saveexec_b32 s18, s0
	s_cbranch_execz .LBB118_13
; %bb.9:                                ;   in Loop: Header=BB118_3 Depth=1
	v_dual_mov_b32 v0, 0 :: v_dual_mov_b32 v3, v27
	s_and_not1_b32 vcc_lo, exec_lo, s24
	s_cbranch_vccnz .LBB118_12
; %bb.10:                               ;   in Loop: Header=BB118_3 Depth=1
	v_dual_mov_b32 v0, 0 :: v_dual_mov_b32 v3, v27
	s_mov_b64 s[0:1], s[16:17]
	s_mov_b32 s19, s28
	s_set_inst_prefetch_distance 0x1
	.p2align	6
.LBB118_11:                             ;   Parent Loop BB118_3 Depth=1
                                        ; =>  This Inner Loop Header: Depth=2
	s_clause 0x1
	s_load_b32 s37, s[0:1], 0x0
	s_load_b32 s38, s[0:1], 0x64
	s_add_i32 s19, s19, -1
	s_waitcnt lgkmcnt(0)
	v_cvt_f32_u32_e32 v6, s37
	s_sub_i32 s39, 0, s37
	s_add_u32 s0, s0, -4
	s_addc_u32 s1, s1, -1
	s_cmp_gt_u32 s19, 2
	v_rcp_iflag_f32_e32 v6, v6
	s_waitcnt_depctr 0xfff
	v_mul_f32_e32 v6, 0x4f7ffffe, v6
	s_delay_alu instid0(VALU_DEP_1) | instskip(NEXT) | instid1(VALU_DEP_1)
	v_cvt_u32_f32_e32 v6, v6
	v_mul_lo_u32 v7, s39, v6
	s_delay_alu instid0(VALU_DEP_1) | instskip(NEXT) | instid1(VALU_DEP_1)
	v_mul_hi_u32 v7, v6, v7
	v_dual_mov_b32 v8, v3 :: v_dual_add_nc_u32 v3, v6, v7
	s_delay_alu instid0(VALU_DEP_1) | instskip(NEXT) | instid1(VALU_DEP_1)
	v_mul_hi_u32 v3, v8, v3
	v_mul_lo_u32 v6, v3, s37
	v_add_nc_u32_e32 v7, 1, v3
	s_delay_alu instid0(VALU_DEP_2) | instskip(NEXT) | instid1(VALU_DEP_1)
	v_sub_nc_u32_e32 v6, v8, v6
	v_subrev_nc_u32_e32 v9, s37, v6
	v_cmp_le_u32_e32 vcc_lo, s37, v6
	s_delay_alu instid0(VALU_DEP_2) | instskip(NEXT) | instid1(VALU_DEP_1)
	v_dual_cndmask_b32 v3, v3, v7 :: v_dual_cndmask_b32 v6, v6, v9
	v_add_nc_u32_e32 v7, 1, v3
	s_delay_alu instid0(VALU_DEP_2) | instskip(NEXT) | instid1(VALU_DEP_2)
	v_cmp_le_u32_e32 vcc_lo, s37, v6
	v_cndmask_b32_e32 v3, v3, v7, vcc_lo
	s_delay_alu instid0(VALU_DEP_1) | instskip(NEXT) | instid1(VALU_DEP_1)
	v_mul_lo_u32 v6, v3, s37
	v_sub_nc_u32_e32 v8, v8, v6
	s_delay_alu instid0(VALU_DEP_1) | instskip(NEXT) | instid1(VALU_DEP_1)
	v_mad_u64_u32 v[6:7], null, s38, v8, v[0:1]
	v_mov_b32_e32 v0, v6
	s_cbranch_scc1 .LBB118_11
.LBB118_12:                             ;   in Loop: Header=BB118_3 Depth=1
	s_set_inst_prefetch_distance 0x2
	s_delay_alu instid0(VALU_DEP_1) | instskip(NEXT) | instid1(VALU_DEP_1)
	v_mad_u64_u32 v[6:7], null, s21, v3, v[0:1]
	v_mov_b32_e32 v3, v6
.LBB118_13:                             ;   in Loop: Header=BB118_3 Depth=1
	s_or_b32 exec_lo, exec_lo, s18
	v_or_b32_e32 v8, 1, v27
	v_cmp_lt_i32_e64 s0, 1, v29
	v_mov_b32_e32 v6, 0
	s_delay_alu instid0(VALU_DEP_2)
	s_and_saveexec_b32 s1, s0
	s_cbranch_execz .LBB118_18
; %bb.14:                               ;   in Loop: Header=BB118_3 Depth=1
	v_dual_mov_b32 v0, 0 :: v_dual_mov_b32 v9, v8
	s_and_not1_b32 vcc_lo, exec_lo, s23
	s_cbranch_vccnz .LBB118_17
; %bb.15:                               ;   in Loop: Header=BB118_3 Depth=1
	v_dual_mov_b32 v0, 0 :: v_dual_mov_b32 v9, v8
	s_mov_b64 s[18:19], s[14:15]
	s_mov_b32 s37, s27
	s_set_inst_prefetch_distance 0x1
	.p2align	6
.LBB118_16:                             ;   Parent Loop BB118_3 Depth=1
                                        ; =>  This Inner Loop Header: Depth=2
	s_clause 0x1
	s_load_b32 s38, s[18:19], 0x0
	s_load_b32 s39, s[18:19], 0x64
	v_mov_b32_e32 v10, v9
	s_add_i32 s37, s37, -1
	s_waitcnt lgkmcnt(0)
	v_cvt_f32_u32_e32 v6, s38
	s_sub_i32 s40, 0, s38
	s_add_u32 s18, s18, -4
	s_addc_u32 s19, s19, -1
	s_cmp_gt_u32 s37, 2
	v_rcp_iflag_f32_e32 v6, v6
	s_waitcnt_depctr 0xfff
	v_mul_f32_e32 v6, 0x4f7ffffe, v6
	s_delay_alu instid0(VALU_DEP_1) | instskip(NEXT) | instid1(VALU_DEP_1)
	v_cvt_u32_f32_e32 v6, v6
	v_mul_lo_u32 v7, s40, v6
	s_delay_alu instid0(VALU_DEP_1) | instskip(NEXT) | instid1(VALU_DEP_1)
	v_mul_hi_u32 v7, v6, v7
	v_add_nc_u32_e32 v6, v6, v7
	s_delay_alu instid0(VALU_DEP_1) | instskip(NEXT) | instid1(VALU_DEP_1)
	v_mul_hi_u32 v6, v10, v6
	v_mul_lo_u32 v7, v6, s38
	v_add_nc_u32_e32 v9, 1, v6
	s_delay_alu instid0(VALU_DEP_2) | instskip(NEXT) | instid1(VALU_DEP_1)
	v_sub_nc_u32_e32 v7, v10, v7
	v_subrev_nc_u32_e32 v11, s38, v7
	v_cmp_le_u32_e32 vcc_lo, s38, v7
	s_delay_alu instid0(VALU_DEP_2) | instskip(NEXT) | instid1(VALU_DEP_1)
	v_dual_cndmask_b32 v7, v7, v11 :: v_dual_cndmask_b32 v6, v6, v9
	v_cmp_le_u32_e32 vcc_lo, s38, v7
	s_delay_alu instid0(VALU_DEP_2) | instskip(NEXT) | instid1(VALU_DEP_1)
	v_add_nc_u32_e32 v9, 1, v6
	v_cndmask_b32_e32 v9, v6, v9, vcc_lo
	s_delay_alu instid0(VALU_DEP_1) | instskip(NEXT) | instid1(VALU_DEP_1)
	v_mul_lo_u32 v6, v9, s38
	v_sub_nc_u32_e32 v10, v10, v6
	s_delay_alu instid0(VALU_DEP_1) | instskip(NEXT) | instid1(VALU_DEP_1)
	v_mad_u64_u32 v[6:7], null, s39, v10, v[0:1]
	v_mov_b32_e32 v0, v6
	s_cbranch_scc1 .LBB118_16
.LBB118_17:                             ;   in Loop: Header=BB118_3 Depth=1
	s_set_inst_prefetch_distance 0x2
	s_delay_alu instid0(VALU_DEP_1)
	v_mad_u64_u32 v[6:7], null, s22, v9, v[0:1]
.LBB118_18:                             ;   in Loop: Header=BB118_3 Depth=1
	s_or_b32 exec_lo, exec_lo, s1
	v_mov_b32_e32 v10, 0
	s_and_saveexec_b32 s18, s0
	s_cbranch_execz .LBB118_23
; %bb.19:                               ;   in Loop: Header=BB118_3 Depth=1
	v_mov_b32_e32 v0, 0
	s_and_not1_b32 vcc_lo, exec_lo, s24
	s_cbranch_vccnz .LBB118_22
; %bb.20:                               ;   in Loop: Header=BB118_3 Depth=1
	v_mov_b32_e32 v0, 0
	s_mov_b64 s[0:1], s[16:17]
	s_mov_b32 s19, s28
	s_set_inst_prefetch_distance 0x1
	.p2align	6
.LBB118_21:                             ;   Parent Loop BB118_3 Depth=1
                                        ; =>  This Inner Loop Header: Depth=2
	s_clause 0x1
	s_load_b32 s37, s[0:1], 0x0
	s_load_b32 s38, s[0:1], 0x64
	s_add_i32 s19, s19, -1
	v_mov_b32_e32 v10, v8
	s_waitcnt lgkmcnt(0)
	v_cvt_f32_u32_e32 v7, s37
	s_sub_i32 s39, 0, s37
	s_add_u32 s0, s0, -4
	s_addc_u32 s1, s1, -1
	s_cmp_gt_u32 s19, 2
	v_rcp_iflag_f32_e32 v7, v7
	s_waitcnt_depctr 0xfff
	v_mul_f32_e32 v7, 0x4f7ffffe, v7
	s_delay_alu instid0(VALU_DEP_1) | instskip(NEXT) | instid1(VALU_DEP_1)
	v_cvt_u32_f32_e32 v7, v7
	v_mul_lo_u32 v9, s39, v7
	s_delay_alu instid0(VALU_DEP_1) | instskip(NEXT) | instid1(VALU_DEP_1)
	v_mul_hi_u32 v9, v7, v9
	v_add_nc_u32_e32 v7, v7, v9
	s_delay_alu instid0(VALU_DEP_1) | instskip(NEXT) | instid1(VALU_DEP_1)
	v_mul_hi_u32 v7, v10, v7
	v_mul_lo_u32 v8, v7, s37
	v_add_nc_u32_e32 v9, 1, v7
	s_delay_alu instid0(VALU_DEP_2) | instskip(NEXT) | instid1(VALU_DEP_1)
	v_sub_nc_u32_e32 v8, v10, v8
	v_subrev_nc_u32_e32 v11, s37, v8
	v_cmp_le_u32_e32 vcc_lo, s37, v8
	s_delay_alu instid0(VALU_DEP_2) | instskip(NEXT) | instid1(VALU_DEP_1)
	v_dual_cndmask_b32 v8, v8, v11 :: v_dual_cndmask_b32 v7, v7, v9
	v_cmp_le_u32_e32 vcc_lo, s37, v8
	s_delay_alu instid0(VALU_DEP_2) | instskip(NEXT) | instid1(VALU_DEP_1)
	v_add_nc_u32_e32 v9, 1, v7
	v_cndmask_b32_e32 v8, v7, v9, vcc_lo
	s_delay_alu instid0(VALU_DEP_1) | instskip(NEXT) | instid1(VALU_DEP_1)
	v_mul_lo_u32 v7, v8, s37
	v_sub_nc_u32_e32 v7, v10, v7
	s_delay_alu instid0(VALU_DEP_1) | instskip(NEXT) | instid1(VALU_DEP_1)
	v_mad_u64_u32 v[9:10], null, s38, v7, v[0:1]
	v_mov_b32_e32 v0, v9
	s_cbranch_scc1 .LBB118_21
.LBB118_22:                             ;   in Loop: Header=BB118_3 Depth=1
	s_set_inst_prefetch_distance 0x2
	s_delay_alu instid0(VALU_DEP_1)
	v_mad_u64_u32 v[10:11], null, s21, v8, v[0:1]
.LBB118_23:                             ;   in Loop: Header=BB118_3 Depth=1
	s_or_b32 exec_lo, exec_lo, s18
	v_or_b32_e32 v9, 2, v27
	v_cmp_lt_i32_e64 s0, 2, v29
	v_mov_b32_e32 v7, 0
	s_delay_alu instid0(VALU_DEP_2)
	s_and_saveexec_b32 s1, s0
	s_cbranch_execz .LBB118_28
; %bb.24:                               ;   in Loop: Header=BB118_3 Depth=1
	v_dual_mov_b32 v0, 0 :: v_dual_mov_b32 v11, v9
	s_and_not1_b32 vcc_lo, exec_lo, s23
	s_cbranch_vccnz .LBB118_27
; %bb.25:                               ;   in Loop: Header=BB118_3 Depth=1
	v_dual_mov_b32 v0, 0 :: v_dual_mov_b32 v11, v9
	s_mov_b64 s[18:19], s[14:15]
	s_mov_b32 s37, s27
	s_set_inst_prefetch_distance 0x1
	.p2align	6
.LBB118_26:                             ;   Parent Loop BB118_3 Depth=1
                                        ; =>  This Inner Loop Header: Depth=2
	s_clause 0x1
	s_load_b32 s38, s[18:19], 0x0
	s_load_b32 s39, s[18:19], 0x64
	s_add_i32 s37, s37, -1
	v_mov_b32_e32 v12, v11
	s_waitcnt lgkmcnt(0)
	v_cvt_f32_u32_e32 v7, s38
	s_sub_i32 s40, 0, s38
	s_add_u32 s18, s18, -4
	s_addc_u32 s19, s19, -1
	s_cmp_gt_u32 s37, 2
	v_rcp_iflag_f32_e32 v7, v7
	s_waitcnt_depctr 0xfff
	v_mul_f32_e32 v7, 0x4f7ffffe, v7
	s_delay_alu instid0(VALU_DEP_1) | instskip(NEXT) | instid1(VALU_DEP_1)
	v_cvt_u32_f32_e32 v7, v7
	v_mul_lo_u32 v8, s40, v7
	s_delay_alu instid0(VALU_DEP_1) | instskip(NEXT) | instid1(VALU_DEP_1)
	v_mul_hi_u32 v8, v7, v8
	v_add_nc_u32_e32 v7, v7, v8
	s_delay_alu instid0(VALU_DEP_1) | instskip(NEXT) | instid1(VALU_DEP_1)
	v_mul_hi_u32 v7, v12, v7
	v_mul_lo_u32 v8, v7, s38
	v_add_nc_u32_e32 v11, 1, v7
	s_delay_alu instid0(VALU_DEP_2) | instskip(NEXT) | instid1(VALU_DEP_1)
	v_sub_nc_u32_e32 v8, v12, v8
	v_subrev_nc_u32_e32 v13, s38, v8
	v_cmp_le_u32_e32 vcc_lo, s38, v8
	s_delay_alu instid0(VALU_DEP_2) | instskip(NEXT) | instid1(VALU_DEP_1)
	v_dual_cndmask_b32 v7, v7, v11 :: v_dual_cndmask_b32 v8, v8, v13
	v_add_nc_u32_e32 v11, 1, v7
	s_delay_alu instid0(VALU_DEP_2) | instskip(NEXT) | instid1(VALU_DEP_2)
	v_cmp_le_u32_e32 vcc_lo, s38, v8
	v_cndmask_b32_e32 v11, v7, v11, vcc_lo
	s_delay_alu instid0(VALU_DEP_1) | instskip(NEXT) | instid1(VALU_DEP_1)
	v_mul_lo_u32 v7, v11, s38
	v_sub_nc_u32_e32 v12, v12, v7
	s_delay_alu instid0(VALU_DEP_1) | instskip(NEXT) | instid1(VALU_DEP_1)
	v_mad_u64_u32 v[7:8], null, s39, v12, v[0:1]
	v_mov_b32_e32 v0, v7
	s_cbranch_scc1 .LBB118_26
.LBB118_27:                             ;   in Loop: Header=BB118_3 Depth=1
	s_set_inst_prefetch_distance 0x2
	s_delay_alu instid0(VALU_DEP_1)
	v_mad_u64_u32 v[7:8], null, s22, v11, v[0:1]
.LBB118_28:                             ;   in Loop: Header=BB118_3 Depth=1
	s_or_b32 exec_lo, exec_lo, s1
	v_mov_b32_e32 v12, 0
	v_mov_b32_e32 v13, 0
	s_and_saveexec_b32 s18, s0
	s_cbranch_execz .LBB118_33
; %bb.29:                               ;   in Loop: Header=BB118_3 Depth=1
	v_mov_b32_e32 v0, 0
	s_and_not1_b32 vcc_lo, exec_lo, s24
	s_cbranch_vccnz .LBB118_32
; %bb.30:                               ;   in Loop: Header=BB118_3 Depth=1
	v_mov_b32_e32 v0, 0
	s_mov_b64 s[0:1], s[16:17]
	s_mov_b32 s19, s28
	s_set_inst_prefetch_distance 0x1
	.p2align	6
.LBB118_31:                             ;   Parent Loop BB118_3 Depth=1
                                        ; =>  This Inner Loop Header: Depth=2
	s_clause 0x1
	s_load_b32 s37, s[0:1], 0x0
	s_load_b32 s38, s[0:1], 0x64
	v_mov_b32_e32 v12, v9
	s_add_i32 s19, s19, -1
	s_waitcnt lgkmcnt(0)
	v_cvt_f32_u32_e32 v8, s37
	s_sub_i32 s39, 0, s37
	s_add_u32 s0, s0, -4
	s_addc_u32 s1, s1, -1
	s_cmp_gt_u32 s19, 2
	v_rcp_iflag_f32_e32 v8, v8
	s_waitcnt_depctr 0xfff
	v_mul_f32_e32 v8, 0x4f7ffffe, v8
	s_delay_alu instid0(VALU_DEP_1) | instskip(NEXT) | instid1(VALU_DEP_1)
	v_cvt_u32_f32_e32 v8, v8
	v_mul_lo_u32 v11, s39, v8
	s_delay_alu instid0(VALU_DEP_1) | instskip(NEXT) | instid1(VALU_DEP_1)
	v_mul_hi_u32 v11, v8, v11
	v_add_nc_u32_e32 v8, v8, v11
	s_delay_alu instid0(VALU_DEP_1) | instskip(NEXT) | instid1(VALU_DEP_1)
	v_mul_hi_u32 v8, v12, v8
	v_mul_lo_u32 v9, v8, s37
	v_add_nc_u32_e32 v11, 1, v8
	s_delay_alu instid0(VALU_DEP_2) | instskip(NEXT) | instid1(VALU_DEP_1)
	v_sub_nc_u32_e32 v9, v12, v9
	v_subrev_nc_u32_e32 v13, s37, v9
	v_cmp_le_u32_e32 vcc_lo, s37, v9
	s_delay_alu instid0(VALU_DEP_2) | instskip(NEXT) | instid1(VALU_DEP_1)
	v_dual_cndmask_b32 v9, v9, v13 :: v_dual_cndmask_b32 v8, v8, v11
	v_cmp_le_u32_e32 vcc_lo, s37, v9
	s_delay_alu instid0(VALU_DEP_2) | instskip(NEXT) | instid1(VALU_DEP_1)
	v_add_nc_u32_e32 v11, 1, v8
	v_cndmask_b32_e32 v9, v8, v11, vcc_lo
	s_delay_alu instid0(VALU_DEP_1) | instskip(NEXT) | instid1(VALU_DEP_1)
	v_mul_lo_u32 v8, v9, s37
	v_sub_nc_u32_e32 v8, v12, v8
	s_delay_alu instid0(VALU_DEP_1) | instskip(NEXT) | instid1(VALU_DEP_1)
	v_mad_u64_u32 v[11:12], null, s38, v8, v[0:1]
	v_mov_b32_e32 v0, v11
	s_cbranch_scc1 .LBB118_31
.LBB118_32:                             ;   in Loop: Header=BB118_3 Depth=1
	s_set_inst_prefetch_distance 0x2
	s_delay_alu instid0(VALU_DEP_1)
	v_mad_u64_u32 v[12:13], null, s21, v9, v[0:1]
	v_mov_b32_e32 v13, v4
.LBB118_33:                             ;   in Loop: Header=BB118_3 Depth=1
	s_or_b32 exec_lo, exec_lo, s18
	v_mov_b32_e32 v8, 0
	v_or_b32_e32 v11, 3, v27
	v_mov_b32_e32 v9, 0
	v_cmp_lt_i32_e64 s0, 3, v29
	s_delay_alu instid0(VALU_DEP_1)
	s_and_saveexec_b32 s1, s0
	s_cbranch_execz .LBB118_38
; %bb.34:                               ;   in Loop: Header=BB118_3 Depth=1
	v_mov_b32_e32 v0, 0
	v_mov_b32_e32 v14, v11
	s_and_not1_b32 vcc_lo, exec_lo, s23
	s_cbranch_vccnz .LBB118_37
; %bb.35:                               ;   in Loop: Header=BB118_3 Depth=1
	v_mov_b32_e32 v0, 0
	v_mov_b32_e32 v14, v11
	s_mov_b64 s[18:19], s[14:15]
	s_mov_b32 s37, s27
	s_set_inst_prefetch_distance 0x1
	.p2align	6
.LBB118_36:                             ;   Parent Loop BB118_3 Depth=1
                                        ; =>  This Inner Loop Header: Depth=2
	s_clause 0x1
	s_load_b32 s38, s[18:19], 0x0
	s_load_b32 s39, s[18:19], 0x64
	s_add_i32 s37, s37, -1
	v_mov_b32_e32 v15, v14
	s_waitcnt lgkmcnt(0)
	v_cvt_f32_u32_e32 v8, s38
	s_sub_i32 s40, 0, s38
	s_add_u32 s18, s18, -4
	s_addc_u32 s19, s19, -1
	s_cmp_gt_u32 s37, 2
	v_rcp_iflag_f32_e32 v8, v8
	s_waitcnt_depctr 0xfff
	v_mul_f32_e32 v8, 0x4f7ffffe, v8
	s_delay_alu instid0(VALU_DEP_1) | instskip(NEXT) | instid1(VALU_DEP_1)
	v_cvt_u32_f32_e32 v8, v8
	v_mul_lo_u32 v9, s40, v8
	s_delay_alu instid0(VALU_DEP_1) | instskip(NEXT) | instid1(VALU_DEP_1)
	v_mul_hi_u32 v9, v8, v9
	v_add_nc_u32_e32 v8, v8, v9
	s_delay_alu instid0(VALU_DEP_1) | instskip(NEXT) | instid1(VALU_DEP_1)
	v_mul_hi_u32 v8, v15, v8
	v_mul_lo_u32 v9, v8, s38
	v_add_nc_u32_e32 v14, 1, v8
	s_delay_alu instid0(VALU_DEP_2) | instskip(NEXT) | instid1(VALU_DEP_1)
	v_sub_nc_u32_e32 v9, v15, v9
	v_subrev_nc_u32_e32 v16, s38, v9
	v_cmp_le_u32_e32 vcc_lo, s38, v9
	s_delay_alu instid0(VALU_DEP_2) | instskip(NEXT) | instid1(VALU_DEP_1)
	v_dual_cndmask_b32 v9, v9, v16 :: v_dual_cndmask_b32 v8, v8, v14
	v_cmp_le_u32_e32 vcc_lo, s38, v9
	s_delay_alu instid0(VALU_DEP_2) | instskip(NEXT) | instid1(VALU_DEP_1)
	v_add_nc_u32_e32 v14, 1, v8
	v_cndmask_b32_e32 v14, v8, v14, vcc_lo
	s_delay_alu instid0(VALU_DEP_1) | instskip(NEXT) | instid1(VALU_DEP_1)
	v_mul_lo_u32 v8, v14, s38
	v_sub_nc_u32_e32 v15, v15, v8
	s_delay_alu instid0(VALU_DEP_1) | instskip(NEXT) | instid1(VALU_DEP_1)
	v_mad_u64_u32 v[8:9], null, s39, v15, v[0:1]
	v_mov_b32_e32 v0, v8
	s_cbranch_scc1 .LBB118_36
.LBB118_37:                             ;   in Loop: Header=BB118_3 Depth=1
	s_set_inst_prefetch_distance 0x2
	s_delay_alu instid0(VALU_DEP_1)
	v_mad_u64_u32 v[8:9], null, s22, v14, v[0:1]
	v_mov_b32_e32 v9, v4
.LBB118_38:                             ;   in Loop: Header=BB118_3 Depth=1
	s_or_b32 exec_lo, exec_lo, s1
	v_mov_b32_e32 v14, 0
	v_mov_b32_e32 v15, 0
	s_and_saveexec_b32 s18, s0
	s_cbranch_execz .LBB118_43
; %bb.39:                               ;   in Loop: Header=BB118_3 Depth=1
	v_mov_b32_e32 v0, 0
	s_and_not1_b32 vcc_lo, exec_lo, s24
	s_cbranch_vccnz .LBB118_42
; %bb.40:                               ;   in Loop: Header=BB118_3 Depth=1
	v_mov_b32_e32 v0, 0
	s_mov_b64 s[0:1], s[16:17]
	s_mov_b32 s19, s28
	s_set_inst_prefetch_distance 0x1
	.p2align	6
.LBB118_41:                             ;   Parent Loop BB118_3 Depth=1
                                        ; =>  This Inner Loop Header: Depth=2
	s_clause 0x1
	s_load_b32 s37, s[0:1], 0x0
	s_load_b32 s38, s[0:1], 0x64
	s_add_i32 s19, s19, -1
	s_waitcnt lgkmcnt(0)
	v_cvt_f32_u32_e32 v14, s37
	s_sub_i32 s39, 0, s37
	s_add_u32 s0, s0, -4
	s_addc_u32 s1, s1, -1
	s_cmp_gt_u32 s19, 2
	v_rcp_iflag_f32_e32 v14, v14
	s_waitcnt_depctr 0xfff
	v_mul_f32_e32 v14, 0x4f7ffffe, v14
	s_delay_alu instid0(VALU_DEP_1) | instskip(NEXT) | instid1(VALU_DEP_1)
	v_cvt_u32_f32_e32 v14, v14
	v_mul_lo_u32 v15, s39, v14
	s_delay_alu instid0(VALU_DEP_1) | instskip(NEXT) | instid1(VALU_DEP_1)
	v_mul_hi_u32 v15, v14, v15
	v_dual_mov_b32 v16, v11 :: v_dual_add_nc_u32 v11, v14, v15
	s_delay_alu instid0(VALU_DEP_1) | instskip(NEXT) | instid1(VALU_DEP_1)
	v_mul_hi_u32 v11, v16, v11
	v_mul_lo_u32 v14, v11, s37
	v_add_nc_u32_e32 v15, 1, v11
	s_delay_alu instid0(VALU_DEP_2) | instskip(NEXT) | instid1(VALU_DEP_1)
	v_sub_nc_u32_e32 v14, v16, v14
	v_subrev_nc_u32_e32 v17, s37, v14
	v_cmp_le_u32_e32 vcc_lo, s37, v14
	s_delay_alu instid0(VALU_DEP_2) | instskip(NEXT) | instid1(VALU_DEP_1)
	v_dual_cndmask_b32 v11, v11, v15 :: v_dual_cndmask_b32 v14, v14, v17
	v_add_nc_u32_e32 v15, 1, v11
	s_delay_alu instid0(VALU_DEP_2) | instskip(NEXT) | instid1(VALU_DEP_2)
	v_cmp_le_u32_e32 vcc_lo, s37, v14
	v_cndmask_b32_e32 v11, v11, v15, vcc_lo
	s_delay_alu instid0(VALU_DEP_1) | instskip(NEXT) | instid1(VALU_DEP_1)
	v_mul_lo_u32 v14, v11, s37
	v_sub_nc_u32_e32 v16, v16, v14
	s_delay_alu instid0(VALU_DEP_1) | instskip(NEXT) | instid1(VALU_DEP_1)
	v_mad_u64_u32 v[14:15], null, s38, v16, v[0:1]
	v_mov_b32_e32 v0, v14
	s_cbranch_scc1 .LBB118_41
.LBB118_42:                             ;   in Loop: Header=BB118_3 Depth=1
	s_set_inst_prefetch_distance 0x2
	s_delay_alu instid0(VALU_DEP_1)
	v_mad_u64_u32 v[14:15], null, s21, v11, v[0:1]
	v_mov_b32_e32 v15, v4
.LBB118_43:                             ;   in Loop: Header=BB118_3 Depth=1
	s_or_b32 exec_lo, exec_lo, s18
	v_mov_b32_e32 v11, v4
	v_lshlrev_b64 v[16:17], 2, v[3:4]
	v_lshlrev_b64 v[12:13], 2, v[12:13]
	v_lshlrev_b64 v[14:15], 2, v[14:15]
	s_delay_alu instid0(VALU_DEP_4) | instskip(NEXT) | instid1(VALU_DEP_4)
	v_lshlrev_b64 v[10:11], 2, v[10:11]
	v_add_co_u32 v16, vcc_lo, s8, v16
	v_add_co_ci_u32_e32 v17, vcc_lo, s9, v17, vcc_lo
	s_delay_alu instid0(VALU_DEP_3) | instskip(NEXT) | instid1(VALU_DEP_4)
	v_add_co_u32 v10, vcc_lo, s8, v10
	v_add_co_ci_u32_e32 v11, vcc_lo, s9, v11, vcc_lo
	v_add_co_u32 v12, vcc_lo, s8, v12
	v_add_co_ci_u32_e32 v13, vcc_lo, s9, v13, vcc_lo
	v_add_co_u32 v14, vcc_lo, s8, v14
	v_add_co_ci_u32_e32 v15, vcc_lo, s9, v15, vcc_lo
	s_clause 0x3
	global_load_b32 v0, v[16:17], off
	global_load_b32 v3, v[10:11], off
	;; [unrolled: 1-line block ×4, first 2 shown]
	v_mov_b32_e32 v15, s7
	v_dual_mov_b32 v17, s5 :: v_dual_mov_b32 v16, s4
	v_mov_b32_e32 v14, s6
	s_and_not1_b32 vcc_lo, exec_lo, s25
	s_cbranch_vccnz .LBB118_45
; %bb.44:                               ;   in Loop: Header=BB118_3 Depth=1
	v_dual_mov_b32 v11, s7 :: v_dual_mov_b32 v10, s6
	v_dual_mov_b32 v13, s5 :: v_dual_mov_b32 v12, s4
	flat_load_b64 v[10:11], v[10:11]
	flat_load_b64 v[16:17], v[12:13]
	s_waitcnt vmcnt(1) lgkmcnt(1)
	v_add_co_u32 v14, vcc_lo, v10, s2
	v_add_co_ci_u32_e32 v15, vcc_lo, s3, v11, vcc_lo
.LBB118_45:                             ;   in Loop: Header=BB118_3 Depth=1
	s_delay_alu instid0(VALU_DEP_1)
	v_alignbit_b32 v13, v15, v14, 2
	v_lshrrev_b32_e32 v12, 2, v15
	s_waitcnt vmcnt(0) lgkmcnt(0)
	v_add_nc_u32_e32 v32, 0x9e3779b9, v16
	v_add_nc_u32_e32 v34, 0x76cf5d0a, v17
	;; [unrolled: 1-line block ×3, first 2 shown]
	v_add_co_u32 v15, vcc_lo, v13, 1
	s_delay_alu instid0(VALU_DEP_1) | instskip(SKIP_4) | instid1(VALU_DEP_4)
	v_cndmask_b32_e64 v10, 0, 1, vcc_lo
	v_add_co_ci_u32_e32 v24, vcc_lo, 0, v12, vcc_lo
	v_xor3_b32 v20, v28, v16, v12
	v_add_nc_u32_e32 v36, 0x32370b8f, v17
	v_add_nc_u32_e32 v37, 0xed9eba14, v17
	v_cmp_eq_u32_e32 vcc_lo, 0, v24
	v_add_nc_u32_e32 v38, 0x1715609d, v16
	v_add_nc_u32_e32 v39, 0xa9066899, v17
	s_mov_b32 s0, exec_lo
	v_dual_cndmask_b32 v18, 0, v10 :: v_dual_add_nc_u32 v33, 0xbb67ae85, v17
	v_mad_u64_u32 v[10:11], null, 0xd2511f53, v15, 0
	s_delay_alu instid0(VALU_DEP_2) | instskip(NEXT) | instid1(VALU_DEP_2)
	v_add_nc_u32_e32 v15, v18, v1
	v_xor_b32_e32 v19, v11, v17
	s_delay_alu instid0(VALU_DEP_2) | instskip(SKIP_2) | instid1(VALU_DEP_1)
	v_cmp_eq_u32_e32 vcc_lo, 0, v15
	v_mad_u64_u32 v[11:12], null, 0xd2511f53, v13, 0
	v_cndmask_b32_e32 v18, 0, v18, vcc_lo
	v_xor_b32_e32 v13, v18, v19
	v_mad_u64_u32 v[18:19], null, 0xd2511f53, v20, 0
	v_mad_u64_u32 v[20:21], null, 0xcd9e8d57, v15, 0
	s_delay_alu instid0(VALU_DEP_3) | instskip(SKIP_3) | instid1(VALU_DEP_3)
	v_mad_u64_u32 v[22:23], null, 0xcd9e8d57, v13, 0
	v_xor_b32_e32 v13, v12, v17
	v_add_nc_u32_e32 v15, 0x3c6ef372, v16
	v_xor3_b32 v25, v33, v19, v11
	v_mad_u64_u32 v[11:12], null, 0xcd9e8d57, v13, 0
	v_xor3_b32 v13, v21, v16, v24
	v_xor3_b32 v21, v32, v23, v20
	s_delay_alu instid0(VALU_DEP_4) | instskip(NEXT) | instid1(VALU_DEP_3)
	v_mad_u64_u32 v[19:20], null, 0xcd9e8d57, v25, 0
	v_mad_u64_u32 v[23:24], null, 0xd2511f53, v13, 0
	s_delay_alu instid0(VALU_DEP_3) | instskip(SKIP_1) | instid1(VALU_DEP_4)
	v_mad_u64_u32 v[25:26], null, 0xd2511f53, v21, 0
	v_xor3_b32 v13, v2, v12, v32
	v_xor3_b32 v32, v15, v20, v11
	s_delay_alu instid0(VALU_DEP_4) | instskip(NEXT) | instid1(VALU_DEP_3)
	v_xor3_b32 v10, v33, v24, v10
	v_mad_u64_u32 v[11:12], null, 0xd2511f53, v13, 0
	v_xor3_b32 v13, v34, v26, v23
	s_delay_alu instid0(VALU_DEP_4) | instskip(NEXT) | instid1(VALU_DEP_4)
	v_mad_u64_u32 v[20:21], null, 0xd2511f53, v32, 0
	v_mad_u64_u32 v[23:24], null, 0xcd9e8d57, v10, 0
	s_delay_alu instid0(VALU_DEP_3) | instskip(SKIP_4) | instid1(VALU_DEP_4)
	v_mad_u64_u32 v[32:33], null, 0xcd9e8d57, v13, 0
	v_xor3_b32 v12, v34, v12, v18
	v_add_nc_u32_e32 v26, 0x78dde6e4, v16
	v_xor3_b32 v18, v36, v21, v11
	v_xor3_b32 v15, v15, v24, v22
	v_mad_u64_u32 v[10:11], null, 0xcd9e8d57, v12, 0
	v_xor3_b32 v33, v35, v33, v23
	s_delay_alu instid0(VALU_DEP_4) | instskip(NEXT) | instid1(VALU_DEP_4)
	v_mad_u64_u32 v[12:13], null, 0xcd9e8d57, v18, 0
	v_mad_u64_u32 v[21:22], null, 0xd2511f53, v15, 0
	s_delay_alu instid0(VALU_DEP_3) | instskip(SKIP_1) | instid1(VALU_DEP_4)
	v_mad_u64_u32 v[23:24], null, 0xd2511f53, v33, 0
	v_xor3_b32 v15, v35, v11, v19
	v_xor3_b32 v13, v26, v13, v10
	s_delay_alu instid0(VALU_DEP_2) | instskip(SKIP_2) | instid1(VALU_DEP_4)
	v_mad_u64_u32 v[10:11], null, 0xd2511f53, v15, 0
	v_xor3_b32 v15, v36, v22, v25
	v_xor3_b32 v21, v37, v24, v21
	v_mad_u64_u32 v[24:25], null, 0xd2511f53, v13, 0
	s_delay_alu instid0(VALU_DEP_3) | instskip(NEXT) | instid1(VALU_DEP_3)
	v_mad_u64_u32 v[18:19], null, 0xcd9e8d57, v15, 0
	v_mad_u64_u32 v[33:34], null, 0xcd9e8d57, v21, 0
	v_xor3_b32 v13, v37, v11, v20
	s_delay_alu instid0(VALU_DEP_4) | instskip(SKIP_2) | instid1(VALU_DEP_4)
	v_xor3_b32 v21, v39, v25, v10
	v_add_nc_u32_e32 v15, 0xb54cda56, v16
	v_add_nc_u32_e32 v20, 0x646e171e, v17
	v_mad_u64_u32 v[10:11], null, 0xcd9e8d57, v13, 0
	v_xor3_b32 v13, v26, v19, v32
	v_xor3_b32 v22, v38, v34, v18
	v_mad_u64_u32 v[34:35], null, 0xcd9e8d57, v21, 0
	v_add_nc_u32_e32 v26, 0x5384540f, v16
	s_delay_alu instid0(VALU_DEP_4) | instskip(NEXT) | instid1(VALU_DEP_4)
	v_mad_u64_u32 v[18:19], null, 0xd2511f53, v13, 0
	v_mad_u64_u32 v[36:37], null, 0xd2511f53, v22, 0
	v_xor3_b32 v12, v38, v11, v12
	v_xor3_b32 v13, v15, v35, v10
	v_add_nc_u32_e32 v38, 0x1fd5c5a3, v17
	v_add_co_u32 v32, null, 0xf1bbcdc8, v16
	v_xor3_b32 v21, v39, v19, v23
	v_xor3_b32 v23, v20, v37, v18
	v_mad_u64_u32 v[10:11], null, 0xd2511f53, v12, 0
	v_mad_u64_u32 v[18:19], null, 0xd2511f53, v13, 0
	s_delay_alu instid0(VALU_DEP_4) | instskip(NEXT) | instid1(VALU_DEP_4)
	v_mad_u64_u32 v[12:13], null, 0xcd9e8d57, v21, 0
	v_mad_u64_u32 v[21:22], null, 0xcd9e8d57, v23, 0
	s_delay_alu instid0(VALU_DEP_4) | instskip(NEXT) | instid1(VALU_DEP_4)
	v_xor3_b32 v20, v20, v11, v24
	v_xor3_b32 v23, v38, v19, v10
	s_delay_alu instid0(VALU_DEP_4) | instskip(NEXT) | instid1(VALU_DEP_3)
	v_xor3_b32 v15, v15, v13, v33
	v_mad_u64_u32 v[10:11], null, 0xcd9e8d57, v20, 0
	v_xor3_b32 v22, v26, v22, v12
	s_delay_alu instid0(VALU_DEP_4) | instskip(NEXT) | instid1(VALU_DEP_4)
	v_mad_u64_u32 v[19:20], null, 0xcd9e8d57, v23, 0
	v_mad_u64_u32 v[12:13], null, 0xd2511f53, v15, 0
	s_delay_alu instid0(VALU_DEP_3)
	v_mad_u64_u32 v[24:25], null, 0xd2511f53, v22, 0
	v_add_nc_u32_e32 v33, 0xdb3d7428, v17
	v_xor3_b32 v11, v26, v11, v34
	v_xor3_b32 v15, v32, v20, v10
	v_add_nc_u32_e32 v34, 0x96a522ad, v17
	v_xor3_b32 v13, v38, v13, v36
	v_and_b32_e32 v17, 3, v14
	v_xor3_b32 v20, v33, v25, v12
	v_mad_u64_u32 v[22:23], null, 0xd2511f53, v11, 0
	v_mad_u64_u32 v[10:11], null, 0xd2511f53, v15, 0
	;; [unrolled: 1-line block ×3, first 2 shown]
	s_delay_alu instid0(VALU_DEP_4) | instskip(SKIP_1) | instid1(VALU_DEP_4)
	v_mad_u64_u32 v[12:13], null, 0xcd9e8d57, v20, 0
	v_add_nc_u32_e32 v20, 0x8ff34781, v16
                                        ; implicit-def: $vgpr15
	v_xor3_b32 v16, v11, v22, v34
	s_delay_alu instid0(VALU_DEP_2)
	v_xor3_b32 v11, v13, v25, v20
	v_cmpx_lt_i32_e32 1, v17
	s_xor_b32 s0, exec_lo, s0
	s_cbranch_execz .LBB118_51
; %bb.46:                               ;   in Loop: Header=BB118_3 Depth=1
	s_mov_b32 s1, exec_lo
                                        ; implicit-def: $vgpr15
	v_cmpx_lt_i32_e32 2, v17
	s_xor_b32 s1, exec_lo, s1
; %bb.47:                               ;   in Loop: Header=BB118_3 Depth=1
	v_xor3_b32 v13, v32, v26, v21
                                        ; implicit-def: $vgpr16
	s_delay_alu instid0(VALU_DEP_1) | instskip(NEXT) | instid1(VALU_DEP_1)
	v_mul_hi_u32 v13, 0xd2511f53, v13
	v_xor3_b32 v15, v13, v24, v34
; %bb.48:                               ;   in Loop: Header=BB118_3 Depth=1
	s_and_not1_saveexec_b32 s1, s1
; %bb.49:                               ;   in Loop: Header=BB118_3 Depth=1
	v_dual_mov_b32 v15, v12 :: v_dual_mov_b32 v12, v11
	v_dual_mov_b32 v11, v10 :: v_dual_mov_b32 v10, v16
; %bb.50:                               ;   in Loop: Header=BB118_3 Depth=1
	s_or_b32 exec_lo, exec_lo, s1
                                        ; implicit-def: $vgpr18_vgpr19
                                        ; implicit-def: $vgpr17
                                        ; implicit-def: $vgpr16
                                        ; implicit-def: $vgpr33
                                        ; implicit-def: $vgpr22_vgpr23
                                        ; implicit-def: $vgpr19_vgpr20
                                        ; implicit-def: $vgpr20
.LBB118_51:                             ;   in Loop: Header=BB118_3 Depth=1
	s_and_not1_saveexec_b32 s0, s0
	s_cbranch_execz .LBB118_55
; %bb.52:                               ;   in Loop: Header=BB118_3 Depth=1
	v_xor3_b32 v12, v33, v23, v18
	v_cmp_eq_u32_e32 vcc_lo, 1, v17
	v_mov_b32_e32 v15, v10
	s_delay_alu instid0(VALU_DEP_3) | instskip(SKIP_1) | instid1(VALU_DEP_2)
	v_mad_u64_u32 v[13:14], null, 0xcd9e8d57, v12, 0
	v_mov_b32_e32 v12, v16
	v_xor3_b32 v17, v14, v19, v20
	s_delay_alu instid0(VALU_DEP_3)
	v_mov_b32_e32 v14, v13
	s_and_saveexec_b32 s1, vcc_lo
; %bb.53:                               ;   in Loop: Header=BB118_3 Depth=1
	v_dual_mov_b32 v15, v11 :: v_dual_mov_b32 v12, v10
	v_dual_mov_b32 v14, v16 :: v_dual_mov_b32 v17, v13
; %bb.54:                               ;   in Loop: Header=BB118_3 Depth=1
	s_or_b32 exec_lo, exec_lo, s1
	s_delay_alu instid0(VALU_DEP_1)
	v_dual_mov_b32 v10, v17 :: v_dual_mov_b32 v11, v14
.LBB118_55:                             ;   in Loop: Header=BB118_3 Depth=1
	s_or_b32 exec_lo, exec_lo, s0
	v_min_i32_e32 v13, 4, v29
	s_mov_b32 s1, 0
	s_mov_b32 s40, 0
	;; [unrolled: 1-line block ×3, first 2 shown]
                                        ; implicit-def: $sgpr19
                                        ; implicit-def: $sgpr37
                                        ; implicit-def: $sgpr38
	s_mov_b32 s0, exec_lo
	v_cmpx_lt_i32_e32 2, v13
	s_xor_b32 s39, exec_lo, s0
	s_cbranch_execz .LBB118_67
; %bb.56:                               ;   in Loop: Header=BB118_3 Depth=1
	s_mov_b32 s0, -1
	s_mov_b32 s41, 0
	s_mov_b32 s37, exec_lo
                                        ; implicit-def: $sgpr18
                                        ; implicit-def: $sgpr19
	v_cmpx_lt_i32_e32 3, v13
	s_cbranch_execz .LBB118_62
; %bb.57:                               ;   in Loop: Header=BB118_3 Depth=1
	s_mov_b32 s0, 0
	s_mov_b32 s41, -1
	s_mov_b32 s38, exec_lo
                                        ; implicit-def: $sgpr18
                                        ; implicit-def: $sgpr19
	v_cmpx_eq_u32_e32 4, v13
	s_cbranch_execz .LBB118_61
; %bb.58:                               ;   in Loop: Header=BB118_3 Depth=1
	v_cmp_le_f32_e32 vcc_lo, 0, v31
	v_cmp_ge_f32_e64 s0, 1.0, v31
	s_mov_b32 s18, 0
	s_delay_alu instid0(VALU_DEP_1)
	s_and_b32 s41, vcc_lo, s0
	s_mov_b32 s0, 0
	s_and_saveexec_b32 s19, s41
	s_cbranch_execz .LBB118_60
; %bb.59:                               ;   in Loop: Header=BB118_3 Depth=1
	v_cvt_f32_u32_e32 v14, v15
	v_add_co_u32 v8, vcc_lo, s10, v8
	v_add_co_ci_u32_e32 v9, vcc_lo, s11, v9, vcc_lo
	s_delay_alu instid0(VALU_DEP_3) | instskip(SKIP_1) | instid1(VALU_DEP_1)
	v_fmaak_f32 v14, 0x2f800000, v14, 0x2f800000
	s_mov_b32 s0, exec_lo
	v_cmp_le_f32_e32 vcc_lo, v14, v31
	v_cndmask_b32_e64 v14, 0, 1, vcc_lo
	global_store_b8 v[8:9], v14, off
.LBB118_60:                             ;   in Loop: Header=BB118_3 Depth=1
	s_or_b32 exec_lo, exec_lo, s19
	s_mov_b32 s19, -1
	s_xor_b32 s41, exec_lo, -1
	s_and_b32 s0, s0, exec_lo
.LBB118_61:                             ;   in Loop: Header=BB118_3 Depth=1
	s_or_b32 exec_lo, exec_lo, s38
	s_delay_alu instid0(SALU_CYCLE_1)
	s_and_b32 s41, s41, exec_lo
	s_or_not1_b32 s0, s0, exec_lo
.LBB118_62:                             ;   in Loop: Header=BB118_3 Depth=1
	s_or_b32 exec_lo, exec_lo, s37
	s_mov_b32 s38, s18
	s_and_saveexec_b32 s37, s0
	s_cbranch_execz .LBB118_66
; %bb.63:                               ;   in Loop: Header=BB118_3 Depth=1
	v_cmp_le_f32_e32 vcc_lo, 0, v30
	v_cmp_ge_f32_e64 s0, 1.0, v30
	s_delay_alu instid0(VALU_DEP_1) | instskip(SKIP_2) | instid1(SALU_CYCLE_1)
	s_and_b32 s38, vcc_lo, s0
	s_mov_b32 s0, 0
	s_and_saveexec_b32 s40, s38
	s_xor_b32 s38, exec_lo, s40
	s_cbranch_execz .LBB118_65
; %bb.64:                               ;   in Loop: Header=BB118_3 Depth=1
	v_cvt_f32_u32_e32 v8, v12
	s_mov_b32 s0, exec_lo
	s_delay_alu instid0(VALU_DEP_1) | instskip(NEXT) | instid1(VALU_DEP_1)
	v_fmaak_f32 v8, 0x2f800000, v8, 0x2f800000
	v_cmp_le_f32_e32 vcc_lo, v8, v30
	v_cndmask_b32_e64 v8, 0, 1, vcc_lo
	global_store_b8 v7, v8, s[10:11]
.LBB118_65:                             ;   in Loop: Header=BB118_3 Depth=1
	s_or_b32 exec_lo, exec_lo, s38
	s_delay_alu instid0(SALU_CYCLE_1)
	s_and_not1_b32 s38, s18, exec_lo
	s_or_b32 s18, s18, exec_lo
	s_and_not1_b32 s19, s19, exec_lo
	s_and_b32 s40, s0, exec_lo
.LBB118_66:                             ;   in Loop: Header=BB118_3 Depth=1
	s_or_b32 exec_lo, exec_lo, s37
	s_delay_alu instid0(SALU_CYCLE_1)
	s_and_b32 s38, s38, exec_lo
	s_and_b32 s37, s18, exec_lo
	;; [unrolled: 1-line block ×5, first 2 shown]
.LBB118_67:                             ;   in Loop: Header=BB118_3 Depth=1
	s_and_not1_saveexec_b32 s0, s39
; %bb.68:                               ;   in Loop: Header=BB118_3 Depth=1
	v_cmp_lt_i32_e32 vcc_lo, 1, v13
	s_and_not1_b32 s39, s40, exec_lo
	s_mov_b32 s1, exec_lo
	s_and_not1_b32 s38, s38, exec_lo
	s_and_not1_b32 s37, s37, exec_lo
	s_and_b32 s40, vcc_lo, exec_lo
	s_and_not1_b32 s19, s19, exec_lo
	s_or_b32 s40, s39, s40
; %bb.69:                               ;   in Loop: Header=BB118_3 Depth=1
	s_or_b32 exec_lo, exec_lo, s0
	s_mov_b32 s0, 0
	s_mov_b32 s39, s38
	s_and_saveexec_b32 s41, s40
	s_cbranch_execnz .LBB118_72
; %bb.70:                               ;   in Loop: Header=BB118_3 Depth=1
	s_or_b32 exec_lo, exec_lo, s41
	s_and_saveexec_b32 s40, s1
	s_cbranch_execnz .LBB118_75
.LBB118_71:                             ;   in Loop: Header=BB118_3 Depth=1
	s_or_b32 exec_lo, exec_lo, s40
	s_and_saveexec_b32 s1, s0
	s_cbranch_execnz .LBB118_76
	s_branch .LBB118_79
.LBB118_72:                             ;   in Loop: Header=BB118_3 Depth=1
	v_cmp_le_f32_e32 vcc_lo, 0, v3
	v_cmp_ge_f32_e64 s0, 1.0, v3
	s_delay_alu instid0(VALU_DEP_1) | instskip(SKIP_2) | instid1(SALU_CYCLE_1)
	s_and_b32 s39, vcc_lo, s0
	s_mov_b32 s0, 0
	s_and_saveexec_b32 s40, s39
	s_xor_b32 s39, exec_lo, s40
	s_cbranch_execz .LBB118_74
; %bb.73:                               ;   in Loop: Header=BB118_3 Depth=1
	v_cvt_f32_u32_e32 v7, v11
	s_mov_b32 s0, exec_lo
	s_delay_alu instid0(VALU_DEP_1) | instskip(NEXT) | instid1(VALU_DEP_1)
	v_fmaak_f32 v7, 0x2f800000, v7, 0x2f800000
	v_cmp_le_f32_e32 vcc_lo, v7, v3
	v_cndmask_b32_e64 v3, 0, 1, vcc_lo
	global_store_b8 v6, v3, s[10:11]
.LBB118_74:                             ;   in Loop: Header=BB118_3 Depth=1
	s_or_b32 exec_lo, exec_lo, s39
	s_delay_alu instid0(SALU_CYCLE_1)
	s_and_not1_b32 s39, s38, exec_lo
	s_or_b32 s38, s38, exec_lo
	s_and_not1_b32 s37, s37, exec_lo
	s_and_not1_b32 s19, s19, exec_lo
	s_and_b32 s0, s0, exec_lo
	s_and_not1_b32 s1, s1, exec_lo
	s_or_b32 exec_lo, exec_lo, s41
	s_and_saveexec_b32 s40, s1
	s_cbranch_execz .LBB118_71
.LBB118_75:                             ;   in Loop: Header=BB118_3 Depth=1
	v_cmp_eq_u32_e32 vcc_lo, 1, v13
	s_and_not1_b32 s0, s0, exec_lo
	s_and_not1_b32 s39, s39, exec_lo
	;; [unrolled: 1-line block ×4, first 2 shown]
	s_and_b32 s1, vcc_lo, exec_lo
	s_and_not1_b32 s19, s19, exec_lo
	s_or_b32 s18, s18, exec_lo
	s_or_b32 s0, s0, s1
	s_or_b32 exec_lo, exec_lo, s40
	s_and_saveexec_b32 s1, s0
	s_cbranch_execz .LBB118_79
.LBB118_76:                             ;   in Loop: Header=BB118_3 Depth=1
	v_cmp_le_f32_e32 vcc_lo, 0, v0
	v_cmp_ge_f32_e64 s0, 1.0, v0
	s_delay_alu instid0(VALU_DEP_1)
	s_and_b32 s41, vcc_lo, s0
	s_mov_b32 s0, 0
	s_and_saveexec_b32 s40, s41
	s_cbranch_execz .LBB118_78
; %bb.77:                               ;   in Loop: Header=BB118_3 Depth=1
	v_cvt_f32_u32_e32 v3, v10
	s_mov_b32 s0, exec_lo
	s_delay_alu instid0(VALU_DEP_1) | instskip(NEXT) | instid1(VALU_DEP_1)
	v_fmaak_f32 v3, 0x2f800000, v3, 0x2f800000
	v_cmp_le_f32_e32 vcc_lo, v3, v0
	v_cndmask_b32_e64 v0, 0, 1, vcc_lo
	global_store_b8 v5, v0, s[10:11]
.LBB118_78:                             ;   in Loop: Header=BB118_3 Depth=1
	s_or_b32 exec_lo, exec_lo, s40
	s_delay_alu instid0(SALU_CYCLE_1)
	s_and_not1_b32 s18, s18, exec_lo
	s_and_b32 s0, s0, exec_lo
	s_or_b32 s39, s39, exec_lo
	s_and_not1_b32 s38, s38, exec_lo
	s_and_not1_b32 s37, s37, exec_lo
	;; [unrolled: 1-line block ×3, first 2 shown]
	s_or_b32 s18, s18, s0
.LBB118_79:                             ;   in Loop: Header=BB118_3 Depth=1
	s_or_b32 exec_lo, exec_lo, s1
	s_delay_alu instid0(SALU_CYCLE_1)
	s_and_not1_b32 s1, s36, exec_lo
	s_and_b32 s36, s39, exec_lo
	s_and_not1_b32 s34, s34, exec_lo
	s_and_b32 s38, s38, exec_lo
	s_or_b32 s36, s1, s36
	s_and_not1_b32 s1, s35, exec_lo
	s_and_b32 s35, s37, exec_lo
	s_and_not1_b32 s33, s33, exec_lo
	s_and_b32 s19, s19, exec_lo
	s_mov_b32 s0, -1
	s_or_b32 s34, s34, s38
	s_or_b32 s35, s1, s35
	;; [unrolled: 1-line block ×3, first 2 shown]
	s_and_saveexec_b32 s1, s18
	s_cbranch_execz .LBB118_2
; %bb.80:                               ;   in Loop: Header=BB118_3 Depth=1
	v_add_nc_u32_e32 v27, s26, v27
	s_and_not1_b32 s36, s36, exec_lo
	s_and_not1_b32 s34, s34, exec_lo
	s_and_not1_b32 s35, s35, exec_lo
	s_and_not1_b32 s33, s33, exec_lo
	v_cmp_le_u32_e32 vcc_lo, s20, v27
	s_or_not1_b32 s0, vcc_lo, exec_lo
	s_branch .LBB118_2
.LBB118_81:
	s_or_b32 exec_lo, exec_lo, s13
	s_xor_b32 s3, s30, -1
	s_xor_b32 s4, s31, -1
	;; [unrolled: 1-line block ×3, first 2 shown]
	s_mov_b32 s1, 0
	s_and_saveexec_b32 s2, s0
	s_delay_alu instid0(SALU_CYCLE_1)
	s_xor_b32 s0, exec_lo, s2
	s_cbranch_execz .LBB118_90
; %bb.82:
	s_mov_b32 s2, 0
	s_and_saveexec_b32 s1, s4
	s_delay_alu instid0(SALU_CYCLE_1)
	s_xor_b32 s1, exec_lo, s1
	s_cbranch_execz .LBB118_88
; %bb.83:
	s_and_saveexec_b32 s4, s3
	s_delay_alu instid0(SALU_CYCLE_1)
	s_xor_b32 s3, exec_lo, s4
	s_cbranch_execz .LBB118_86
; %bb.84:
	s_and_saveexec_b32 s4, s12
	s_delay_alu instid0(SALU_CYCLE_1)
	s_xor_b32 s4, exec_lo, s4
	s_cbranch_execnz .LBB118_104
.LBB118_85:
	s_or_b32 exec_lo, exec_lo, s4
	s_delay_alu instid0(SALU_CYCLE_1)
	s_and_b32 s2, s2, exec_lo
.LBB118_86:
	s_and_not1_saveexec_b32 s3, s3
	s_cbranch_execnz .LBB118_100
.LBB118_87:
	s_or_b32 exec_lo, exec_lo, s3
	s_delay_alu instid0(SALU_CYCLE_1)
	s_and_b32 s2, s2, exec_lo
.LBB118_88:
	s_and_not1_saveexec_b32 s1, s1
	s_cbranch_execnz .LBB118_96
.LBB118_89:
	s_or_b32 exec_lo, exec_lo, s1
	s_delay_alu instid0(SALU_CYCLE_1)
	s_and_b32 s1, s2, exec_lo
.LBB118_90:
	s_and_not1_saveexec_b32 s0, s0
	s_cbranch_execnz .LBB118_94
; %bb.91:
	s_or_b32 exec_lo, exec_lo, s0
	s_delay_alu instid0(SALU_CYCLE_1)
	s_and_b32 exec_lo, exec_lo, s1
.LBB118_92:
	; divergent unreachable
.LBB118_93:
	s_nop 0
	s_sendmsg sendmsg(MSG_DEALLOC_VGPRS)
	s_endpgm
.LBB118_94:
	s_cbranch_execnz .LBB118_98
; %bb.95:
	s_or_b32 s1, s1, exec_lo
	s_or_b32 exec_lo, exec_lo, s0
	s_delay_alu instid0(SALU_CYCLE_1)
	s_and_b32 exec_lo, exec_lo, s1
	s_cbranch_execnz .LBB118_92
	s_branch .LBB118_93
.LBB118_96:
	s_cbranch_execnz .LBB118_102
; %bb.97:
	s_or_b32 s2, s2, exec_lo
	s_branch .LBB118_89
.LBB118_98:
	s_trap 2
	s_sendmsg_rtn_b32 s0, sendmsg(MSG_RTN_GET_DOORBELL)
	s_mov_b32 ttmp2, m0
	s_waitcnt lgkmcnt(0)
	s_and_b32 s0, s0, 0x3ff
	s_delay_alu instid0(SALU_CYCLE_1) | instskip(NEXT) | instid1(SALU_CYCLE_1)
	s_bitset1_b32 s0, 10
	s_mov_b32 m0, s0
	s_sendmsg sendmsg(MSG_INTERRUPT)
	s_mov_b32 m0, ttmp2
.LBB118_99:                             ; =>This Inner Loop Header: Depth=1
	s_sethalt 5
	s_branch .LBB118_99
.LBB118_100:
	s_cbranch_execnz .LBB118_106
; %bb.101:
	s_or_b32 s2, s2, exec_lo
	s_branch .LBB118_87
.LBB118_102:
	s_trap 2
	s_sendmsg_rtn_b32 s0, sendmsg(MSG_RTN_GET_DOORBELL)
	s_mov_b32 ttmp2, m0
	s_waitcnt lgkmcnt(0)
	s_and_b32 s0, s0, 0x3ff
	s_delay_alu instid0(SALU_CYCLE_1) | instskip(NEXT) | instid1(SALU_CYCLE_1)
	s_bitset1_b32 s0, 10
	s_mov_b32 m0, s0
	s_sendmsg sendmsg(MSG_INTERRUPT)
	s_mov_b32 m0, ttmp2
.LBB118_103:                            ; =>This Inner Loop Header: Depth=1
	s_sethalt 5
	s_branch .LBB118_103
.LBB118_104:
	s_cbranch_execnz .LBB118_108
; %bb.105:
	s_mov_b32 s2, exec_lo
	s_branch .LBB118_85
.LBB118_106:
	s_trap 2
	s_sendmsg_rtn_b32 s0, sendmsg(MSG_RTN_GET_DOORBELL)
	s_mov_b32 ttmp2, m0
	s_waitcnt lgkmcnt(0)
	s_and_b32 s0, s0, 0x3ff
	s_delay_alu instid0(SALU_CYCLE_1) | instskip(NEXT) | instid1(SALU_CYCLE_1)
	s_bitset1_b32 s0, 10
	s_mov_b32 m0, s0
	s_sendmsg sendmsg(MSG_INTERRUPT)
	s_mov_b32 m0, ttmp2
.LBB118_107:                            ; =>This Inner Loop Header: Depth=1
	s_sethalt 5
	s_branch .LBB118_107
.LBB118_108:
	s_trap 2
	s_sendmsg_rtn_b32 s0, sendmsg(MSG_RTN_GET_DOORBELL)
	s_mov_b32 ttmp2, m0
	s_waitcnt lgkmcnt(0)
	s_and_b32 s0, s0, 0x3ff
	s_delay_alu instid0(SALU_CYCLE_1) | instskip(NEXT) | instid1(SALU_CYCLE_1)
	s_bitset1_b32 s0, 10
	s_mov_b32 m0, s0
	s_sendmsg sendmsg(MSG_INTERRUPT)
	s_mov_b32 m0, ttmp2
.LBB118_109:                            ; =>This Inner Loop Header: Depth=1
	s_sethalt 5
	s_branch .LBB118_109
	.section	.rodata,"a",@progbits
	.p2align	6, 0x0
	.amdhsa_kernel _ZN2at4cuda12_GLOBAL__N_121kernelPointwiseApply2IZNS_6native9templates4cuda28bernoulli_tensor_cuda_kernelIbfEEvRKNS_10TensorBaseES9_NS_15PhiloxCudaStateEEUliRbSB_SB_SB_RKfSD_SD_SD_E_bSC_jLin1ELin1ELi4ELi512ELi2EEEvNS0_6detail10TensorInfoIT0_T2_EENSG_IT1_SI_EESI_T_
		.amdhsa_group_segment_fixed_size 0
		.amdhsa_private_segment_fixed_size 0
		.amdhsa_kernarg_size 728
		.amdhsa_user_sgpr_count 15
		.amdhsa_user_sgpr_dispatch_ptr 0
		.amdhsa_user_sgpr_queue_ptr 0
		.amdhsa_user_sgpr_kernarg_segment_ptr 1
		.amdhsa_user_sgpr_dispatch_id 0
		.amdhsa_user_sgpr_private_segment_size 0
		.amdhsa_wavefront_size32 1
		.amdhsa_uses_dynamic_stack 0
		.amdhsa_enable_private_segment 0
		.amdhsa_system_sgpr_workgroup_id_x 1
		.amdhsa_system_sgpr_workgroup_id_y 0
		.amdhsa_system_sgpr_workgroup_id_z 0
		.amdhsa_system_sgpr_workgroup_info 0
		.amdhsa_system_vgpr_workitem_id 0
		.amdhsa_next_free_vgpr 40
		.amdhsa_next_free_sgpr 42
		.amdhsa_reserve_vcc 1
		.amdhsa_float_round_mode_32 0
		.amdhsa_float_round_mode_16_64 0
		.amdhsa_float_denorm_mode_32 3
		.amdhsa_float_denorm_mode_16_64 3
		.amdhsa_dx10_clamp 1
		.amdhsa_ieee_mode 1
		.amdhsa_fp16_overflow 0
		.amdhsa_workgroup_processor_mode 1
		.amdhsa_memory_ordered 1
		.amdhsa_forward_progress 0
		.amdhsa_shared_vgpr_count 0
		.amdhsa_exception_fp_ieee_invalid_op 0
		.amdhsa_exception_fp_denorm_src 0
		.amdhsa_exception_fp_ieee_div_zero 0
		.amdhsa_exception_fp_ieee_overflow 0
		.amdhsa_exception_fp_ieee_underflow 0
		.amdhsa_exception_fp_ieee_inexact 0
		.amdhsa_exception_int_div_zero 0
	.end_amdhsa_kernel
	.section	.text._ZN2at4cuda12_GLOBAL__N_121kernelPointwiseApply2IZNS_6native9templates4cuda28bernoulli_tensor_cuda_kernelIbfEEvRKNS_10TensorBaseES9_NS_15PhiloxCudaStateEEUliRbSB_SB_SB_RKfSD_SD_SD_E_bSC_jLin1ELin1ELi4ELi512ELi2EEEvNS0_6detail10TensorInfoIT0_T2_EENSG_IT1_SI_EESI_T_,"axG",@progbits,_ZN2at4cuda12_GLOBAL__N_121kernelPointwiseApply2IZNS_6native9templates4cuda28bernoulli_tensor_cuda_kernelIbfEEvRKNS_10TensorBaseES9_NS_15PhiloxCudaStateEEUliRbSB_SB_SB_RKfSD_SD_SD_E_bSC_jLin1ELin1ELi4ELi512ELi2EEEvNS0_6detail10TensorInfoIT0_T2_EENSG_IT1_SI_EESI_T_,comdat
.Lfunc_end118:
	.size	_ZN2at4cuda12_GLOBAL__N_121kernelPointwiseApply2IZNS_6native9templates4cuda28bernoulli_tensor_cuda_kernelIbfEEvRKNS_10TensorBaseES9_NS_15PhiloxCudaStateEEUliRbSB_SB_SB_RKfSD_SD_SD_E_bSC_jLin1ELin1ELi4ELi512ELi2EEEvNS0_6detail10TensorInfoIT0_T2_EENSG_IT1_SI_EESI_T_, .Lfunc_end118-_ZN2at4cuda12_GLOBAL__N_121kernelPointwiseApply2IZNS_6native9templates4cuda28bernoulli_tensor_cuda_kernelIbfEEvRKNS_10TensorBaseES9_NS_15PhiloxCudaStateEEUliRbSB_SB_SB_RKfSD_SD_SD_E_bSC_jLin1ELin1ELi4ELi512ELi2EEEvNS0_6detail10TensorInfoIT0_T2_EENSG_IT1_SI_EESI_T_
                                        ; -- End function
	.section	.AMDGPU.csdata,"",@progbits
; Kernel info:
; codeLenInByte = 5276
; NumSgprs: 44
; NumVgprs: 40
; ScratchSize: 0
; MemoryBound: 0
; FloatMode: 240
; IeeeMode: 1
; LDSByteSize: 0 bytes/workgroup (compile time only)
; SGPRBlocks: 5
; VGPRBlocks: 4
; NumSGPRsForWavesPerEU: 44
; NumVGPRsForWavesPerEU: 40
; Occupancy: 16
; WaveLimiterHint : 1
; COMPUTE_PGM_RSRC2:SCRATCH_EN: 0
; COMPUTE_PGM_RSRC2:USER_SGPR: 15
; COMPUTE_PGM_RSRC2:TRAP_HANDLER: 0
; COMPUTE_PGM_RSRC2:TGID_X_EN: 1
; COMPUTE_PGM_RSRC2:TGID_Y_EN: 0
; COMPUTE_PGM_RSRC2:TGID_Z_EN: 0
; COMPUTE_PGM_RSRC2:TIDIG_COMP_CNT: 0
	.section	.text._ZN2at4cuda12_GLOBAL__N_121kernelPointwiseApply2IZNS_6native9templates4cuda28bernoulli_tensor_cuda_kernelIbfEEvRKNS_10TensorBaseES9_NS_15PhiloxCudaStateEEUliRbSB_SB_SB_RKfSD_SD_SD_E_bSC_mLi1ELi1ELi4ELi512ELi2EEEvNS0_6detail10TensorInfoIT0_T2_EENSG_IT1_SI_EESI_T_,"axG",@progbits,_ZN2at4cuda12_GLOBAL__N_121kernelPointwiseApply2IZNS_6native9templates4cuda28bernoulli_tensor_cuda_kernelIbfEEvRKNS_10TensorBaseES9_NS_15PhiloxCudaStateEEUliRbSB_SB_SB_RKfSD_SD_SD_E_bSC_mLi1ELi1ELi4ELi512ELi2EEEvNS0_6detail10TensorInfoIT0_T2_EENSG_IT1_SI_EESI_T_,comdat
	.globl	_ZN2at4cuda12_GLOBAL__N_121kernelPointwiseApply2IZNS_6native9templates4cuda28bernoulli_tensor_cuda_kernelIbfEEvRKNS_10TensorBaseES9_NS_15PhiloxCudaStateEEUliRbSB_SB_SB_RKfSD_SD_SD_E_bSC_mLi1ELi1ELi4ELi512ELi2EEEvNS0_6detail10TensorInfoIT0_T2_EENSG_IT1_SI_EESI_T_ ; -- Begin function _ZN2at4cuda12_GLOBAL__N_121kernelPointwiseApply2IZNS_6native9templates4cuda28bernoulli_tensor_cuda_kernelIbfEEvRKNS_10TensorBaseES9_NS_15PhiloxCudaStateEEUliRbSB_SB_SB_RKfSD_SD_SD_E_bSC_mLi1ELi1ELi4ELi512ELi2EEEvNS0_6detail10TensorInfoIT0_T2_EENSG_IT1_SI_EESI_T_
	.p2align	8
	.type	_ZN2at4cuda12_GLOBAL__N_121kernelPointwiseApply2IZNS_6native9templates4cuda28bernoulli_tensor_cuda_kernelIbfEEvRKNS_10TensorBaseES9_NS_15PhiloxCudaStateEEUliRbSB_SB_SB_RKfSD_SD_SD_E_bSC_mLi1ELi1ELi4ELi512ELi2EEEvNS0_6detail10TensorInfoIT0_T2_EENSG_IT1_SI_EESI_T_,@function
_ZN2at4cuda12_GLOBAL__N_121kernelPointwiseApply2IZNS_6native9templates4cuda28bernoulli_tensor_cuda_kernelIbfEEvRKNS_10TensorBaseES9_NS_15PhiloxCudaStateEEUliRbSB_SB_SB_RKfSD_SD_SD_E_bSC_mLi1ELi1ELi4ELi512ELi2EEEvNS0_6detail10TensorInfoIT0_T2_EENSG_IT1_SI_EESI_T_: ; @_ZN2at4cuda12_GLOBAL__N_121kernelPointwiseApply2IZNS_6native9templates4cuda28bernoulli_tensor_cuda_kernelIbfEEvRKNS_10TensorBaseES9_NS_15PhiloxCudaStateEEUliRbSB_SB_SB_RKfSD_SD_SD_E_bSC_mLi1ELi1ELi4ELi512ELi2EEEvNS0_6detail10TensorInfoIT0_T2_EENSG_IT1_SI_EESI_T_
; %bb.0:
	s_clause 0x1
	s_load_b32 s4, s[0:1], 0x374
	s_load_b256 s[16:23], s[0:1], 0x340
	s_add_u32 s2, s0, 0x368
	s_addc_u32 s3, s1, 0
	s_mov_b32 s5, exec_lo
	v_mov_b32_e32 v3, 0
	s_waitcnt lgkmcnt(0)
	s_and_b32 s4, s4, 0xffff
	s_delay_alu instid0(SALU_CYCLE_1) | instskip(NEXT) | instid1(VALU_DEP_1)
	v_mad_u64_u32 v[1:2], null, s15, s4, v[0:1]
	v_lshlrev_b32_e32 v2, 2, v1
	s_delay_alu instid0(VALU_DEP_1)
	v_cmpx_gt_u64_e64 s[16:17], v[2:3]
	s_cbranch_execz .LBB119_51
; %bb.1:
	s_load_b64 s[10:11], s[0:1], 0xd0
	s_load_b32 s2, s[2:3], 0x0
	s_clause 0x3
	s_load_b32 s3, s[0:1], 0x360
	s_load_b64 s[6:7], s[0:1], 0x0
	s_load_b64 s[8:9], s[0:1], 0x1a0
	;; [unrolled: 1-line block ×3, first 2 shown]
	v_mad_u64_u32 v[4:5], null, 0xcd9e8d57, v1, 0
	v_add_co_u32 v15, s12, v2, 2
	s_delay_alu instid0(VALU_DEP_1) | instskip(SKIP_1) | instid1(VALU_DEP_4)
	v_add_co_ci_u32_e64 v16, null, 0, 0, s12
	v_add_co_u32 v17, s12, v2, 3
	v_mov_b32_e32 v34, v5
	v_add_co_ci_u32_e64 v18, null, 0, 0, s12
	v_sub_nc_u32_e32 v0, s16, v2
	s_mov_b32 s5, 0
	s_mov_b64 s[12:13], 0
	s_waitcnt lgkmcnt(0)
	v_mad_u64_u32 v[5:6], null, s10, v2, 0
	v_mad_u64_u32 v[7:8], null, s10, v15, 0
	;; [unrolled: 1-line block ×4, first 2 shown]
	v_mul_lo_u32 v19, s11, v15
	v_mul_lo_u32 v20, s10, v16
	v_mad_u64_u32 v[13:14], null, s11, v2, v[6:7]
	v_mul_lo_u32 v21, s11, v17
	v_mul_lo_u32 v22, s10, v18
	;; [unrolled: 1-line block ×3, first 2 shown]
	s_mul_i32 s2, s2, s4
	s_bitcmp1_b32 s3, 0
	v_add3_u32 v8, v8, v20, v19
	v_mov_b32_e32 v6, v13
	v_mad_u64_u32 v[13:14], null, s1, v2, v[10:11]
	v_add3_u32 v12, v12, v22, v21
	v_mul_lo_u32 v19, s1, v15
	v_mul_lo_u32 v20, s0, v16
	;; [unrolled: 1-line block ×3, first 2 shown]
	v_add_co_u32 v10, vcc_lo, v5, s10
	v_mov_b32_e32 v36, v13
	v_mad_u64_u32 v[13:14], null, s0, v15, 0
	v_mad_u64_u32 v[15:16], null, s0, v17, 0
	s_cselect_b32 s14, -1, 0
	s_lshl_b32 s15, s2, 2
	v_add_co_ci_u32_e32 v35, vcc_lo, s11, v6, vcc_lo
	v_add_co_u32 v37, vcc_lo, v9, s0
	s_mul_i32 s2, s11, s15
	s_mul_hi_u32 s3, s10, s15
	v_add_co_ci_u32_e32 v38, vcc_lo, s1, v36, vcc_lo
	v_add3_u32 v14, v14, v20, v19
	v_add3_u32 v16, v16, v18, v21
	s_add_i32 s24, s3, s2
	s_mul_i32 s2, s1, s15
	s_mul_hi_u32 s3, s0, s15
	s_mul_i32 s25, s10, s15
	s_add_i32 s27, s3, s2
	s_mul_i32 s28, s0, s15
	s_mov_b64 s[10:11], 0
                                        ; implicit-def: $sgpr29
                                        ; implicit-def: $sgpr31
                                        ; implicit-def: $sgpr30
                                        ; implicit-def: $sgpr26
                                        ; implicit-def: $sgpr33
                                        ; implicit-def: $sgpr35
                                        ; implicit-def: $sgpr34
                                        ; implicit-def: $sgpr36
	s_branch .LBB119_3
.LBB119_2:                              ;   in Loop: Header=BB119_3 Depth=1
	s_or_b32 exec_lo, exec_lo, s1
	s_delay_alu instid0(SALU_CYCLE_1) | instskip(NEXT) | instid1(SALU_CYCLE_1)
	s_and_b32 s0, exec_lo, s0
	s_or_b32 s5, s0, s5
	s_and_not1_b32 s0, s26, exec_lo
	s_and_b32 s1, s36, exec_lo
	s_and_not1_b32 s2, s30, exec_lo
	s_and_b32 s3, s34, exec_lo
	s_or_b32 s26, s0, s1
	s_or_b32 s30, s2, s3
	s_and_not1_b32 s0, s31, exec_lo
	s_and_b32 s1, s35, exec_lo
	s_and_not1_b32 s2, s29, exec_lo
	s_and_b32 s3, s33, exec_lo
	s_or_b32 s31, s0, s1
	s_or_b32 s29, s2, s3
	s_and_not1_b32 exec_lo, exec_lo, s5
	s_cbranch_execz .LBB119_39
.LBB119_3:                              ; =>This Inner Loop Header: Depth=1
	v_add_co_u32 v17, vcc_lo, v9, s10
	v_add_co_ci_u32_e32 v18, vcc_lo, s11, v36, vcc_lo
	v_cmp_lt_i32_e64 s0, 0, v0
	v_add_co_u32 v19, vcc_lo, v37, s10
	v_add_co_ci_u32_e32 v20, vcc_lo, s11, v38, vcc_lo
	v_cmp_lt_i32_e64 s1, 1, v0
	v_add_co_u32 v21, vcc_lo, v13, s10
	v_cndmask_b32_e64 v18, 0, v18, s0
	v_cndmask_b32_e64 v17, 0, v17, s0
	v_add_co_ci_u32_e32 v22, vcc_lo, s11, v14, vcc_lo
	v_cmp_lt_i32_e64 s2, 2, v0
	v_add_co_u32 v23, vcc_lo, v15, s10
	v_cndmask_b32_e64 v20, 0, v20, s1
	v_cndmask_b32_e64 v19, 0, v19, s1
	v_add_co_ci_u32_e32 v24, vcc_lo, s11, v16, vcc_lo
	v_cmp_lt_i32_e64 s3, 3, v0
	v_lshlrev_b64 v[17:18], 2, v[17:18]
	v_cndmask_b32_e64 v22, 0, v22, s2
	v_cndmask_b32_e64 v21, 0, v21, s2
	v_lshlrev_b64 v[19:20], 2, v[19:20]
	v_cndmask_b32_e64 v24, 0, v24, s3
	v_cndmask_b32_e64 v23, 0, v23, s3
	v_add_co_u32 v17, vcc_lo, s8, v17
	v_lshlrev_b64 v[21:22], 2, v[21:22]
	v_add_co_ci_u32_e32 v18, vcc_lo, s9, v18, vcc_lo
	v_add_co_u32 v19, vcc_lo, s8, v19
	v_lshlrev_b64 v[23:24], 2, v[23:24]
	v_add_co_ci_u32_e32 v20, vcc_lo, s9, v20, vcc_lo
	v_add_co_u32 v21, vcc_lo, s8, v21
	v_add_co_ci_u32_e32 v22, vcc_lo, s9, v22, vcc_lo
	s_delay_alu instid0(VALU_DEP_4)
	v_add_co_u32 v23, vcc_lo, s8, v23
	v_add_co_ci_u32_e32 v24, vcc_lo, s9, v24, vcc_lo
	s_clause 0x3
	global_load_b32 v39, v[17:18], off
	global_load_b32 v40, v[19:20], off
	;; [unrolled: 1-line block ×4, first 2 shown]
	v_dual_mov_b32 v22, s21 :: v_dual_mov_b32 v21, s20
	v_dual_mov_b32 v24, s19 :: v_dual_mov_b32 v23, s18
	s_and_not1_b32 vcc_lo, exec_lo, s14
	s_cbranch_vccnz .LBB119_5
; %bb.4:                                ;   in Loop: Header=BB119_3 Depth=1
	v_dual_mov_b32 v17, s20 :: v_dual_mov_b32 v18, s21
	v_dual_mov_b32 v20, s19 :: v_dual_mov_b32 v19, s18
	flat_load_b64 v[17:18], v[17:18]
	flat_load_b64 v[23:24], v[19:20]
	s_waitcnt vmcnt(1) lgkmcnt(1)
	v_add_co_u32 v21, vcc_lo, v17, s22
	v_add_co_ci_u32_e32 v22, vcc_lo, s23, v18, vcc_lo
.LBB119_5:                              ;   in Loop: Header=BB119_3 Depth=1
	s_delay_alu instid0(VALU_DEP_1)
	v_alignbit_b32 v20, v22, v21, 2
	v_lshrrev_b32_e32 v19, 2, v22
	s_waitcnt vmcnt(0) lgkmcnt(0)
	v_add_nc_u32_e32 v43, 0x9e3779b9, v23
	v_add_nc_u32_e32 v45, 0x76cf5d0a, v24
	;; [unrolled: 1-line block ×3, first 2 shown]
	v_add_co_u32 v22, vcc_lo, v20, 1
	s_delay_alu instid0(VALU_DEP_1) | instskip(SKIP_4) | instid1(VALU_DEP_4)
	v_cndmask_b32_e64 v17, 0, 1, vcc_lo
	v_add_co_ci_u32_e32 v31, vcc_lo, 0, v19, vcc_lo
	v_xor3_b32 v27, v34, v23, v19
	v_add_nc_u32_e32 v47, 0x32370b8f, v24
	v_add_nc_u32_e32 v48, 0xed9eba14, v24
	v_cmp_eq_u32_e32 vcc_lo, 0, v31
	v_add_nc_u32_e32 v49, 0x1715609d, v23
	v_add_nc_u32_e32 v50, 0xa9066899, v24
	s_mov_b32 s4, exec_lo
	v_dual_cndmask_b32 v25, 0, v17 :: v_dual_add_nc_u32 v44, 0xbb67ae85, v24
	v_mad_u64_u32 v[17:18], null, 0xd2511f53, v22, 0
	s_delay_alu instid0(VALU_DEP_2) | instskip(NEXT) | instid1(VALU_DEP_2)
	v_add_nc_u32_e32 v22, v25, v1
	v_xor_b32_e32 v26, v18, v24
	s_delay_alu instid0(VALU_DEP_2) | instskip(SKIP_2) | instid1(VALU_DEP_1)
	v_cmp_eq_u32_e32 vcc_lo, 0, v22
	v_mad_u64_u32 v[18:19], null, 0xd2511f53, v20, 0
	v_cndmask_b32_e32 v25, 0, v25, vcc_lo
	v_xor_b32_e32 v20, v25, v26
	v_mad_u64_u32 v[25:26], null, 0xd2511f53, v27, 0
	v_mad_u64_u32 v[27:28], null, 0xcd9e8d57, v22, 0
	v_add_nc_u32_e32 v22, 0x3c6ef372, v23
	s_delay_alu instid0(VALU_DEP_4) | instskip(SKIP_2) | instid1(VALU_DEP_2)
	v_mad_u64_u32 v[29:30], null, 0xcd9e8d57, v20, 0
	v_xor_b32_e32 v20, v19, v24
	v_xor3_b32 v32, v44, v26, v18
	v_mad_u64_u32 v[18:19], null, 0xcd9e8d57, v20, 0
	v_xor3_b32 v20, v28, v23, v31
	v_xor3_b32 v28, v43, v30, v27
	s_delay_alu instid0(VALU_DEP_4) | instskip(NEXT) | instid1(VALU_DEP_3)
	v_mad_u64_u32 v[26:27], null, 0xcd9e8d57, v32, 0
	v_mad_u64_u32 v[30:31], null, 0xd2511f53, v20, 0
	s_delay_alu instid0(VALU_DEP_3) | instskip(SKIP_1) | instid1(VALU_DEP_4)
	v_mad_u64_u32 v[32:33], null, 0xd2511f53, v28, 0
	v_xor3_b32 v20, v4, v19, v43
	v_xor3_b32 v43, v22, v27, v18
	s_delay_alu instid0(VALU_DEP_4) | instskip(NEXT) | instid1(VALU_DEP_3)
	v_xor3_b32 v17, v44, v31, v17
	v_mad_u64_u32 v[18:19], null, 0xd2511f53, v20, 0
	v_xor3_b32 v20, v45, v33, v30
	s_delay_alu instid0(VALU_DEP_4) | instskip(NEXT) | instid1(VALU_DEP_4)
	v_mad_u64_u32 v[27:28], null, 0xd2511f53, v43, 0
	v_mad_u64_u32 v[30:31], null, 0xcd9e8d57, v17, 0
	s_delay_alu instid0(VALU_DEP_3) | instskip(SKIP_4) | instid1(VALU_DEP_4)
	v_mad_u64_u32 v[43:44], null, 0xcd9e8d57, v20, 0
	v_xor3_b32 v19, v45, v19, v25
	v_add_nc_u32_e32 v33, 0x78dde6e4, v23
	v_xor3_b32 v25, v47, v28, v18
	v_xor3_b32 v22, v22, v31, v29
	v_mad_u64_u32 v[17:18], null, 0xcd9e8d57, v19, 0
	v_xor3_b32 v44, v46, v44, v30
	s_delay_alu instid0(VALU_DEP_4) | instskip(NEXT) | instid1(VALU_DEP_4)
	v_mad_u64_u32 v[19:20], null, 0xcd9e8d57, v25, 0
	v_mad_u64_u32 v[28:29], null, 0xd2511f53, v22, 0
	s_delay_alu instid0(VALU_DEP_3) | instskip(SKIP_1) | instid1(VALU_DEP_4)
	v_mad_u64_u32 v[30:31], null, 0xd2511f53, v44, 0
	v_xor3_b32 v22, v46, v18, v26
	v_xor3_b32 v20, v33, v20, v17
	s_delay_alu instid0(VALU_DEP_2) | instskip(SKIP_2) | instid1(VALU_DEP_4)
	v_mad_u64_u32 v[17:18], null, 0xd2511f53, v22, 0
	v_xor3_b32 v22, v47, v29, v32
	v_xor3_b32 v28, v48, v31, v28
	v_mad_u64_u32 v[31:32], null, 0xd2511f53, v20, 0
	s_delay_alu instid0(VALU_DEP_3) | instskip(NEXT) | instid1(VALU_DEP_3)
	v_mad_u64_u32 v[25:26], null, 0xcd9e8d57, v22, 0
	v_mad_u64_u32 v[44:45], null, 0xcd9e8d57, v28, 0
	v_xor3_b32 v20, v48, v18, v27
	s_delay_alu instid0(VALU_DEP_4) | instskip(SKIP_2) | instid1(VALU_DEP_4)
	v_xor3_b32 v28, v50, v32, v17
	v_add_nc_u32_e32 v22, 0xb54cda56, v23
	v_add_nc_u32_e32 v27, 0x646e171e, v24
	v_mad_u64_u32 v[17:18], null, 0xcd9e8d57, v20, 0
	v_xor3_b32 v20, v33, v26, v43
	v_xor3_b32 v29, v49, v45, v25
	v_mad_u64_u32 v[45:46], null, 0xcd9e8d57, v28, 0
	v_add_nc_u32_e32 v33, 0x5384540f, v23
	s_delay_alu instid0(VALU_DEP_4) | instskip(NEXT) | instid1(VALU_DEP_4)
	v_mad_u64_u32 v[25:26], null, 0xd2511f53, v20, 0
	v_mad_u64_u32 v[47:48], null, 0xd2511f53, v29, 0
	v_xor3_b32 v19, v49, v18, v19
	v_xor3_b32 v20, v22, v46, v17
	v_add_nc_u32_e32 v49, 0x1fd5c5a3, v24
	v_add_co_u32 v43, null, 0xf1bbcdc8, v23
	v_xor3_b32 v28, v50, v26, v30
	v_xor3_b32 v30, v27, v48, v25
	v_mad_u64_u32 v[17:18], null, 0xd2511f53, v19, 0
	v_mad_u64_u32 v[25:26], null, 0xd2511f53, v20, 0
	s_delay_alu instid0(VALU_DEP_4) | instskip(NEXT) | instid1(VALU_DEP_4)
	v_mad_u64_u32 v[19:20], null, 0xcd9e8d57, v28, 0
	v_mad_u64_u32 v[28:29], null, 0xcd9e8d57, v30, 0
	s_delay_alu instid0(VALU_DEP_4) | instskip(NEXT) | instid1(VALU_DEP_4)
	v_xor3_b32 v27, v27, v18, v31
	v_xor3_b32 v30, v49, v26, v17
	s_delay_alu instid0(VALU_DEP_4) | instskip(NEXT) | instid1(VALU_DEP_3)
	v_xor3_b32 v22, v22, v20, v44
	v_mad_u64_u32 v[17:18], null, 0xcd9e8d57, v27, 0
	v_xor3_b32 v29, v33, v29, v19
	s_delay_alu instid0(VALU_DEP_4) | instskip(NEXT) | instid1(VALU_DEP_4)
	v_mad_u64_u32 v[26:27], null, 0xcd9e8d57, v30, 0
	v_mad_u64_u32 v[19:20], null, 0xd2511f53, v22, 0
	s_delay_alu instid0(VALU_DEP_3)
	v_mad_u64_u32 v[31:32], null, 0xd2511f53, v29, 0
	v_add_nc_u32_e32 v44, 0xdb3d7428, v24
	v_xor3_b32 v18, v33, v18, v45
	v_xor3_b32 v22, v43, v27, v17
	v_add_nc_u32_e32 v45, 0x96a522ad, v24
	v_xor3_b32 v20, v49, v20, v47
	v_and_b32_e32 v24, 3, v21
	v_xor3_b32 v27, v44, v32, v19
	v_mad_u64_u32 v[29:30], null, 0xd2511f53, v18, 0
	v_mad_u64_u32 v[17:18], null, 0xd2511f53, v22, 0
	;; [unrolled: 1-line block ×3, first 2 shown]
	s_delay_alu instid0(VALU_DEP_4) | instskip(SKIP_1) | instid1(VALU_DEP_4)
	v_mad_u64_u32 v[19:20], null, 0xcd9e8d57, v27, 0
	v_add_nc_u32_e32 v27, 0x8ff34781, v23
                                        ; implicit-def: $vgpr22
	v_xor3_b32 v23, v18, v29, v45
	s_delay_alu instid0(VALU_DEP_2)
	v_xor3_b32 v18, v20, v32, v27
	v_cmpx_lt_i32_e32 1, v24
	s_xor_b32 s4, exec_lo, s4
	s_cbranch_execz .LBB119_11
; %bb.6:                                ;   in Loop: Header=BB119_3 Depth=1
	s_mov_b32 s37, exec_lo
                                        ; implicit-def: $vgpr22
	v_cmpx_lt_i32_e32 2, v24
	s_xor_b32 s37, exec_lo, s37
; %bb.7:                                ;   in Loop: Header=BB119_3 Depth=1
	v_xor3_b32 v20, v43, v33, v28
                                        ; implicit-def: $vgpr23
	s_delay_alu instid0(VALU_DEP_1) | instskip(NEXT) | instid1(VALU_DEP_1)
	v_mul_hi_u32 v20, 0xd2511f53, v20
	v_xor3_b32 v22, v20, v31, v45
; %bb.8:                                ;   in Loop: Header=BB119_3 Depth=1
	s_and_not1_saveexec_b32 s37, s37
; %bb.9:                                ;   in Loop: Header=BB119_3 Depth=1
	v_dual_mov_b32 v22, v19 :: v_dual_mov_b32 v19, v18
	v_dual_mov_b32 v18, v17 :: v_dual_mov_b32 v17, v23
; %bb.10:                               ;   in Loop: Header=BB119_3 Depth=1
	s_or_b32 exec_lo, exec_lo, s37
                                        ; implicit-def: $vgpr25_vgpr26
                                        ; implicit-def: $vgpr24
                                        ; implicit-def: $vgpr23
                                        ; implicit-def: $vgpr44
                                        ; implicit-def: $vgpr29_vgpr30
                                        ; implicit-def: $vgpr26_vgpr27
                                        ; implicit-def: $vgpr27
.LBB119_11:                             ;   in Loop: Header=BB119_3 Depth=1
	s_and_not1_saveexec_b32 s4, s4
	s_cbranch_execz .LBB119_15
; %bb.12:                               ;   in Loop: Header=BB119_3 Depth=1
	v_xor3_b32 v19, v44, v30, v25
	v_cmp_eq_u32_e32 vcc_lo, 1, v24
	v_mov_b32_e32 v22, v17
	s_delay_alu instid0(VALU_DEP_3) | instskip(SKIP_1) | instid1(VALU_DEP_2)
	v_mad_u64_u32 v[20:21], null, 0xcd9e8d57, v19, 0
	v_mov_b32_e32 v19, v23
	v_xor3_b32 v24, v21, v26, v27
	s_delay_alu instid0(VALU_DEP_3)
	v_mov_b32_e32 v21, v20
	s_and_saveexec_b32 s37, vcc_lo
; %bb.13:                               ;   in Loop: Header=BB119_3 Depth=1
	v_dual_mov_b32 v22, v18 :: v_dual_mov_b32 v19, v17
	v_dual_mov_b32 v21, v23 :: v_dual_mov_b32 v24, v20
; %bb.14:                               ;   in Loop: Header=BB119_3 Depth=1
	s_or_b32 exec_lo, exec_lo, s37
	s_delay_alu instid0(VALU_DEP_1)
	v_dual_mov_b32 v17, v24 :: v_dual_mov_b32 v18, v21
.LBB119_15:                             ;   in Loop: Header=BB119_3 Depth=1
	s_or_b32 exec_lo, exec_lo, s4
	v_min_i32_e32 v20, 4, v0
	s_mov_b32 s37, 0
	s_mov_b32 s41, 0
	s_mov_b32 s40, exec_lo
                                        ; implicit-def: $sgpr4
                                        ; implicit-def: $sgpr38
                                        ; implicit-def: $sgpr39
	s_delay_alu instid0(VALU_DEP_1)
	v_cmpx_lt_i32_e32 2, v20
	s_xor_b32 s40, exec_lo, s40
	s_cbranch_execz .LBB119_25
; %bb.16:                               ;   in Loop: Header=BB119_3 Depth=1
	s_mov_b32 s41, -1
	s_mov_b32 s39, exec_lo
                                        ; implicit-def: $sgpr38
                                        ; implicit-def: $sgpr4
	v_cmpx_lt_i32_e32 3, v20
	s_cbranch_execz .LBB119_20
; %bb.17:                               ;   in Loop: Header=BB119_3 Depth=1
	v_cmp_le_f32_e32 vcc_lo, 0, v42
	v_cmp_ge_f32_e64 s4, 1.0, v42
	s_mov_b32 s38, 0
	s_mov_b32 s41, 0
	s_delay_alu instid0(VALU_DEP_1) | instskip(NEXT) | instid1(SALU_CYCLE_1)
	s_and_b32 s42, vcc_lo, s4
	s_and_saveexec_b32 s4, s42
	s_cbranch_execz .LBB119_19
; %bb.18:                               ;   in Loop: Header=BB119_3 Depth=1
	v_add_co_u32 v21, vcc_lo, v11, s12
	v_add_co_ci_u32_e32 v23, vcc_lo, s13, v12, vcc_lo
	v_cvt_f32_u32_e32 v22, v22
	s_delay_alu instid0(VALU_DEP_3) | instskip(SKIP_1) | instid1(VALU_DEP_3)
	v_cndmask_b32_e64 v21, 0, v21, s3
	s_mov_b32 s41, exec_lo
	v_cndmask_b32_e64 v23, 0, v23, s3
	s_delay_alu instid0(VALU_DEP_3) | instskip(NEXT) | instid1(VALU_DEP_3)
	v_fmaak_f32 v24, 0x2f800000, v22, 0x2f800000
	v_add_co_u32 v21, vcc_lo, s6, v21
	s_delay_alu instid0(VALU_DEP_3) | instskip(NEXT) | instid1(VALU_DEP_3)
	v_add_co_ci_u32_e32 v22, vcc_lo, s7, v23, vcc_lo
	v_cmp_le_f32_e32 vcc_lo, v24, v42
	v_cndmask_b32_e64 v23, 0, 1, vcc_lo
	global_store_b8 v[21:22], v23, off
.LBB119_19:                             ;   in Loop: Header=BB119_3 Depth=1
	s_or_b32 exec_lo, exec_lo, s4
	s_mov_b32 s4, -1
	s_or_not1_b32 s41, s41, exec_lo
.LBB119_20:                             ;   in Loop: Header=BB119_3 Depth=1
	s_or_b32 exec_lo, exec_lo, s39
	s_mov_b32 s3, 0
	s_mov_b32 s42, s38
	s_and_saveexec_b32 s39, s41
	s_cbranch_execz .LBB119_24
; %bb.21:                               ;   in Loop: Header=BB119_3 Depth=1
	v_cmp_le_f32_e32 vcc_lo, 0, v41
	v_cmp_ge_f32_e64 s3, 1.0, v41
	s_delay_alu instid0(VALU_DEP_1) | instskip(SKIP_2) | instid1(SALU_CYCLE_1)
	s_and_b32 s41, vcc_lo, s3
	s_mov_b32 s3, 0
	s_and_saveexec_b32 s42, s41
	s_xor_b32 s41, exec_lo, s42
	s_cbranch_execz .LBB119_23
; %bb.22:                               ;   in Loop: Header=BB119_3 Depth=1
	v_add_co_u32 v21, vcc_lo, v7, s12
	v_add_co_ci_u32_e32 v22, vcc_lo, s13, v8, vcc_lo
	v_cvt_f32_u32_e32 v19, v19
	s_delay_alu instid0(VALU_DEP_3) | instskip(SKIP_1) | instid1(VALU_DEP_3)
	v_cndmask_b32_e64 v21, 0, v21, s2
	s_mov_b32 s3, exec_lo
	v_cndmask_b32_e64 v22, 0, v22, s2
	s_delay_alu instid0(VALU_DEP_3) | instskip(NEXT) | instid1(VALU_DEP_3)
	v_fmaak_f32 v19, 0x2f800000, v19, 0x2f800000
	v_add_co_u32 v21, vcc_lo, s6, v21
	s_delay_alu instid0(VALU_DEP_3) | instskip(NEXT) | instid1(VALU_DEP_3)
	v_add_co_ci_u32_e32 v22, vcc_lo, s7, v22, vcc_lo
	v_cmp_le_f32_e32 vcc_lo, v19, v41
	v_cndmask_b32_e64 v19, 0, 1, vcc_lo
	global_store_b8 v[21:22], v19, off
.LBB119_23:                             ;   in Loop: Header=BB119_3 Depth=1
	s_or_b32 exec_lo, exec_lo, s41
	s_delay_alu instid0(SALU_CYCLE_1)
	s_and_not1_b32 s42, s38, exec_lo
	s_or_b32 s38, s38, exec_lo
	s_and_not1_b32 s4, s4, exec_lo
	s_and_b32 s3, s3, exec_lo
.LBB119_24:                             ;   in Loop: Header=BB119_3 Depth=1
	s_or_b32 exec_lo, exec_lo, s39
	s_delay_alu instid0(SALU_CYCLE_1)
	s_and_b32 s39, s42, exec_lo
	s_and_b32 s38, s38, exec_lo
	;; [unrolled: 1-line block ×4, first 2 shown]
.LBB119_25:                             ;   in Loop: Header=BB119_3 Depth=1
	s_and_not1_saveexec_b32 s2, s40
; %bb.26:                               ;   in Loop: Header=BB119_3 Depth=1
	v_cmp_lt_i32_e32 vcc_lo, 1, v20
	s_and_not1_b32 s3, s41, exec_lo
	s_mov_b32 s37, exec_lo
	s_and_not1_b32 s39, s39, exec_lo
	s_and_not1_b32 s38, s38, exec_lo
	s_and_b32 s40, vcc_lo, exec_lo
	s_and_not1_b32 s4, s4, exec_lo
	s_or_b32 s41, s3, s40
; %bb.27:                               ;   in Loop: Header=BB119_3 Depth=1
	s_or_b32 exec_lo, exec_lo, s2
	s_mov_b32 s3, 0
	s_mov_b32 s40, 0
	s_mov_b32 s2, s39
	s_and_saveexec_b32 s42, s41
	s_cbranch_execnz .LBB119_30
; %bb.28:                               ;   in Loop: Header=BB119_3 Depth=1
	s_or_b32 exec_lo, exec_lo, s42
	s_and_saveexec_b32 s1, s37
	s_cbranch_execnz .LBB119_33
.LBB119_29:                             ;   in Loop: Header=BB119_3 Depth=1
	s_or_b32 exec_lo, exec_lo, s1
	s_and_saveexec_b32 s37, s40
	s_cbranch_execnz .LBB119_34
	s_branch .LBB119_37
.LBB119_30:                             ;   in Loop: Header=BB119_3 Depth=1
	v_cmp_le_f32_e32 vcc_lo, 0, v40
	v_cmp_ge_f32_e64 s2, 1.0, v40
	s_delay_alu instid0(VALU_DEP_1) | instskip(NEXT) | instid1(SALU_CYCLE_1)
	s_and_b32 s2, vcc_lo, s2
	s_and_saveexec_b32 s41, s2
	s_delay_alu instid0(SALU_CYCLE_1)
	s_xor_b32 s2, exec_lo, s41
	s_cbranch_execz .LBB119_32
; %bb.31:                               ;   in Loop: Header=BB119_3 Depth=1
	v_add_co_u32 v19, vcc_lo, v10, s12
	v_add_co_ci_u32_e32 v21, vcc_lo, s13, v35, vcc_lo
	v_cvt_f32_u32_e32 v18, v18
	s_delay_alu instid0(VALU_DEP_3) | instskip(SKIP_1) | instid1(VALU_DEP_3)
	v_cndmask_b32_e64 v19, 0, v19, s1
	s_mov_b32 s40, exec_lo
	v_cndmask_b32_e64 v21, 0, v21, s1
	s_delay_alu instid0(VALU_DEP_3) | instskip(NEXT) | instid1(VALU_DEP_3)
	v_fmaak_f32 v22, 0x2f800000, v18, 0x2f800000
	v_add_co_u32 v18, vcc_lo, s6, v19
	s_delay_alu instid0(VALU_DEP_3) | instskip(NEXT) | instid1(VALU_DEP_3)
	v_add_co_ci_u32_e32 v19, vcc_lo, s7, v21, vcc_lo
	v_cmp_le_f32_e32 vcc_lo, v22, v40
	v_cndmask_b32_e64 v21, 0, 1, vcc_lo
	global_store_b8 v[18:19], v21, off
.LBB119_32:                             ;   in Loop: Header=BB119_3 Depth=1
	s_or_b32 exec_lo, exec_lo, s2
	s_delay_alu instid0(SALU_CYCLE_1)
	s_and_not1_b32 s2, s39, exec_lo
	s_or_b32 s39, s39, exec_lo
	s_and_not1_b32 s38, s38, exec_lo
	s_and_not1_b32 s4, s4, exec_lo
	s_and_b32 s40, s40, exec_lo
	s_and_not1_b32 s37, s37, exec_lo
	s_or_b32 exec_lo, exec_lo, s42
	s_and_saveexec_b32 s1, s37
	s_cbranch_execz .LBB119_29
.LBB119_33:                             ;   in Loop: Header=BB119_3 Depth=1
	v_cmp_eq_u32_e32 vcc_lo, 1, v20
	s_and_not1_b32 s37, s40, exec_lo
	s_mov_b32 s3, exec_lo
	s_and_not1_b32 s2, s2, exec_lo
	s_and_not1_b32 s39, s39, exec_lo
	s_and_b32 s40, vcc_lo, exec_lo
	s_and_not1_b32 s38, s38, exec_lo
	s_and_not1_b32 s4, s4, exec_lo
	s_or_b32 s40, s37, s40
	s_or_b32 exec_lo, exec_lo, s1
	s_and_saveexec_b32 s37, s40
	s_cbranch_execz .LBB119_37
.LBB119_34:                             ;   in Loop: Header=BB119_3 Depth=1
	v_cmp_le_f32_e32 vcc_lo, 0, v39
	v_cmp_ge_f32_e64 s1, 1.0, v39
	s_delay_alu instid0(VALU_DEP_1)
	s_and_b32 s41, vcc_lo, s1
	s_mov_b32 s1, 0
	s_and_saveexec_b32 s40, s41
	s_cbranch_execz .LBB119_36
; %bb.35:                               ;   in Loop: Header=BB119_3 Depth=1
	v_add_co_u32 v18, vcc_lo, v5, s12
	v_add_co_ci_u32_e32 v19, vcc_lo, s13, v6, vcc_lo
	v_cvt_f32_u32_e32 v17, v17
	s_delay_alu instid0(VALU_DEP_3) | instskip(SKIP_1) | instid1(VALU_DEP_3)
	v_cndmask_b32_e64 v18, 0, v18, s0
	s_mov_b32 s1, exec_lo
	v_cndmask_b32_e64 v19, 0, v19, s0
	s_delay_alu instid0(VALU_DEP_3) | instskip(NEXT) | instid1(VALU_DEP_3)
	v_fmaak_f32 v20, 0x2f800000, v17, 0x2f800000
	v_add_co_u32 v17, vcc_lo, s6, v18
	s_delay_alu instid0(VALU_DEP_3) | instskip(NEXT) | instid1(VALU_DEP_3)
	v_add_co_ci_u32_e32 v18, vcc_lo, s7, v19, vcc_lo
	v_cmp_le_f32_e32 vcc_lo, v20, v39
	v_cndmask_b32_e64 v19, 0, 1, vcc_lo
	global_store_b8 v[17:18], v19, off
.LBB119_36:                             ;   in Loop: Header=BB119_3 Depth=1
	s_or_b32 exec_lo, exec_lo, s40
	s_delay_alu instid0(SALU_CYCLE_1)
	s_and_not1_b32 s0, s3, exec_lo
	s_and_b32 s1, s1, exec_lo
	s_or_b32 s2, s2, exec_lo
	s_and_not1_b32 s39, s39, exec_lo
	s_and_not1_b32 s38, s38, exec_lo
	s_and_not1_b32 s4, s4, exec_lo
	s_or_b32 s3, s0, s1
.LBB119_37:                             ;   in Loop: Header=BB119_3 Depth=1
	s_or_b32 exec_lo, exec_lo, s37
	s_delay_alu instid0(SALU_CYCLE_1)
	s_and_not1_b32 s1, s36, exec_lo
	s_and_b32 s2, s2, exec_lo
	s_and_not1_b32 s34, s34, exec_lo
	s_and_b32 s37, s39, exec_lo
	s_or_b32 s36, s1, s2
	s_and_not1_b32 s1, s35, exec_lo
	s_and_b32 s2, s38, exec_lo
	s_and_not1_b32 s33, s33, exec_lo
	s_and_b32 s4, s4, exec_lo
	s_mov_b32 s0, -1
	s_or_b32 s34, s34, s37
	s_or_b32 s35, s1, s2
	;; [unrolled: 1-line block ×3, first 2 shown]
	s_and_saveexec_b32 s1, s3
	s_cbranch_execz .LBB119_2
; %bb.38:                               ;   in Loop: Header=BB119_3 Depth=1
	v_add_co_u32 v2, vcc_lo, v2, s15
	v_add_co_ci_u32_e32 v3, vcc_lo, 0, v3, vcc_lo
	v_subrev_nc_u32_e32 v0, s15, v0
	s_add_u32 s12, s12, s25
	s_addc_u32 s13, s13, s24
	s_delay_alu instid0(VALU_DEP_2)
	v_cmp_le_u64_e32 vcc_lo, s[16:17], v[2:3]
	s_add_u32 s10, s10, s28
	s_addc_u32 s11, s11, s27
	s_and_not1_b32 s36, s36, exec_lo
	s_and_not1_b32 s34, s34, exec_lo
	;; [unrolled: 1-line block ×4, first 2 shown]
	s_or_not1_b32 s0, vcc_lo, exec_lo
	s_branch .LBB119_2
.LBB119_39:
	s_or_b32 exec_lo, exec_lo, s5
	s_xor_b32 s3, s30, -1
	s_xor_b32 s4, s31, -1
	;; [unrolled: 1-line block ×3, first 2 shown]
	s_mov_b32 s1, 0
	s_and_saveexec_b32 s2, s0
	s_delay_alu instid0(SALU_CYCLE_1)
	s_xor_b32 s0, exec_lo, s2
	s_cbranch_execz .LBB119_48
; %bb.40:
	s_mov_b32 s2, 0
	s_and_saveexec_b32 s1, s4
	s_delay_alu instid0(SALU_CYCLE_1)
	s_xor_b32 s1, exec_lo, s1
	s_cbranch_execz .LBB119_46
; %bb.41:
	s_and_saveexec_b32 s4, s3
	s_delay_alu instid0(SALU_CYCLE_1)
	s_xor_b32 s3, exec_lo, s4
	s_cbranch_execz .LBB119_44
; %bb.42:
	s_and_saveexec_b32 s4, s26
	s_delay_alu instid0(SALU_CYCLE_1)
	s_xor_b32 s4, exec_lo, s4
	s_cbranch_execnz .LBB119_62
.LBB119_43:
	s_or_b32 exec_lo, exec_lo, s4
	s_delay_alu instid0(SALU_CYCLE_1)
	s_and_b32 s2, s2, exec_lo
.LBB119_44:
	s_and_not1_saveexec_b32 s3, s3
	s_cbranch_execnz .LBB119_58
.LBB119_45:
	s_or_b32 exec_lo, exec_lo, s3
	s_delay_alu instid0(SALU_CYCLE_1)
	s_and_b32 s2, s2, exec_lo
.LBB119_46:
	s_and_not1_saveexec_b32 s1, s1
	s_cbranch_execnz .LBB119_54
.LBB119_47:
	s_or_b32 exec_lo, exec_lo, s1
	s_delay_alu instid0(SALU_CYCLE_1)
	s_and_b32 s1, s2, exec_lo
.LBB119_48:
	s_and_not1_saveexec_b32 s0, s0
	s_cbranch_execnz .LBB119_52
; %bb.49:
	s_or_b32 exec_lo, exec_lo, s0
	s_delay_alu instid0(SALU_CYCLE_1)
	s_and_b32 exec_lo, exec_lo, s1
.LBB119_50:
	; divergent unreachable
.LBB119_51:
	s_nop 0
	s_sendmsg sendmsg(MSG_DEALLOC_VGPRS)
	s_endpgm
.LBB119_52:
	s_cbranch_execnz .LBB119_56
; %bb.53:
	s_or_b32 s1, s1, exec_lo
	s_or_b32 exec_lo, exec_lo, s0
	s_delay_alu instid0(SALU_CYCLE_1)
	s_and_b32 exec_lo, exec_lo, s1
	s_cbranch_execnz .LBB119_50
	s_branch .LBB119_51
.LBB119_54:
	s_cbranch_execnz .LBB119_60
; %bb.55:
	s_or_b32 s2, s2, exec_lo
	s_branch .LBB119_47
.LBB119_56:
	s_trap 2
	s_sendmsg_rtn_b32 s0, sendmsg(MSG_RTN_GET_DOORBELL)
	s_mov_b32 ttmp2, m0
	s_waitcnt lgkmcnt(0)
	s_and_b32 s0, s0, 0x3ff
	s_delay_alu instid0(SALU_CYCLE_1) | instskip(NEXT) | instid1(SALU_CYCLE_1)
	s_bitset1_b32 s0, 10
	s_mov_b32 m0, s0
	s_sendmsg sendmsg(MSG_INTERRUPT)
	s_mov_b32 m0, ttmp2
.LBB119_57:                             ; =>This Inner Loop Header: Depth=1
	s_sethalt 5
	s_branch .LBB119_57
.LBB119_58:
	s_cbranch_execnz .LBB119_64
; %bb.59:
	s_or_b32 s2, s2, exec_lo
	s_branch .LBB119_45
.LBB119_60:
	s_trap 2
	s_sendmsg_rtn_b32 s0, sendmsg(MSG_RTN_GET_DOORBELL)
	s_mov_b32 ttmp2, m0
	s_waitcnt lgkmcnt(0)
	s_and_b32 s0, s0, 0x3ff
	s_delay_alu instid0(SALU_CYCLE_1) | instskip(NEXT) | instid1(SALU_CYCLE_1)
	s_bitset1_b32 s0, 10
	s_mov_b32 m0, s0
	s_sendmsg sendmsg(MSG_INTERRUPT)
	s_mov_b32 m0, ttmp2
.LBB119_61:                             ; =>This Inner Loop Header: Depth=1
	s_sethalt 5
	s_branch .LBB119_61
.LBB119_62:
	s_cbranch_execnz .LBB119_66
; %bb.63:
	s_mov_b32 s2, exec_lo
	s_branch .LBB119_43
.LBB119_64:
	s_trap 2
	s_sendmsg_rtn_b32 s0, sendmsg(MSG_RTN_GET_DOORBELL)
	s_mov_b32 ttmp2, m0
	s_waitcnt lgkmcnt(0)
	s_and_b32 s0, s0, 0x3ff
	s_delay_alu instid0(SALU_CYCLE_1) | instskip(NEXT) | instid1(SALU_CYCLE_1)
	s_bitset1_b32 s0, 10
	s_mov_b32 m0, s0
	s_sendmsg sendmsg(MSG_INTERRUPT)
	s_mov_b32 m0, ttmp2
.LBB119_65:                             ; =>This Inner Loop Header: Depth=1
	s_sethalt 5
	s_branch .LBB119_65
.LBB119_66:
	s_trap 2
	s_sendmsg_rtn_b32 s0, sendmsg(MSG_RTN_GET_DOORBELL)
	s_mov_b32 ttmp2, m0
	s_waitcnt lgkmcnt(0)
	s_and_b32 s0, s0, 0x3ff
	s_delay_alu instid0(SALU_CYCLE_1) | instskip(NEXT) | instid1(SALU_CYCLE_1)
	s_bitset1_b32 s0, 10
	s_mov_b32 m0, s0
	s_sendmsg sendmsg(MSG_INTERRUPT)
	s_mov_b32 m0, ttmp2
.LBB119_67:                             ; =>This Inner Loop Header: Depth=1
	s_sethalt 5
	s_branch .LBB119_67
	.section	.rodata,"a",@progbits
	.p2align	6, 0x0
	.amdhsa_kernel _ZN2at4cuda12_GLOBAL__N_121kernelPointwiseApply2IZNS_6native9templates4cuda28bernoulli_tensor_cuda_kernelIbfEEvRKNS_10TensorBaseES9_NS_15PhiloxCudaStateEEUliRbSB_SB_SB_RKfSD_SD_SD_E_bSC_mLi1ELi1ELi4ELi512ELi2EEEvNS0_6detail10TensorInfoIT0_T2_EENSG_IT1_SI_EESI_T_
		.amdhsa_group_segment_fixed_size 0
		.amdhsa_private_segment_fixed_size 0
		.amdhsa_kernarg_size 1128
		.amdhsa_user_sgpr_count 15
		.amdhsa_user_sgpr_dispatch_ptr 0
		.amdhsa_user_sgpr_queue_ptr 0
		.amdhsa_user_sgpr_kernarg_segment_ptr 1
		.amdhsa_user_sgpr_dispatch_id 0
		.amdhsa_user_sgpr_private_segment_size 0
		.amdhsa_wavefront_size32 1
		.amdhsa_uses_dynamic_stack 0
		.amdhsa_enable_private_segment 0
		.amdhsa_system_sgpr_workgroup_id_x 1
		.amdhsa_system_sgpr_workgroup_id_y 0
		.amdhsa_system_sgpr_workgroup_id_z 0
		.amdhsa_system_sgpr_workgroup_info 0
		.amdhsa_system_vgpr_workitem_id 0
		.amdhsa_next_free_vgpr 51
		.amdhsa_next_free_sgpr 43
		.amdhsa_reserve_vcc 1
		.amdhsa_float_round_mode_32 0
		.amdhsa_float_round_mode_16_64 0
		.amdhsa_float_denorm_mode_32 3
		.amdhsa_float_denorm_mode_16_64 3
		.amdhsa_dx10_clamp 1
		.amdhsa_ieee_mode 1
		.amdhsa_fp16_overflow 0
		.amdhsa_workgroup_processor_mode 1
		.amdhsa_memory_ordered 1
		.amdhsa_forward_progress 0
		.amdhsa_shared_vgpr_count 0
		.amdhsa_exception_fp_ieee_invalid_op 0
		.amdhsa_exception_fp_denorm_src 0
		.amdhsa_exception_fp_ieee_div_zero 0
		.amdhsa_exception_fp_ieee_overflow 0
		.amdhsa_exception_fp_ieee_underflow 0
		.amdhsa_exception_fp_ieee_inexact 0
		.amdhsa_exception_int_div_zero 0
	.end_amdhsa_kernel
	.section	.text._ZN2at4cuda12_GLOBAL__N_121kernelPointwiseApply2IZNS_6native9templates4cuda28bernoulli_tensor_cuda_kernelIbfEEvRKNS_10TensorBaseES9_NS_15PhiloxCudaStateEEUliRbSB_SB_SB_RKfSD_SD_SD_E_bSC_mLi1ELi1ELi4ELi512ELi2EEEvNS0_6detail10TensorInfoIT0_T2_EENSG_IT1_SI_EESI_T_,"axG",@progbits,_ZN2at4cuda12_GLOBAL__N_121kernelPointwiseApply2IZNS_6native9templates4cuda28bernoulli_tensor_cuda_kernelIbfEEvRKNS_10TensorBaseES9_NS_15PhiloxCudaStateEEUliRbSB_SB_SB_RKfSD_SD_SD_E_bSC_mLi1ELi1ELi4ELi512ELi2EEEvNS0_6detail10TensorInfoIT0_T2_EENSG_IT1_SI_EESI_T_,comdat
.Lfunc_end119:
	.size	_ZN2at4cuda12_GLOBAL__N_121kernelPointwiseApply2IZNS_6native9templates4cuda28bernoulli_tensor_cuda_kernelIbfEEvRKNS_10TensorBaseES9_NS_15PhiloxCudaStateEEUliRbSB_SB_SB_RKfSD_SD_SD_E_bSC_mLi1ELi1ELi4ELi512ELi2EEEvNS0_6detail10TensorInfoIT0_T2_EENSG_IT1_SI_EESI_T_, .Lfunc_end119-_ZN2at4cuda12_GLOBAL__N_121kernelPointwiseApply2IZNS_6native9templates4cuda28bernoulli_tensor_cuda_kernelIbfEEvRKNS_10TensorBaseES9_NS_15PhiloxCudaStateEEUliRbSB_SB_SB_RKfSD_SD_SD_E_bSC_mLi1ELi1ELi4ELi512ELi2EEEvNS0_6detail10TensorInfoIT0_T2_EENSG_IT1_SI_EESI_T_
                                        ; -- End function
	.section	.AMDGPU.csdata,"",@progbits
; Kernel info:
; codeLenInByte = 3484
; NumSgprs: 45
; NumVgprs: 51
; ScratchSize: 0
; MemoryBound: 0
; FloatMode: 240
; IeeeMode: 1
; LDSByteSize: 0 bytes/workgroup (compile time only)
; SGPRBlocks: 5
; VGPRBlocks: 6
; NumSGPRsForWavesPerEU: 45
; NumVGPRsForWavesPerEU: 51
; Occupancy: 16
; WaveLimiterHint : 1
; COMPUTE_PGM_RSRC2:SCRATCH_EN: 0
; COMPUTE_PGM_RSRC2:USER_SGPR: 15
; COMPUTE_PGM_RSRC2:TRAP_HANDLER: 0
; COMPUTE_PGM_RSRC2:TGID_X_EN: 1
; COMPUTE_PGM_RSRC2:TGID_Y_EN: 0
; COMPUTE_PGM_RSRC2:TGID_Z_EN: 0
; COMPUTE_PGM_RSRC2:TIDIG_COMP_CNT: 0
	.section	.text._ZN2at4cuda12_GLOBAL__N_121kernelPointwiseApply2IZNS_6native9templates4cuda28bernoulli_tensor_cuda_kernelIbfEEvRKNS_10TensorBaseES9_NS_15PhiloxCudaStateEEUliRbSB_SB_SB_RKfSD_SD_SD_E_bSC_mLin1ELin1ELi4ELi512ELi2EEEvNS0_6detail10TensorInfoIT0_T2_EENSG_IT1_SI_EESI_T_,"axG",@progbits,_ZN2at4cuda12_GLOBAL__N_121kernelPointwiseApply2IZNS_6native9templates4cuda28bernoulli_tensor_cuda_kernelIbfEEvRKNS_10TensorBaseES9_NS_15PhiloxCudaStateEEUliRbSB_SB_SB_RKfSD_SD_SD_E_bSC_mLin1ELin1ELi4ELi512ELi2EEEvNS0_6detail10TensorInfoIT0_T2_EENSG_IT1_SI_EESI_T_,comdat
	.globl	_ZN2at4cuda12_GLOBAL__N_121kernelPointwiseApply2IZNS_6native9templates4cuda28bernoulli_tensor_cuda_kernelIbfEEvRKNS_10TensorBaseES9_NS_15PhiloxCudaStateEEUliRbSB_SB_SB_RKfSD_SD_SD_E_bSC_mLin1ELin1ELi4ELi512ELi2EEEvNS0_6detail10TensorInfoIT0_T2_EENSG_IT1_SI_EESI_T_ ; -- Begin function _ZN2at4cuda12_GLOBAL__N_121kernelPointwiseApply2IZNS_6native9templates4cuda28bernoulli_tensor_cuda_kernelIbfEEvRKNS_10TensorBaseES9_NS_15PhiloxCudaStateEEUliRbSB_SB_SB_RKfSD_SD_SD_E_bSC_mLin1ELin1ELi4ELi512ELi2EEEvNS0_6detail10TensorInfoIT0_T2_EENSG_IT1_SI_EESI_T_
	.p2align	8
	.type	_ZN2at4cuda12_GLOBAL__N_121kernelPointwiseApply2IZNS_6native9templates4cuda28bernoulli_tensor_cuda_kernelIbfEEvRKNS_10TensorBaseES9_NS_15PhiloxCudaStateEEUliRbSB_SB_SB_RKfSD_SD_SD_E_bSC_mLin1ELin1ELi4ELi512ELi2EEEvNS0_6detail10TensorInfoIT0_T2_EENSG_IT1_SI_EESI_T_,@function
_ZN2at4cuda12_GLOBAL__N_121kernelPointwiseApply2IZNS_6native9templates4cuda28bernoulli_tensor_cuda_kernelIbfEEvRKNS_10TensorBaseES9_NS_15PhiloxCudaStateEEUliRbSB_SB_SB_RKfSD_SD_SD_E_bSC_mLin1ELin1ELi4ELi512ELi2EEEvNS0_6detail10TensorInfoIT0_T2_EENSG_IT1_SI_EESI_T_: ; @_ZN2at4cuda12_GLOBAL__N_121kernelPointwiseApply2IZNS_6native9templates4cuda28bernoulli_tensor_cuda_kernelIbfEEvRKNS_10TensorBaseES9_NS_15PhiloxCudaStateEEUliRbSB_SB_SB_RKfSD_SD_SD_E_bSC_mLin1ELin1ELi4ELi512ELi2EEEvNS0_6detail10TensorInfoIT0_T2_EENSG_IT1_SI_EESI_T_
; %bb.0:
	s_clause 0x1
	s_load_b32 s12, s[0:1], 0x374
	s_load_b256 s[4:11], s[0:1], 0x340
	s_add_u32 s2, s0, 0x368
	s_addc_u32 s3, s1, 0
	s_waitcnt lgkmcnt(0)
	s_and_b32 s18, s12, 0xffff
	s_mov_b32 s12, exec_lo
	v_mad_u64_u32 v[1:2], null, s15, s18, v[0:1]
	v_mov_b32_e32 v2, 0
	s_delay_alu instid0(VALU_DEP_1) | instskip(NEXT) | instid1(VALU_DEP_1)
	v_dual_mov_b32 v5, v2 :: v_dual_lshlrev_b32 v4, 2, v1
	v_cmpx_gt_u64_e64 s[4:5], v[4:5]
	s_cbranch_execz .LBB120_122
; %bb.1:
	s_clause 0x2
	s_load_b32 s22, s[0:1], 0x198
	s_load_b32 s23, s[0:1], 0x338
	;; [unrolled: 1-line block ×4, first 2 shown]
	s_add_u32 s24, s0, 0x1a0
	s_addc_u32 s25, s1, 0
	s_clause 0x3
	s_load_b64 s[2:3], s[0:1], 0x270
	s_load_b64 s[12:13], s[0:1], 0x1a0
	;; [unrolled: 1-line block ×4, first 2 shown]
	s_mov_b32 s19, 0
	v_mad_u64_u32 v[6:7], null, 0xcd9e8d57, v1, 0
                                        ; implicit-def: $sgpr35
                                        ; implicit-def: $sgpr37
                                        ; implicit-def: $sgpr36
                                        ; implicit-def: $sgpr38
                                        ; implicit-def: $sgpr40
                                        ; implicit-def: $sgpr39
                                        ; implicit-def: $sgpr41
	s_delay_alu instid0(VALU_DEP_1)
	v_mov_b32_e32 v0, v7
	s_waitcnt lgkmcnt(0)
	s_cmp_gt_i32 s22, 1
	s_cselect_b32 s28, -1, 0
	s_cmp_gt_i32 s23, 1
	s_mul_i32 s21, s21, s18
	s_cselect_b32 s29, -1, 0
	s_bitcmp1_b32 s20, 0
	s_cselect_b32 s30, -1, 0
	s_add_i32 s18, s22, -1
	s_lshl_b32 s31, s21, 2
	s_lshl_b64 s[20:21], s[18:19], 3
	s_add_i32 s33, s22, 1
	s_add_u32 s0, s20, s0
	s_addc_u32 s1, s21, s1
	s_add_u32 s20, s0, 8
	s_addc_u32 s21, s1, 0
	s_add_i32 s18, s23, -1
	s_add_i32 s34, s23, 1
	s_lshl_b64 s[0:1], s[18:19], 3
                                        ; implicit-def: $sgpr18
	s_delay_alu instid0(SALU_CYCLE_1)
	s_add_u32 s0, s0, s24
	s_addc_u32 s1, s1, s25
	s_add_u32 s22, s0, 8
	s_addc_u32 s23, s1, 0
	s_branch .LBB120_3
.LBB120_2:                              ;   in Loop: Header=BB120_3 Depth=1
	s_or_b32 exec_lo, exec_lo, s1
	s_delay_alu instid0(SALU_CYCLE_1) | instskip(NEXT) | instid1(SALU_CYCLE_1)
	s_and_b32 s0, exec_lo, s0
	s_or_b32 s19, s0, s19
	s_and_not1_b32 s0, s18, exec_lo
	s_and_b32 s1, s41, exec_lo
	s_and_not1_b32 s24, s36, exec_lo
	s_and_b32 s25, s39, exec_lo
	s_or_b32 s18, s0, s1
	s_or_b32 s36, s24, s25
	s_and_not1_b32 s0, s37, exec_lo
	s_and_b32 s1, s40, exec_lo
	s_and_not1_b32 s24, s35, exec_lo
	s_and_b32 s25, s38, exec_lo
	s_or_b32 s37, s0, s1
	s_or_b32 s35, s24, s25
	s_and_not1_b32 exec_lo, exec_lo, s19
	s_cbranch_execz .LBB120_110
.LBB120_3:                              ; =>This Loop Header: Depth=1
                                        ;     Child Loop BB120_5 Depth 2
                                        ;     Child Loop BB120_14 Depth 2
	;; [unrolled: 1-line block ×8, first 2 shown]
	v_sub_nc_u32_e32 v32, s4, v4
	v_mov_b32_e32 v7, 0
	v_mov_b32_e32 v8, 0
	s_delay_alu instid0(VALU_DEP_3) | instskip(NEXT) | instid1(VALU_DEP_1)
	v_cmp_lt_i32_e64 s0, 0, v32
	s_and_saveexec_b32 s42, s0
	s_cbranch_execz .LBB120_12
; %bb.4:                                ;   in Loop: Header=BB120_3 Depth=1
	v_dual_mov_b32 v9, 0 :: v_dual_mov_b32 v8, v5
	v_dual_mov_b32 v10, 0 :: v_dual_mov_b32 v7, v4
	;; [unrolled: 1-line block ×3, first 2 shown]
	s_and_not1_b32 vcc_lo, exec_lo, s28
	s_mov_b64 s[24:25], s[20:21]
	s_mov_b32 s43, s33
	s_cbranch_vccnz .LBB120_11
.LBB120_5:                              ;   Parent Loop BB120_3 Depth=1
                                        ; =>  This Inner Loop Header: Depth=2
	s_load_b64 s[26:27], s[24:25], 0x0
                                        ; implicit-def: $vgpr11_vgpr12
	s_mov_b32 s1, exec_lo
	s_waitcnt lgkmcnt(0)
	v_or_b32_e32 v3, s27, v8
	s_delay_alu instid0(VALU_DEP_1)
	v_cmpx_ne_u64_e32 0, v[2:3]
	s_xor_b32 s44, exec_lo, s1
	s_cbranch_execz .LBB120_7
; %bb.6:                                ;   in Loop: Header=BB120_5 Depth=2
	v_cvt_f32_u32_e32 v3, s26
	v_cvt_f32_u32_e32 v11, s27
	s_sub_u32 s1, 0, s26
	s_subb_u32 s45, 0, s27
	s_delay_alu instid0(VALU_DEP_1) | instskip(NEXT) | instid1(VALU_DEP_1)
	v_fmac_f32_e32 v3, 0x4f800000, v11
	v_rcp_f32_e32 v3, v3
	s_waitcnt_depctr 0xfff
	v_mul_f32_e32 v3, 0x5f7ffffc, v3
	s_delay_alu instid0(VALU_DEP_1) | instskip(NEXT) | instid1(VALU_DEP_1)
	v_mul_f32_e32 v11, 0x2f800000, v3
	v_trunc_f32_e32 v11, v11
	s_delay_alu instid0(VALU_DEP_1) | instskip(SKIP_1) | instid1(VALU_DEP_2)
	v_fmac_f32_e32 v3, 0xcf800000, v11
	v_cvt_u32_f32_e32 v11, v11
	v_cvt_u32_f32_e32 v3, v3
	s_delay_alu instid0(VALU_DEP_2) | instskip(NEXT) | instid1(VALU_DEP_2)
	v_mul_lo_u32 v12, s1, v11
	v_mul_hi_u32 v13, s1, v3
	v_mul_lo_u32 v14, s45, v3
	s_delay_alu instid0(VALU_DEP_2) | instskip(SKIP_1) | instid1(VALU_DEP_2)
	v_add_nc_u32_e32 v12, v13, v12
	v_mul_lo_u32 v13, s1, v3
	v_add_nc_u32_e32 v12, v12, v14
	s_delay_alu instid0(VALU_DEP_2) | instskip(NEXT) | instid1(VALU_DEP_2)
	v_mul_hi_u32 v14, v3, v13
	v_mul_lo_u32 v15, v3, v12
	v_mul_hi_u32 v16, v3, v12
	v_mul_hi_u32 v17, v11, v13
	v_mul_lo_u32 v13, v11, v13
	v_mul_hi_u32 v18, v11, v12
	v_mul_lo_u32 v12, v11, v12
	v_add_co_u32 v14, vcc_lo, v14, v15
	v_add_co_ci_u32_e32 v15, vcc_lo, 0, v16, vcc_lo
	s_delay_alu instid0(VALU_DEP_2) | instskip(NEXT) | instid1(VALU_DEP_2)
	v_add_co_u32 v13, vcc_lo, v14, v13
	v_add_co_ci_u32_e32 v13, vcc_lo, v15, v17, vcc_lo
	v_add_co_ci_u32_e32 v14, vcc_lo, 0, v18, vcc_lo
	s_delay_alu instid0(VALU_DEP_2) | instskip(NEXT) | instid1(VALU_DEP_2)
	v_add_co_u32 v12, vcc_lo, v13, v12
	v_add_co_ci_u32_e32 v13, vcc_lo, 0, v14, vcc_lo
	s_delay_alu instid0(VALU_DEP_2) | instskip(NEXT) | instid1(VALU_DEP_2)
	v_add_co_u32 v3, vcc_lo, v3, v12
	v_add_co_ci_u32_e32 v11, vcc_lo, v11, v13, vcc_lo
	s_delay_alu instid0(VALU_DEP_2) | instskip(SKIP_1) | instid1(VALU_DEP_3)
	v_mul_hi_u32 v12, s1, v3
	v_mul_lo_u32 v14, s45, v3
	v_mul_lo_u32 v13, s1, v11
	s_delay_alu instid0(VALU_DEP_1) | instskip(SKIP_1) | instid1(VALU_DEP_2)
	v_add_nc_u32_e32 v12, v12, v13
	v_mul_lo_u32 v13, s1, v3
	v_add_nc_u32_e32 v12, v12, v14
	s_delay_alu instid0(VALU_DEP_2) | instskip(NEXT) | instid1(VALU_DEP_2)
	v_mul_hi_u32 v14, v3, v13
	v_mul_lo_u32 v15, v3, v12
	v_mul_hi_u32 v16, v3, v12
	v_mul_hi_u32 v17, v11, v13
	v_mul_lo_u32 v13, v11, v13
	v_mul_hi_u32 v18, v11, v12
	v_mul_lo_u32 v12, v11, v12
	v_add_co_u32 v14, vcc_lo, v14, v15
	v_add_co_ci_u32_e32 v15, vcc_lo, 0, v16, vcc_lo
	s_delay_alu instid0(VALU_DEP_2) | instskip(NEXT) | instid1(VALU_DEP_2)
	v_add_co_u32 v13, vcc_lo, v14, v13
	v_add_co_ci_u32_e32 v13, vcc_lo, v15, v17, vcc_lo
	v_add_co_ci_u32_e32 v14, vcc_lo, 0, v18, vcc_lo
	s_delay_alu instid0(VALU_DEP_2) | instskip(NEXT) | instid1(VALU_DEP_2)
	v_add_co_u32 v12, vcc_lo, v13, v12
	v_add_co_ci_u32_e32 v13, vcc_lo, 0, v14, vcc_lo
	s_delay_alu instid0(VALU_DEP_2) | instskip(NEXT) | instid1(VALU_DEP_2)
	v_add_co_u32 v3, vcc_lo, v3, v12
	v_add_co_ci_u32_e32 v17, vcc_lo, v11, v13, vcc_lo
	s_delay_alu instid0(VALU_DEP_2) | instskip(SKIP_1) | instid1(VALU_DEP_3)
	v_mul_hi_u32 v18, v7, v3
	v_mad_u64_u32 v[13:14], null, v8, v3, 0
	v_mad_u64_u32 v[11:12], null, v7, v17, 0
	;; [unrolled: 1-line block ×3, first 2 shown]
	s_delay_alu instid0(VALU_DEP_2) | instskip(NEXT) | instid1(VALU_DEP_3)
	v_add_co_u32 v3, vcc_lo, v18, v11
	v_add_co_ci_u32_e32 v11, vcc_lo, 0, v12, vcc_lo
	s_delay_alu instid0(VALU_DEP_2) | instskip(NEXT) | instid1(VALU_DEP_2)
	v_add_co_u32 v3, vcc_lo, v3, v13
	v_add_co_ci_u32_e32 v3, vcc_lo, v11, v14, vcc_lo
	v_add_co_ci_u32_e32 v11, vcc_lo, 0, v16, vcc_lo
	s_delay_alu instid0(VALU_DEP_2) | instskip(NEXT) | instid1(VALU_DEP_2)
	v_add_co_u32 v3, vcc_lo, v3, v15
	v_add_co_ci_u32_e32 v13, vcc_lo, 0, v11, vcc_lo
	s_delay_alu instid0(VALU_DEP_2) | instskip(SKIP_1) | instid1(VALU_DEP_3)
	v_mul_lo_u32 v14, s27, v3
	v_mad_u64_u32 v[11:12], null, s26, v3, 0
	v_mul_lo_u32 v15, s26, v13
	s_delay_alu instid0(VALU_DEP_2) | instskip(NEXT) | instid1(VALU_DEP_2)
	v_sub_co_u32 v11, vcc_lo, v7, v11
	v_add3_u32 v12, v12, v15, v14
	s_delay_alu instid0(VALU_DEP_1) | instskip(NEXT) | instid1(VALU_DEP_1)
	v_sub_nc_u32_e32 v14, v8, v12
	v_subrev_co_ci_u32_e64 v14, s1, s27, v14, vcc_lo
	v_add_co_u32 v15, s1, v3, 2
	s_delay_alu instid0(VALU_DEP_1) | instskip(SKIP_3) | instid1(VALU_DEP_3)
	v_add_co_ci_u32_e64 v16, s1, 0, v13, s1
	v_sub_co_u32 v17, s1, v11, s26
	v_sub_co_ci_u32_e32 v12, vcc_lo, v8, v12, vcc_lo
	v_subrev_co_ci_u32_e64 v14, s1, 0, v14, s1
	v_cmp_le_u32_e32 vcc_lo, s26, v17
	s_delay_alu instid0(VALU_DEP_3) | instskip(SKIP_1) | instid1(VALU_DEP_4)
	v_cmp_eq_u32_e64 s1, s27, v12
	v_cndmask_b32_e64 v17, 0, -1, vcc_lo
	v_cmp_le_u32_e32 vcc_lo, s27, v14
	v_cndmask_b32_e64 v18, 0, -1, vcc_lo
	v_cmp_le_u32_e32 vcc_lo, s26, v11
	;; [unrolled: 2-line block ×3, first 2 shown]
	v_cndmask_b32_e64 v19, 0, -1, vcc_lo
	v_cmp_eq_u32_e32 vcc_lo, s27, v14
	s_delay_alu instid0(VALU_DEP_2) | instskip(SKIP_3) | instid1(VALU_DEP_3)
	v_cndmask_b32_e64 v11, v19, v11, s1
	v_cndmask_b32_e32 v14, v18, v17, vcc_lo
	v_add_co_u32 v17, vcc_lo, v3, 1
	v_add_co_ci_u32_e32 v18, vcc_lo, 0, v13, vcc_lo
	v_cmp_ne_u32_e32 vcc_lo, 0, v14
	s_delay_alu instid0(VALU_DEP_3) | instskip(NEXT) | instid1(VALU_DEP_3)
	v_cndmask_b32_e32 v14, v17, v15, vcc_lo
	v_cndmask_b32_e32 v12, v18, v16, vcc_lo
	v_cmp_ne_u32_e32 vcc_lo, 0, v11
	s_delay_alu instid0(VALU_DEP_2)
	v_dual_cndmask_b32 v11, v3, v14 :: v_dual_cndmask_b32 v12, v13, v12
.LBB120_7:                              ;   in Loop: Header=BB120_5 Depth=2
	s_and_not1_saveexec_b32 s1, s44
	s_cbranch_execz .LBB120_9
; %bb.8:                                ;   in Loop: Header=BB120_5 Depth=2
	v_cvt_f32_u32_e32 v3, s26
	s_sub_i32 s44, 0, s26
	s_delay_alu instid0(VALU_DEP_1) | instskip(SKIP_2) | instid1(VALU_DEP_1)
	v_rcp_iflag_f32_e32 v3, v3
	s_waitcnt_depctr 0xfff
	v_mul_f32_e32 v3, 0x4f7ffffe, v3
	v_cvt_u32_f32_e32 v3, v3
	s_delay_alu instid0(VALU_DEP_1) | instskip(NEXT) | instid1(VALU_DEP_1)
	v_mul_lo_u32 v11, s44, v3
	v_mul_hi_u32 v11, v3, v11
	s_delay_alu instid0(VALU_DEP_1) | instskip(NEXT) | instid1(VALU_DEP_1)
	v_add_nc_u32_e32 v3, v3, v11
	v_mul_hi_u32 v3, v7, v3
	s_delay_alu instid0(VALU_DEP_1) | instskip(NEXT) | instid1(VALU_DEP_1)
	v_mul_lo_u32 v11, v3, s26
	v_sub_nc_u32_e32 v11, v7, v11
	s_delay_alu instid0(VALU_DEP_1) | instskip(SKIP_1) | instid1(VALU_DEP_2)
	v_subrev_nc_u32_e32 v13, s26, v11
	v_cmp_le_u32_e32 vcc_lo, s26, v11
	v_dual_cndmask_b32 v11, v11, v13 :: v_dual_add_nc_u32 v12, 1, v3
	s_delay_alu instid0(VALU_DEP_1) | instskip(NEXT) | instid1(VALU_DEP_2)
	v_cndmask_b32_e32 v3, v3, v12, vcc_lo
	v_cmp_le_u32_e32 vcc_lo, s26, v11
	s_delay_alu instid0(VALU_DEP_2) | instskip(NEXT) | instid1(VALU_DEP_1)
	v_add_nc_u32_e32 v12, 1, v3
	v_dual_cndmask_b32 v11, v3, v12 :: v_dual_mov_b32 v12, v2
.LBB120_9:                              ;   in Loop: Header=BB120_5 Depth=2
	s_or_b32 exec_lo, exec_lo, s1
	s_load_b64 s[44:45], s[24:25], 0xc8
	s_delay_alu instid0(VALU_DEP_1) | instskip(NEXT) | instid1(VALU_DEP_2)
	v_mul_lo_u32 v3, v12, s26
	v_mul_lo_u32 v15, v11, s27
	v_mad_u64_u32 v[13:14], null, v11, s26, 0
	s_add_i32 s43, s43, -1
	s_add_u32 s24, s24, -8
	s_addc_u32 s25, s25, -1
	s_cmp_gt_u32 s43, 2
	s_delay_alu instid0(VALU_DEP_1) | instskip(NEXT) | instid1(VALU_DEP_2)
	v_add3_u32 v3, v14, v15, v3
	v_sub_co_u32 v13, vcc_lo, v7, v13
	s_delay_alu instid0(VALU_DEP_2) | instskip(SKIP_1) | instid1(VALU_DEP_2)
	v_sub_co_ci_u32_e32 v3, vcc_lo, v8, v3, vcc_lo
	s_waitcnt lgkmcnt(0)
	v_mul_lo_u32 v14, s45, v13
	s_delay_alu instid0(VALU_DEP_2) | instskip(SKIP_1) | instid1(VALU_DEP_1)
	v_mul_lo_u32 v3, s44, v3
	v_mad_u64_u32 v[7:8], null, s44, v13, v[9:10]
	v_add3_u32 v10, v14, v8, v3
	s_delay_alu instid0(VALU_DEP_2)
	v_mov_b32_e32 v9, v7
	s_cbranch_scc0 .LBB120_11
; %bb.10:                               ;   in Loop: Header=BB120_5 Depth=2
	v_dual_mov_b32 v7, v11 :: v_dual_mov_b32 v8, v12
	s_branch .LBB120_5
.LBB120_11:                             ;   in Loop: Header=BB120_3 Depth=1
	s_delay_alu instid0(VALU_DEP_1) | instskip(SKIP_2) | instid1(VALU_DEP_1)
	v_mad_u64_u32 v[7:8], null, s14, v11, v[9:10]
	v_mul_lo_u32 v3, s14, v12
	v_mul_lo_u32 v9, s15, v11
	v_add3_u32 v8, v9, v8, v3
.LBB120_12:                             ;   in Loop: Header=BB120_3 Depth=1
	s_or_b32 exec_lo, exec_lo, s42
	v_mov_b32_e32 v11, 0
	v_mov_b32_e32 v12, 0
	s_and_saveexec_b32 s1, s0
	s_cbranch_execz .LBB120_21
; %bb.13:                               ;   in Loop: Header=BB120_3 Depth=1
	v_dual_mov_b32 v9, 0 :: v_dual_mov_b32 v12, v5
	v_dual_mov_b32 v10, 0 :: v_dual_mov_b32 v11, v4
	;; [unrolled: 1-line block ×3, first 2 shown]
	s_and_not1_b32 vcc_lo, exec_lo, s29
	s_mov_b64 s[24:25], s[22:23]
	s_mov_b32 s42, s34
	s_cbranch_vccnz .LBB120_20
.LBB120_14:                             ;   Parent Loop BB120_3 Depth=1
                                        ; =>  This Inner Loop Header: Depth=2
	s_load_b64 s[26:27], s[24:25], 0x0
                                        ; implicit-def: $vgpr13_vgpr14
	s_mov_b32 s0, exec_lo
	s_waitcnt lgkmcnt(0)
	v_or_b32_e32 v3, s27, v12
	s_delay_alu instid0(VALU_DEP_1)
	v_cmpx_ne_u64_e32 0, v[2:3]
	s_xor_b32 s43, exec_lo, s0
	s_cbranch_execz .LBB120_16
; %bb.15:                               ;   in Loop: Header=BB120_14 Depth=2
	v_cvt_f32_u32_e32 v3, s26
	v_cvt_f32_u32_e32 v13, s27
	s_sub_u32 s0, 0, s26
	s_subb_u32 s44, 0, s27
	s_delay_alu instid0(VALU_DEP_1) | instskip(NEXT) | instid1(VALU_DEP_1)
	v_fmac_f32_e32 v3, 0x4f800000, v13
	v_rcp_f32_e32 v3, v3
	s_waitcnt_depctr 0xfff
	v_mul_f32_e32 v3, 0x5f7ffffc, v3
	s_delay_alu instid0(VALU_DEP_1) | instskip(NEXT) | instid1(VALU_DEP_1)
	v_mul_f32_e32 v13, 0x2f800000, v3
	v_trunc_f32_e32 v13, v13
	s_delay_alu instid0(VALU_DEP_1) | instskip(SKIP_1) | instid1(VALU_DEP_2)
	v_fmac_f32_e32 v3, 0xcf800000, v13
	v_cvt_u32_f32_e32 v13, v13
	v_cvt_u32_f32_e32 v3, v3
	s_delay_alu instid0(VALU_DEP_2) | instskip(NEXT) | instid1(VALU_DEP_2)
	v_mul_lo_u32 v14, s0, v13
	v_mul_hi_u32 v15, s0, v3
	v_mul_lo_u32 v16, s44, v3
	s_delay_alu instid0(VALU_DEP_2) | instskip(SKIP_1) | instid1(VALU_DEP_2)
	v_add_nc_u32_e32 v14, v15, v14
	v_mul_lo_u32 v15, s0, v3
	v_add_nc_u32_e32 v14, v14, v16
	s_delay_alu instid0(VALU_DEP_2) | instskip(NEXT) | instid1(VALU_DEP_2)
	v_mul_hi_u32 v16, v3, v15
	v_mul_lo_u32 v17, v3, v14
	v_mul_hi_u32 v18, v3, v14
	v_mul_hi_u32 v19, v13, v15
	v_mul_lo_u32 v15, v13, v15
	v_mul_hi_u32 v20, v13, v14
	v_mul_lo_u32 v14, v13, v14
	v_add_co_u32 v16, vcc_lo, v16, v17
	v_add_co_ci_u32_e32 v17, vcc_lo, 0, v18, vcc_lo
	s_delay_alu instid0(VALU_DEP_2) | instskip(NEXT) | instid1(VALU_DEP_2)
	v_add_co_u32 v15, vcc_lo, v16, v15
	v_add_co_ci_u32_e32 v15, vcc_lo, v17, v19, vcc_lo
	v_add_co_ci_u32_e32 v16, vcc_lo, 0, v20, vcc_lo
	s_delay_alu instid0(VALU_DEP_2) | instskip(NEXT) | instid1(VALU_DEP_2)
	v_add_co_u32 v14, vcc_lo, v15, v14
	v_add_co_ci_u32_e32 v15, vcc_lo, 0, v16, vcc_lo
	s_delay_alu instid0(VALU_DEP_2) | instskip(NEXT) | instid1(VALU_DEP_2)
	v_add_co_u32 v3, vcc_lo, v3, v14
	v_add_co_ci_u32_e32 v13, vcc_lo, v13, v15, vcc_lo
	s_delay_alu instid0(VALU_DEP_2) | instskip(SKIP_1) | instid1(VALU_DEP_3)
	v_mul_hi_u32 v14, s0, v3
	v_mul_lo_u32 v16, s44, v3
	v_mul_lo_u32 v15, s0, v13
	s_delay_alu instid0(VALU_DEP_1) | instskip(SKIP_1) | instid1(VALU_DEP_2)
	v_add_nc_u32_e32 v14, v14, v15
	v_mul_lo_u32 v15, s0, v3
	v_add_nc_u32_e32 v14, v14, v16
	s_delay_alu instid0(VALU_DEP_2) | instskip(NEXT) | instid1(VALU_DEP_2)
	v_mul_hi_u32 v16, v3, v15
	v_mul_lo_u32 v17, v3, v14
	v_mul_hi_u32 v18, v3, v14
	v_mul_hi_u32 v19, v13, v15
	v_mul_lo_u32 v15, v13, v15
	v_mul_hi_u32 v20, v13, v14
	v_mul_lo_u32 v14, v13, v14
	v_add_co_u32 v16, vcc_lo, v16, v17
	v_add_co_ci_u32_e32 v17, vcc_lo, 0, v18, vcc_lo
	s_delay_alu instid0(VALU_DEP_2) | instskip(NEXT) | instid1(VALU_DEP_2)
	v_add_co_u32 v15, vcc_lo, v16, v15
	v_add_co_ci_u32_e32 v15, vcc_lo, v17, v19, vcc_lo
	v_add_co_ci_u32_e32 v16, vcc_lo, 0, v20, vcc_lo
	s_delay_alu instid0(VALU_DEP_2) | instskip(NEXT) | instid1(VALU_DEP_2)
	v_add_co_u32 v14, vcc_lo, v15, v14
	v_add_co_ci_u32_e32 v15, vcc_lo, 0, v16, vcc_lo
	s_delay_alu instid0(VALU_DEP_2) | instskip(NEXT) | instid1(VALU_DEP_2)
	v_add_co_u32 v3, vcc_lo, v3, v14
	v_add_co_ci_u32_e32 v19, vcc_lo, v13, v15, vcc_lo
	s_delay_alu instid0(VALU_DEP_2) | instskip(SKIP_1) | instid1(VALU_DEP_3)
	v_mul_hi_u32 v20, v11, v3
	v_mad_u64_u32 v[15:16], null, v12, v3, 0
	v_mad_u64_u32 v[13:14], null, v11, v19, 0
	;; [unrolled: 1-line block ×3, first 2 shown]
	s_delay_alu instid0(VALU_DEP_2) | instskip(NEXT) | instid1(VALU_DEP_3)
	v_add_co_u32 v3, vcc_lo, v20, v13
	v_add_co_ci_u32_e32 v13, vcc_lo, 0, v14, vcc_lo
	s_delay_alu instid0(VALU_DEP_2) | instskip(NEXT) | instid1(VALU_DEP_2)
	v_add_co_u32 v3, vcc_lo, v3, v15
	v_add_co_ci_u32_e32 v3, vcc_lo, v13, v16, vcc_lo
	v_add_co_ci_u32_e32 v13, vcc_lo, 0, v18, vcc_lo
	s_delay_alu instid0(VALU_DEP_2) | instskip(NEXT) | instid1(VALU_DEP_2)
	v_add_co_u32 v3, vcc_lo, v3, v17
	v_add_co_ci_u32_e32 v15, vcc_lo, 0, v13, vcc_lo
	s_delay_alu instid0(VALU_DEP_2) | instskip(SKIP_1) | instid1(VALU_DEP_3)
	v_mul_lo_u32 v16, s27, v3
	v_mad_u64_u32 v[13:14], null, s26, v3, 0
	v_mul_lo_u32 v17, s26, v15
	s_delay_alu instid0(VALU_DEP_2) | instskip(NEXT) | instid1(VALU_DEP_2)
	v_sub_co_u32 v13, vcc_lo, v11, v13
	v_add3_u32 v14, v14, v17, v16
	s_delay_alu instid0(VALU_DEP_1) | instskip(NEXT) | instid1(VALU_DEP_1)
	v_sub_nc_u32_e32 v16, v12, v14
	v_subrev_co_ci_u32_e64 v16, s0, s27, v16, vcc_lo
	v_add_co_u32 v17, s0, v3, 2
	s_delay_alu instid0(VALU_DEP_1) | instskip(SKIP_3) | instid1(VALU_DEP_3)
	v_add_co_ci_u32_e64 v18, s0, 0, v15, s0
	v_sub_co_u32 v19, s0, v13, s26
	v_sub_co_ci_u32_e32 v14, vcc_lo, v12, v14, vcc_lo
	v_subrev_co_ci_u32_e64 v16, s0, 0, v16, s0
	v_cmp_le_u32_e32 vcc_lo, s26, v19
	s_delay_alu instid0(VALU_DEP_3) | instskip(SKIP_1) | instid1(VALU_DEP_4)
	v_cmp_eq_u32_e64 s0, s27, v14
	v_cndmask_b32_e64 v19, 0, -1, vcc_lo
	v_cmp_le_u32_e32 vcc_lo, s27, v16
	v_cndmask_b32_e64 v20, 0, -1, vcc_lo
	v_cmp_le_u32_e32 vcc_lo, s26, v13
	;; [unrolled: 2-line block ×3, first 2 shown]
	v_cndmask_b32_e64 v21, 0, -1, vcc_lo
	v_cmp_eq_u32_e32 vcc_lo, s27, v16
	s_delay_alu instid0(VALU_DEP_2) | instskip(SKIP_3) | instid1(VALU_DEP_3)
	v_cndmask_b32_e64 v13, v21, v13, s0
	v_cndmask_b32_e32 v16, v20, v19, vcc_lo
	v_add_co_u32 v19, vcc_lo, v3, 1
	v_add_co_ci_u32_e32 v20, vcc_lo, 0, v15, vcc_lo
	v_cmp_ne_u32_e32 vcc_lo, 0, v16
	s_delay_alu instid0(VALU_DEP_3) | instskip(NEXT) | instid1(VALU_DEP_3)
	v_cndmask_b32_e32 v16, v19, v17, vcc_lo
	v_cndmask_b32_e32 v14, v20, v18, vcc_lo
	v_cmp_ne_u32_e32 vcc_lo, 0, v13
	s_delay_alu instid0(VALU_DEP_3) | instskip(NEXT) | instid1(VALU_DEP_3)
	v_cndmask_b32_e32 v13, v3, v16, vcc_lo
	v_cndmask_b32_e32 v14, v15, v14, vcc_lo
.LBB120_16:                             ;   in Loop: Header=BB120_14 Depth=2
	s_and_not1_saveexec_b32 s0, s43
	s_cbranch_execz .LBB120_18
; %bb.17:                               ;   in Loop: Header=BB120_14 Depth=2
	v_cvt_f32_u32_e32 v3, s26
	s_sub_i32 s43, 0, s26
	s_delay_alu instid0(VALU_DEP_1) | instskip(SKIP_2) | instid1(VALU_DEP_1)
	v_rcp_iflag_f32_e32 v3, v3
	s_waitcnt_depctr 0xfff
	v_mul_f32_e32 v3, 0x4f7ffffe, v3
	v_cvt_u32_f32_e32 v3, v3
	s_delay_alu instid0(VALU_DEP_1) | instskip(NEXT) | instid1(VALU_DEP_1)
	v_mul_lo_u32 v13, s43, v3
	v_mul_hi_u32 v13, v3, v13
	s_delay_alu instid0(VALU_DEP_1) | instskip(NEXT) | instid1(VALU_DEP_1)
	v_add_nc_u32_e32 v3, v3, v13
	v_mul_hi_u32 v3, v11, v3
	s_delay_alu instid0(VALU_DEP_1) | instskip(SKIP_1) | instid1(VALU_DEP_2)
	v_mul_lo_u32 v13, v3, s26
	v_add_nc_u32_e32 v14, 1, v3
	v_sub_nc_u32_e32 v13, v11, v13
	s_delay_alu instid0(VALU_DEP_1) | instskip(SKIP_1) | instid1(VALU_DEP_2)
	v_subrev_nc_u32_e32 v15, s26, v13
	v_cmp_le_u32_e32 vcc_lo, s26, v13
	v_cndmask_b32_e32 v13, v13, v15, vcc_lo
	v_cndmask_b32_e32 v3, v3, v14, vcc_lo
	s_delay_alu instid0(VALU_DEP_2) | instskip(NEXT) | instid1(VALU_DEP_2)
	v_cmp_le_u32_e32 vcc_lo, s26, v13
	v_add_nc_u32_e32 v14, 1, v3
	s_delay_alu instid0(VALU_DEP_1)
	v_dual_cndmask_b32 v13, v3, v14 :: v_dual_mov_b32 v14, v2
.LBB120_18:                             ;   in Loop: Header=BB120_14 Depth=2
	s_or_b32 exec_lo, exec_lo, s0
	s_load_b64 s[44:45], s[24:25], 0xc8
	s_delay_alu instid0(VALU_DEP_1) | instskip(NEXT) | instid1(VALU_DEP_2)
	v_mul_lo_u32 v3, v14, s26
	v_mul_lo_u32 v17, v13, s27
	v_mad_u64_u32 v[15:16], null, v13, s26, 0
	s_add_i32 s42, s42, -1
	s_add_u32 s24, s24, -8
	s_addc_u32 s25, s25, -1
	s_cmp_gt_u32 s42, 2
	s_delay_alu instid0(VALU_DEP_1) | instskip(NEXT) | instid1(VALU_DEP_2)
	v_add3_u32 v3, v16, v17, v3
	v_sub_co_u32 v15, vcc_lo, v11, v15
	s_delay_alu instid0(VALU_DEP_2) | instskip(SKIP_1) | instid1(VALU_DEP_2)
	v_sub_co_ci_u32_e32 v3, vcc_lo, v12, v3, vcc_lo
	s_waitcnt lgkmcnt(0)
	v_mul_lo_u32 v16, s45, v15
	s_delay_alu instid0(VALU_DEP_2) | instskip(SKIP_1) | instid1(VALU_DEP_1)
	v_mul_lo_u32 v3, s44, v3
	v_mad_u64_u32 v[11:12], null, s44, v15, v[9:10]
	v_add3_u32 v10, v16, v12, v3
	s_delay_alu instid0(VALU_DEP_2)
	v_mov_b32_e32 v9, v11
	s_cbranch_scc0 .LBB120_20
; %bb.19:                               ;   in Loop: Header=BB120_14 Depth=2
	v_dual_mov_b32 v11, v13 :: v_dual_mov_b32 v12, v14
	s_branch .LBB120_14
.LBB120_20:                             ;   in Loop: Header=BB120_3 Depth=1
	s_delay_alu instid0(VALU_DEP_1) | instskip(SKIP_2) | instid1(VALU_DEP_1)
	v_mad_u64_u32 v[11:12], null, s2, v13, v[9:10]
	v_mul_lo_u32 v3, s2, v14
	v_mul_lo_u32 v9, s3, v13
	v_add3_u32 v12, v9, v12, v3
.LBB120_21:                             ;   in Loop: Header=BB120_3 Depth=1
	s_or_b32 exec_lo, exec_lo, s1
	v_dual_mov_b32 v14, v5 :: v_dual_mov_b32 v9, 0
	v_or_b32_e32 v13, 1, v4
	v_mov_b32_e32 v10, 0
	v_cmp_lt_i32_e64 s0, 1, v32
	s_delay_alu instid0(VALU_DEP_1)
	s_and_saveexec_b32 s42, s0
	s_cbranch_execz .LBB120_30
; %bb.22:                               ;   in Loop: Header=BB120_3 Depth=1
	v_mov_b32_e32 v15, 0
	v_dual_mov_b32 v16, 0 :: v_dual_mov_b32 v9, v13
	v_mov_b32_e32 v10, v14
	v_dual_mov_b32 v18, v14 :: v_dual_mov_b32 v17, v13
	s_and_not1_b32 vcc_lo, exec_lo, s28
	s_mov_b64 s[24:25], s[20:21]
	s_mov_b32 s43, s33
	s_cbranch_vccnz .LBB120_29
.LBB120_23:                             ;   Parent Loop BB120_3 Depth=1
                                        ; =>  This Inner Loop Header: Depth=2
	s_load_b64 s[26:27], s[24:25], 0x0
                                        ; implicit-def: $vgpr17_vgpr18
	s_mov_b32 s1, exec_lo
	s_waitcnt lgkmcnt(0)
	v_or_b32_e32 v3, s27, v10
	s_delay_alu instid0(VALU_DEP_1)
	v_cmpx_ne_u64_e32 0, v[2:3]
	s_xor_b32 s44, exec_lo, s1
	s_cbranch_execz .LBB120_25
; %bb.24:                               ;   in Loop: Header=BB120_23 Depth=2
	v_cvt_f32_u32_e32 v3, s26
	v_cvt_f32_u32_e32 v17, s27
	s_sub_u32 s1, 0, s26
	s_subb_u32 s45, 0, s27
	s_delay_alu instid0(VALU_DEP_1) | instskip(NEXT) | instid1(VALU_DEP_1)
	v_fmac_f32_e32 v3, 0x4f800000, v17
	v_rcp_f32_e32 v3, v3
	s_waitcnt_depctr 0xfff
	v_mul_f32_e32 v3, 0x5f7ffffc, v3
	s_delay_alu instid0(VALU_DEP_1) | instskip(NEXT) | instid1(VALU_DEP_1)
	v_mul_f32_e32 v17, 0x2f800000, v3
	v_trunc_f32_e32 v17, v17
	s_delay_alu instid0(VALU_DEP_1) | instskip(SKIP_1) | instid1(VALU_DEP_2)
	v_fmac_f32_e32 v3, 0xcf800000, v17
	v_cvt_u32_f32_e32 v17, v17
	v_cvt_u32_f32_e32 v3, v3
	s_delay_alu instid0(VALU_DEP_2) | instskip(NEXT) | instid1(VALU_DEP_2)
	v_mul_lo_u32 v18, s1, v17
	v_mul_hi_u32 v19, s1, v3
	v_mul_lo_u32 v20, s45, v3
	s_delay_alu instid0(VALU_DEP_2) | instskip(SKIP_1) | instid1(VALU_DEP_2)
	v_add_nc_u32_e32 v18, v19, v18
	v_mul_lo_u32 v19, s1, v3
	v_add_nc_u32_e32 v18, v18, v20
	s_delay_alu instid0(VALU_DEP_2) | instskip(NEXT) | instid1(VALU_DEP_2)
	v_mul_hi_u32 v20, v3, v19
	v_mul_lo_u32 v21, v3, v18
	v_mul_hi_u32 v22, v3, v18
	v_mul_hi_u32 v23, v17, v19
	v_mul_lo_u32 v19, v17, v19
	v_mul_hi_u32 v24, v17, v18
	v_mul_lo_u32 v18, v17, v18
	v_add_co_u32 v20, vcc_lo, v20, v21
	v_add_co_ci_u32_e32 v21, vcc_lo, 0, v22, vcc_lo
	s_delay_alu instid0(VALU_DEP_2) | instskip(NEXT) | instid1(VALU_DEP_2)
	v_add_co_u32 v19, vcc_lo, v20, v19
	v_add_co_ci_u32_e32 v19, vcc_lo, v21, v23, vcc_lo
	v_add_co_ci_u32_e32 v20, vcc_lo, 0, v24, vcc_lo
	s_delay_alu instid0(VALU_DEP_2) | instskip(NEXT) | instid1(VALU_DEP_2)
	v_add_co_u32 v18, vcc_lo, v19, v18
	v_add_co_ci_u32_e32 v19, vcc_lo, 0, v20, vcc_lo
	s_delay_alu instid0(VALU_DEP_2) | instskip(NEXT) | instid1(VALU_DEP_2)
	v_add_co_u32 v3, vcc_lo, v3, v18
	v_add_co_ci_u32_e32 v17, vcc_lo, v17, v19, vcc_lo
	s_delay_alu instid0(VALU_DEP_2) | instskip(SKIP_1) | instid1(VALU_DEP_3)
	v_mul_hi_u32 v18, s1, v3
	v_mul_lo_u32 v20, s45, v3
	v_mul_lo_u32 v19, s1, v17
	s_delay_alu instid0(VALU_DEP_1) | instskip(SKIP_1) | instid1(VALU_DEP_2)
	v_add_nc_u32_e32 v18, v18, v19
	v_mul_lo_u32 v19, s1, v3
	v_add_nc_u32_e32 v18, v18, v20
	s_delay_alu instid0(VALU_DEP_2) | instskip(NEXT) | instid1(VALU_DEP_2)
	v_mul_hi_u32 v20, v3, v19
	v_mul_lo_u32 v21, v3, v18
	v_mul_hi_u32 v22, v3, v18
	v_mul_hi_u32 v23, v17, v19
	v_mul_lo_u32 v19, v17, v19
	v_mul_hi_u32 v24, v17, v18
	v_mul_lo_u32 v18, v17, v18
	v_add_co_u32 v20, vcc_lo, v20, v21
	v_add_co_ci_u32_e32 v21, vcc_lo, 0, v22, vcc_lo
	s_delay_alu instid0(VALU_DEP_2) | instskip(NEXT) | instid1(VALU_DEP_2)
	v_add_co_u32 v19, vcc_lo, v20, v19
	v_add_co_ci_u32_e32 v19, vcc_lo, v21, v23, vcc_lo
	v_add_co_ci_u32_e32 v20, vcc_lo, 0, v24, vcc_lo
	s_delay_alu instid0(VALU_DEP_2) | instskip(NEXT) | instid1(VALU_DEP_2)
	v_add_co_u32 v18, vcc_lo, v19, v18
	v_add_co_ci_u32_e32 v19, vcc_lo, 0, v20, vcc_lo
	s_delay_alu instid0(VALU_DEP_2) | instskip(NEXT) | instid1(VALU_DEP_2)
	v_add_co_u32 v3, vcc_lo, v3, v18
	v_add_co_ci_u32_e32 v23, vcc_lo, v17, v19, vcc_lo
	s_delay_alu instid0(VALU_DEP_2) | instskip(SKIP_1) | instid1(VALU_DEP_3)
	v_mul_hi_u32 v24, v9, v3
	v_mad_u64_u32 v[19:20], null, v10, v3, 0
	v_mad_u64_u32 v[17:18], null, v9, v23, 0
	;; [unrolled: 1-line block ×3, first 2 shown]
	s_delay_alu instid0(VALU_DEP_2) | instskip(NEXT) | instid1(VALU_DEP_3)
	v_add_co_u32 v3, vcc_lo, v24, v17
	v_add_co_ci_u32_e32 v17, vcc_lo, 0, v18, vcc_lo
	s_delay_alu instid0(VALU_DEP_2) | instskip(NEXT) | instid1(VALU_DEP_2)
	v_add_co_u32 v3, vcc_lo, v3, v19
	v_add_co_ci_u32_e32 v3, vcc_lo, v17, v20, vcc_lo
	v_add_co_ci_u32_e32 v17, vcc_lo, 0, v22, vcc_lo
	s_delay_alu instid0(VALU_DEP_2) | instskip(NEXT) | instid1(VALU_DEP_2)
	v_add_co_u32 v3, vcc_lo, v3, v21
	v_add_co_ci_u32_e32 v19, vcc_lo, 0, v17, vcc_lo
	s_delay_alu instid0(VALU_DEP_2) | instskip(SKIP_1) | instid1(VALU_DEP_3)
	v_mul_lo_u32 v20, s27, v3
	v_mad_u64_u32 v[17:18], null, s26, v3, 0
	v_mul_lo_u32 v21, s26, v19
	s_delay_alu instid0(VALU_DEP_2) | instskip(NEXT) | instid1(VALU_DEP_2)
	v_sub_co_u32 v17, vcc_lo, v9, v17
	v_add3_u32 v18, v18, v21, v20
	s_delay_alu instid0(VALU_DEP_1) | instskip(NEXT) | instid1(VALU_DEP_1)
	v_sub_nc_u32_e32 v20, v10, v18
	v_subrev_co_ci_u32_e64 v20, s1, s27, v20, vcc_lo
	v_add_co_u32 v21, s1, v3, 2
	s_delay_alu instid0(VALU_DEP_1) | instskip(SKIP_3) | instid1(VALU_DEP_3)
	v_add_co_ci_u32_e64 v22, s1, 0, v19, s1
	v_sub_co_u32 v23, s1, v17, s26
	v_sub_co_ci_u32_e32 v18, vcc_lo, v10, v18, vcc_lo
	v_subrev_co_ci_u32_e64 v20, s1, 0, v20, s1
	v_cmp_le_u32_e32 vcc_lo, s26, v23
	s_delay_alu instid0(VALU_DEP_3) | instskip(SKIP_1) | instid1(VALU_DEP_4)
	v_cmp_eq_u32_e64 s1, s27, v18
	v_cndmask_b32_e64 v23, 0, -1, vcc_lo
	v_cmp_le_u32_e32 vcc_lo, s27, v20
	v_cndmask_b32_e64 v24, 0, -1, vcc_lo
	v_cmp_le_u32_e32 vcc_lo, s26, v17
	;; [unrolled: 2-line block ×3, first 2 shown]
	v_cndmask_b32_e64 v25, 0, -1, vcc_lo
	v_cmp_eq_u32_e32 vcc_lo, s27, v20
	s_delay_alu instid0(VALU_DEP_2) | instskip(SKIP_3) | instid1(VALU_DEP_3)
	v_cndmask_b32_e64 v17, v25, v17, s1
	v_cndmask_b32_e32 v20, v24, v23, vcc_lo
	v_add_co_u32 v23, vcc_lo, v3, 1
	v_add_co_ci_u32_e32 v24, vcc_lo, 0, v19, vcc_lo
	v_cmp_ne_u32_e32 vcc_lo, 0, v20
	s_delay_alu instid0(VALU_DEP_3) | instskip(NEXT) | instid1(VALU_DEP_3)
	v_cndmask_b32_e32 v20, v23, v21, vcc_lo
	v_cndmask_b32_e32 v18, v24, v22, vcc_lo
	v_cmp_ne_u32_e32 vcc_lo, 0, v17
	s_delay_alu instid0(VALU_DEP_3) | instskip(NEXT) | instid1(VALU_DEP_3)
	v_cndmask_b32_e32 v17, v3, v20, vcc_lo
	v_cndmask_b32_e32 v18, v19, v18, vcc_lo
.LBB120_25:                             ;   in Loop: Header=BB120_23 Depth=2
	s_and_not1_saveexec_b32 s1, s44
	s_cbranch_execz .LBB120_27
; %bb.26:                               ;   in Loop: Header=BB120_23 Depth=2
	v_cvt_f32_u32_e32 v3, s26
	s_sub_i32 s44, 0, s26
	s_delay_alu instid0(VALU_DEP_1) | instskip(SKIP_2) | instid1(VALU_DEP_1)
	v_rcp_iflag_f32_e32 v3, v3
	s_waitcnt_depctr 0xfff
	v_mul_f32_e32 v3, 0x4f7ffffe, v3
	v_cvt_u32_f32_e32 v3, v3
	s_delay_alu instid0(VALU_DEP_1) | instskip(NEXT) | instid1(VALU_DEP_1)
	v_mul_lo_u32 v17, s44, v3
	v_mul_hi_u32 v17, v3, v17
	s_delay_alu instid0(VALU_DEP_1) | instskip(NEXT) | instid1(VALU_DEP_1)
	v_add_nc_u32_e32 v3, v3, v17
	v_mul_hi_u32 v3, v9, v3
	s_delay_alu instid0(VALU_DEP_1) | instskip(SKIP_1) | instid1(VALU_DEP_2)
	v_mul_lo_u32 v17, v3, s26
	v_add_nc_u32_e32 v18, 1, v3
	v_sub_nc_u32_e32 v17, v9, v17
	s_delay_alu instid0(VALU_DEP_1) | instskip(SKIP_1) | instid1(VALU_DEP_2)
	v_subrev_nc_u32_e32 v19, s26, v17
	v_cmp_le_u32_e32 vcc_lo, s26, v17
	v_cndmask_b32_e32 v17, v17, v19, vcc_lo
	v_cndmask_b32_e32 v3, v3, v18, vcc_lo
	s_delay_alu instid0(VALU_DEP_2) | instskip(NEXT) | instid1(VALU_DEP_2)
	v_cmp_le_u32_e32 vcc_lo, s26, v17
	v_add_nc_u32_e32 v18, 1, v3
	s_delay_alu instid0(VALU_DEP_1)
	v_dual_cndmask_b32 v17, v3, v18 :: v_dual_mov_b32 v18, v2
.LBB120_27:                             ;   in Loop: Header=BB120_23 Depth=2
	s_or_b32 exec_lo, exec_lo, s1
	s_load_b64 s[44:45], s[24:25], 0xc8
	s_delay_alu instid0(VALU_DEP_1) | instskip(NEXT) | instid1(VALU_DEP_2)
	v_mul_lo_u32 v3, v18, s26
	v_mul_lo_u32 v21, v17, s27
	v_mad_u64_u32 v[19:20], null, v17, s26, 0
	s_add_i32 s43, s43, -1
	s_add_u32 s24, s24, -8
	s_addc_u32 s25, s25, -1
	s_cmp_gt_u32 s43, 2
	s_delay_alu instid0(VALU_DEP_1) | instskip(NEXT) | instid1(VALU_DEP_2)
	v_add3_u32 v3, v20, v21, v3
	v_sub_co_u32 v19, vcc_lo, v9, v19
	s_delay_alu instid0(VALU_DEP_2) | instskip(SKIP_1) | instid1(VALU_DEP_2)
	v_sub_co_ci_u32_e32 v3, vcc_lo, v10, v3, vcc_lo
	s_waitcnt lgkmcnt(0)
	v_mul_lo_u32 v20, s45, v19
	s_delay_alu instid0(VALU_DEP_2) | instskip(SKIP_1) | instid1(VALU_DEP_1)
	v_mul_lo_u32 v3, s44, v3
	v_mad_u64_u32 v[9:10], null, s44, v19, v[15:16]
	v_add3_u32 v16, v20, v10, v3
	s_delay_alu instid0(VALU_DEP_2)
	v_mov_b32_e32 v15, v9
	s_cbranch_scc0 .LBB120_29
; %bb.28:                               ;   in Loop: Header=BB120_23 Depth=2
	v_dual_mov_b32 v9, v17 :: v_dual_mov_b32 v10, v18
	s_branch .LBB120_23
.LBB120_29:                             ;   in Loop: Header=BB120_3 Depth=1
	s_delay_alu instid0(VALU_DEP_1) | instskip(SKIP_2) | instid1(VALU_DEP_1)
	v_mad_u64_u32 v[9:10], null, s14, v17, v[15:16]
	v_mul_lo_u32 v3, s14, v18
	v_mul_lo_u32 v15, s15, v17
	v_add3_u32 v10, v15, v10, v3
.LBB120_30:                             ;   in Loop: Header=BB120_3 Depth=1
	s_or_b32 exec_lo, exec_lo, s42
	v_mov_b32_e32 v15, 0
	v_mov_b32_e32 v16, 0
	s_and_saveexec_b32 s1, s0
	s_cbranch_execz .LBB120_33
; %bb.31:                               ;   in Loop: Header=BB120_3 Depth=1
	v_mov_b32_e32 v17, 0
	v_mov_b32_e32 v18, 0
	s_and_not1_b32 vcc_lo, exec_lo, s29
	s_mov_b64 s[24:25], s[22:23]
	s_mov_b32 s42, s34
	s_cbranch_vccz .LBB120_42
.LBB120_32:                             ;   in Loop: Header=BB120_3 Depth=1
	s_delay_alu instid0(VALU_DEP_1) | instskip(NEXT) | instid1(VALU_DEP_2)
	v_mad_u64_u32 v[15:16], null, s2, v13, v[17:18]
	v_mul_lo_u32 v3, s2, v14
	v_mul_lo_u32 v13, s3, v13
	s_delay_alu instid0(VALU_DEP_1)
	v_add3_u32 v16, v13, v16, v3
.LBB120_33:                             ;   in Loop: Header=BB120_3 Depth=1
	s_or_b32 exec_lo, exec_lo, s1
	v_dual_mov_b32 v18, v5 :: v_dual_mov_b32 v13, 0
	v_or_b32_e32 v17, 2, v4
	v_mov_b32_e32 v14, 0
	v_cmp_lt_i32_e64 s0, 2, v32
	s_delay_alu instid0(VALU_DEP_1)
	s_and_saveexec_b32 s42, s0
	s_cbranch_execz .LBB120_47
; %bb.34:                               ;   in Loop: Header=BB120_3 Depth=1
	v_mov_b32_e32 v19, 0
	v_dual_mov_b32 v20, 0 :: v_dual_mov_b32 v13, v17
	v_mov_b32_e32 v14, v18
	v_dual_mov_b32 v22, v18 :: v_dual_mov_b32 v21, v17
	s_and_not1_b32 vcc_lo, exec_lo, s28
	s_mov_b64 s[24:25], s[20:21]
	s_mov_b32 s43, s33
	s_cbranch_vccnz .LBB120_46
.LBB120_35:                             ;   Parent Loop BB120_3 Depth=1
                                        ; =>  This Inner Loop Header: Depth=2
	s_load_b64 s[26:27], s[24:25], 0x0
                                        ; implicit-def: $vgpr21_vgpr22
	s_mov_b32 s1, exec_lo
	s_waitcnt lgkmcnt(0)
	v_or_b32_e32 v3, s27, v14
	s_delay_alu instid0(VALU_DEP_1)
	v_cmpx_ne_u64_e32 0, v[2:3]
	s_xor_b32 s44, exec_lo, s1
	s_cbranch_execz .LBB120_37
; %bb.36:                               ;   in Loop: Header=BB120_35 Depth=2
	v_cvt_f32_u32_e32 v3, s26
	v_cvt_f32_u32_e32 v21, s27
	s_sub_u32 s1, 0, s26
	s_subb_u32 s45, 0, s27
	s_delay_alu instid0(VALU_DEP_1) | instskip(NEXT) | instid1(VALU_DEP_1)
	v_fmac_f32_e32 v3, 0x4f800000, v21
	v_rcp_f32_e32 v3, v3
	s_waitcnt_depctr 0xfff
	v_mul_f32_e32 v3, 0x5f7ffffc, v3
	s_delay_alu instid0(VALU_DEP_1) | instskip(NEXT) | instid1(VALU_DEP_1)
	v_mul_f32_e32 v21, 0x2f800000, v3
	v_trunc_f32_e32 v21, v21
	s_delay_alu instid0(VALU_DEP_1) | instskip(SKIP_1) | instid1(VALU_DEP_2)
	v_fmac_f32_e32 v3, 0xcf800000, v21
	v_cvt_u32_f32_e32 v21, v21
	v_cvt_u32_f32_e32 v3, v3
	s_delay_alu instid0(VALU_DEP_2) | instskip(NEXT) | instid1(VALU_DEP_2)
	v_mul_lo_u32 v22, s1, v21
	v_mul_hi_u32 v23, s1, v3
	v_mul_lo_u32 v24, s45, v3
	s_delay_alu instid0(VALU_DEP_2) | instskip(SKIP_1) | instid1(VALU_DEP_2)
	v_add_nc_u32_e32 v22, v23, v22
	v_mul_lo_u32 v23, s1, v3
	v_add_nc_u32_e32 v22, v22, v24
	s_delay_alu instid0(VALU_DEP_2) | instskip(NEXT) | instid1(VALU_DEP_2)
	v_mul_hi_u32 v24, v3, v23
	v_mul_lo_u32 v25, v3, v22
	v_mul_hi_u32 v26, v3, v22
	v_mul_hi_u32 v27, v21, v23
	v_mul_lo_u32 v23, v21, v23
	v_mul_hi_u32 v28, v21, v22
	v_mul_lo_u32 v22, v21, v22
	v_add_co_u32 v24, vcc_lo, v24, v25
	v_add_co_ci_u32_e32 v25, vcc_lo, 0, v26, vcc_lo
	s_delay_alu instid0(VALU_DEP_2) | instskip(NEXT) | instid1(VALU_DEP_2)
	v_add_co_u32 v23, vcc_lo, v24, v23
	v_add_co_ci_u32_e32 v23, vcc_lo, v25, v27, vcc_lo
	v_add_co_ci_u32_e32 v24, vcc_lo, 0, v28, vcc_lo
	s_delay_alu instid0(VALU_DEP_2) | instskip(NEXT) | instid1(VALU_DEP_2)
	v_add_co_u32 v22, vcc_lo, v23, v22
	v_add_co_ci_u32_e32 v23, vcc_lo, 0, v24, vcc_lo
	s_delay_alu instid0(VALU_DEP_2) | instskip(NEXT) | instid1(VALU_DEP_2)
	v_add_co_u32 v3, vcc_lo, v3, v22
	v_add_co_ci_u32_e32 v21, vcc_lo, v21, v23, vcc_lo
	s_delay_alu instid0(VALU_DEP_2) | instskip(SKIP_1) | instid1(VALU_DEP_3)
	v_mul_hi_u32 v22, s1, v3
	v_mul_lo_u32 v24, s45, v3
	v_mul_lo_u32 v23, s1, v21
	s_delay_alu instid0(VALU_DEP_1) | instskip(SKIP_1) | instid1(VALU_DEP_2)
	v_add_nc_u32_e32 v22, v22, v23
	v_mul_lo_u32 v23, s1, v3
	v_add_nc_u32_e32 v22, v22, v24
	s_delay_alu instid0(VALU_DEP_2) | instskip(NEXT) | instid1(VALU_DEP_2)
	v_mul_hi_u32 v24, v3, v23
	v_mul_lo_u32 v25, v3, v22
	v_mul_hi_u32 v26, v3, v22
	v_mul_hi_u32 v27, v21, v23
	v_mul_lo_u32 v23, v21, v23
	v_mul_hi_u32 v28, v21, v22
	v_mul_lo_u32 v22, v21, v22
	v_add_co_u32 v24, vcc_lo, v24, v25
	v_add_co_ci_u32_e32 v25, vcc_lo, 0, v26, vcc_lo
	s_delay_alu instid0(VALU_DEP_2) | instskip(NEXT) | instid1(VALU_DEP_2)
	v_add_co_u32 v23, vcc_lo, v24, v23
	v_add_co_ci_u32_e32 v23, vcc_lo, v25, v27, vcc_lo
	v_add_co_ci_u32_e32 v24, vcc_lo, 0, v28, vcc_lo
	s_delay_alu instid0(VALU_DEP_2) | instskip(NEXT) | instid1(VALU_DEP_2)
	v_add_co_u32 v22, vcc_lo, v23, v22
	v_add_co_ci_u32_e32 v23, vcc_lo, 0, v24, vcc_lo
	s_delay_alu instid0(VALU_DEP_2) | instskip(NEXT) | instid1(VALU_DEP_2)
	v_add_co_u32 v3, vcc_lo, v3, v22
	v_add_co_ci_u32_e32 v27, vcc_lo, v21, v23, vcc_lo
	s_delay_alu instid0(VALU_DEP_2) | instskip(SKIP_1) | instid1(VALU_DEP_3)
	v_mul_hi_u32 v28, v13, v3
	v_mad_u64_u32 v[23:24], null, v14, v3, 0
	v_mad_u64_u32 v[21:22], null, v13, v27, 0
	;; [unrolled: 1-line block ×3, first 2 shown]
	s_delay_alu instid0(VALU_DEP_2) | instskip(NEXT) | instid1(VALU_DEP_3)
	v_add_co_u32 v3, vcc_lo, v28, v21
	v_add_co_ci_u32_e32 v21, vcc_lo, 0, v22, vcc_lo
	s_delay_alu instid0(VALU_DEP_2) | instskip(NEXT) | instid1(VALU_DEP_2)
	v_add_co_u32 v3, vcc_lo, v3, v23
	v_add_co_ci_u32_e32 v3, vcc_lo, v21, v24, vcc_lo
	v_add_co_ci_u32_e32 v21, vcc_lo, 0, v26, vcc_lo
	s_delay_alu instid0(VALU_DEP_2) | instskip(NEXT) | instid1(VALU_DEP_2)
	v_add_co_u32 v3, vcc_lo, v3, v25
	v_add_co_ci_u32_e32 v23, vcc_lo, 0, v21, vcc_lo
	s_delay_alu instid0(VALU_DEP_2) | instskip(SKIP_1) | instid1(VALU_DEP_3)
	v_mul_lo_u32 v24, s27, v3
	v_mad_u64_u32 v[21:22], null, s26, v3, 0
	v_mul_lo_u32 v25, s26, v23
	s_delay_alu instid0(VALU_DEP_2) | instskip(NEXT) | instid1(VALU_DEP_2)
	v_sub_co_u32 v21, vcc_lo, v13, v21
	v_add3_u32 v22, v22, v25, v24
	s_delay_alu instid0(VALU_DEP_1) | instskip(NEXT) | instid1(VALU_DEP_1)
	v_sub_nc_u32_e32 v24, v14, v22
	v_subrev_co_ci_u32_e64 v24, s1, s27, v24, vcc_lo
	v_add_co_u32 v25, s1, v3, 2
	s_delay_alu instid0(VALU_DEP_1) | instskip(SKIP_3) | instid1(VALU_DEP_3)
	v_add_co_ci_u32_e64 v26, s1, 0, v23, s1
	v_sub_co_u32 v27, s1, v21, s26
	v_sub_co_ci_u32_e32 v22, vcc_lo, v14, v22, vcc_lo
	v_subrev_co_ci_u32_e64 v24, s1, 0, v24, s1
	v_cmp_le_u32_e32 vcc_lo, s26, v27
	s_delay_alu instid0(VALU_DEP_3) | instskip(SKIP_1) | instid1(VALU_DEP_4)
	v_cmp_eq_u32_e64 s1, s27, v22
	v_cndmask_b32_e64 v27, 0, -1, vcc_lo
	v_cmp_le_u32_e32 vcc_lo, s27, v24
	v_cndmask_b32_e64 v28, 0, -1, vcc_lo
	v_cmp_le_u32_e32 vcc_lo, s26, v21
	;; [unrolled: 2-line block ×3, first 2 shown]
	v_cndmask_b32_e64 v29, 0, -1, vcc_lo
	v_cmp_eq_u32_e32 vcc_lo, s27, v24
	s_delay_alu instid0(VALU_DEP_2) | instskip(SKIP_3) | instid1(VALU_DEP_3)
	v_cndmask_b32_e64 v21, v29, v21, s1
	v_cndmask_b32_e32 v24, v28, v27, vcc_lo
	v_add_co_u32 v27, vcc_lo, v3, 1
	v_add_co_ci_u32_e32 v28, vcc_lo, 0, v23, vcc_lo
	v_cmp_ne_u32_e32 vcc_lo, 0, v24
	s_delay_alu instid0(VALU_DEP_3) | instskip(NEXT) | instid1(VALU_DEP_3)
	v_cndmask_b32_e32 v24, v27, v25, vcc_lo
	v_cndmask_b32_e32 v22, v28, v26, vcc_lo
	v_cmp_ne_u32_e32 vcc_lo, 0, v21
	s_delay_alu instid0(VALU_DEP_3) | instskip(NEXT) | instid1(VALU_DEP_3)
	v_cndmask_b32_e32 v21, v3, v24, vcc_lo
	v_cndmask_b32_e32 v22, v23, v22, vcc_lo
.LBB120_37:                             ;   in Loop: Header=BB120_35 Depth=2
	s_and_not1_saveexec_b32 s1, s44
	s_cbranch_execz .LBB120_39
; %bb.38:                               ;   in Loop: Header=BB120_35 Depth=2
	v_cvt_f32_u32_e32 v3, s26
	s_sub_i32 s44, 0, s26
	s_delay_alu instid0(VALU_DEP_1) | instskip(SKIP_2) | instid1(VALU_DEP_1)
	v_rcp_iflag_f32_e32 v3, v3
	s_waitcnt_depctr 0xfff
	v_mul_f32_e32 v3, 0x4f7ffffe, v3
	v_cvt_u32_f32_e32 v3, v3
	s_delay_alu instid0(VALU_DEP_1) | instskip(NEXT) | instid1(VALU_DEP_1)
	v_mul_lo_u32 v21, s44, v3
	v_mul_hi_u32 v21, v3, v21
	s_delay_alu instid0(VALU_DEP_1) | instskip(NEXT) | instid1(VALU_DEP_1)
	v_add_nc_u32_e32 v3, v3, v21
	v_mul_hi_u32 v3, v13, v3
	s_delay_alu instid0(VALU_DEP_1) | instskip(SKIP_1) | instid1(VALU_DEP_2)
	v_mul_lo_u32 v21, v3, s26
	v_add_nc_u32_e32 v22, 1, v3
	v_sub_nc_u32_e32 v21, v13, v21
	s_delay_alu instid0(VALU_DEP_1) | instskip(SKIP_1) | instid1(VALU_DEP_2)
	v_subrev_nc_u32_e32 v23, s26, v21
	v_cmp_le_u32_e32 vcc_lo, s26, v21
	v_cndmask_b32_e32 v21, v21, v23, vcc_lo
	v_cndmask_b32_e32 v3, v3, v22, vcc_lo
	s_delay_alu instid0(VALU_DEP_2) | instskip(NEXT) | instid1(VALU_DEP_2)
	v_cmp_le_u32_e32 vcc_lo, s26, v21
	v_add_nc_u32_e32 v22, 1, v3
	s_delay_alu instid0(VALU_DEP_1)
	v_dual_cndmask_b32 v21, v3, v22 :: v_dual_mov_b32 v22, v2
.LBB120_39:                             ;   in Loop: Header=BB120_35 Depth=2
	s_or_b32 exec_lo, exec_lo, s1
	s_load_b64 s[44:45], s[24:25], 0xc8
	s_delay_alu instid0(VALU_DEP_1) | instskip(NEXT) | instid1(VALU_DEP_2)
	v_mul_lo_u32 v3, v22, s26
	v_mul_lo_u32 v25, v21, s27
	v_mad_u64_u32 v[23:24], null, v21, s26, 0
	s_add_i32 s43, s43, -1
	s_add_u32 s24, s24, -8
	s_addc_u32 s25, s25, -1
	s_cmp_gt_u32 s43, 2
	s_delay_alu instid0(VALU_DEP_1) | instskip(NEXT) | instid1(VALU_DEP_2)
	v_add3_u32 v3, v24, v25, v3
	v_sub_co_u32 v23, vcc_lo, v13, v23
	s_delay_alu instid0(VALU_DEP_2) | instskip(SKIP_1) | instid1(VALU_DEP_2)
	v_sub_co_ci_u32_e32 v3, vcc_lo, v14, v3, vcc_lo
	s_waitcnt lgkmcnt(0)
	v_mul_lo_u32 v24, s45, v23
	s_delay_alu instid0(VALU_DEP_2) | instskip(SKIP_1) | instid1(VALU_DEP_1)
	v_mul_lo_u32 v3, s44, v3
	v_mad_u64_u32 v[13:14], null, s44, v23, v[19:20]
	v_add3_u32 v20, v24, v14, v3
	s_delay_alu instid0(VALU_DEP_2)
	v_mov_b32_e32 v19, v13
	s_cbranch_scc0 .LBB120_46
; %bb.40:                               ;   in Loop: Header=BB120_35 Depth=2
	v_dual_mov_b32 v13, v21 :: v_dual_mov_b32 v14, v22
	s_branch .LBB120_35
.LBB120_41:                             ;   in Loop: Header=BB120_42 Depth=2
	s_or_b32 exec_lo, exec_lo, s0
	s_load_b64 s[44:45], s[24:25], 0xc8
	s_delay_alu instid0(VALU_DEP_1)
	v_mul_lo_u32 v3, v16, s26
	v_mul_lo_u32 v21, v15, s27
	v_mad_u64_u32 v[19:20], null, v15, s26, 0
	s_add_i32 s42, s42, -1
	s_add_u32 s24, s24, -8
	s_addc_u32 s25, s25, -1
	s_cmp_gt_u32 s42, 2
	s_delay_alu instid0(VALU_DEP_1) | instskip(NEXT) | instid1(VALU_DEP_2)
	v_add3_u32 v3, v20, v21, v3
	v_sub_co_u32 v19, vcc_lo, v13, v19
	s_delay_alu instid0(VALU_DEP_2) | instskip(SKIP_1) | instid1(VALU_DEP_2)
	v_sub_co_ci_u32_e32 v3, vcc_lo, v14, v3, vcc_lo
	s_waitcnt lgkmcnt(0)
	v_mul_lo_u32 v20, s45, v19
	s_delay_alu instid0(VALU_DEP_2) | instskip(SKIP_1) | instid1(VALU_DEP_1)
	v_mul_lo_u32 v3, s44, v3
	v_mad_u64_u32 v[13:14], null, s44, v19, v[17:18]
	v_add3_u32 v18, v20, v14, v3
	s_delay_alu instid0(VALU_DEP_2)
	v_mov_b32_e32 v17, v13
	v_dual_mov_b32 v13, v15 :: v_dual_mov_b32 v14, v16
	s_cbranch_scc0 .LBB120_32
.LBB120_42:                             ;   Parent Loop BB120_3 Depth=1
                                        ; =>  This Inner Loop Header: Depth=2
	s_load_b64 s[26:27], s[24:25], 0x0
                                        ; implicit-def: $vgpr15_vgpr16
	s_mov_b32 s0, exec_lo
	s_waitcnt lgkmcnt(0)
	v_or_b32_e32 v3, s27, v14
	s_delay_alu instid0(VALU_DEP_1)
	v_cmpx_ne_u64_e32 0, v[2:3]
	s_xor_b32 s43, exec_lo, s0
	s_cbranch_execz .LBB120_44
; %bb.43:                               ;   in Loop: Header=BB120_42 Depth=2
	v_cvt_f32_u32_e32 v3, s26
	v_cvt_f32_u32_e32 v15, s27
	s_sub_u32 s0, 0, s26
	s_subb_u32 s44, 0, s27
	s_delay_alu instid0(VALU_DEP_1) | instskip(NEXT) | instid1(VALU_DEP_1)
	v_fmac_f32_e32 v3, 0x4f800000, v15
	v_rcp_f32_e32 v3, v3
	s_waitcnt_depctr 0xfff
	v_mul_f32_e32 v3, 0x5f7ffffc, v3
	s_delay_alu instid0(VALU_DEP_1) | instskip(NEXT) | instid1(VALU_DEP_1)
	v_mul_f32_e32 v15, 0x2f800000, v3
	v_trunc_f32_e32 v15, v15
	s_delay_alu instid0(VALU_DEP_1) | instskip(SKIP_1) | instid1(VALU_DEP_2)
	v_fmac_f32_e32 v3, 0xcf800000, v15
	v_cvt_u32_f32_e32 v15, v15
	v_cvt_u32_f32_e32 v3, v3
	s_delay_alu instid0(VALU_DEP_2) | instskip(NEXT) | instid1(VALU_DEP_2)
	v_mul_lo_u32 v16, s0, v15
	v_mul_hi_u32 v19, s0, v3
	v_mul_lo_u32 v20, s44, v3
	s_delay_alu instid0(VALU_DEP_2) | instskip(SKIP_1) | instid1(VALU_DEP_2)
	v_add_nc_u32_e32 v16, v19, v16
	v_mul_lo_u32 v19, s0, v3
	v_add_nc_u32_e32 v16, v16, v20
	s_delay_alu instid0(VALU_DEP_2) | instskip(NEXT) | instid1(VALU_DEP_2)
	v_mul_hi_u32 v20, v3, v19
	v_mul_lo_u32 v21, v3, v16
	v_mul_hi_u32 v22, v3, v16
	v_mul_hi_u32 v23, v15, v19
	v_mul_lo_u32 v19, v15, v19
	v_mul_hi_u32 v24, v15, v16
	v_mul_lo_u32 v16, v15, v16
	v_add_co_u32 v20, vcc_lo, v20, v21
	v_add_co_ci_u32_e32 v21, vcc_lo, 0, v22, vcc_lo
	s_delay_alu instid0(VALU_DEP_2) | instskip(NEXT) | instid1(VALU_DEP_2)
	v_add_co_u32 v19, vcc_lo, v20, v19
	v_add_co_ci_u32_e32 v19, vcc_lo, v21, v23, vcc_lo
	v_add_co_ci_u32_e32 v20, vcc_lo, 0, v24, vcc_lo
	s_delay_alu instid0(VALU_DEP_2) | instskip(NEXT) | instid1(VALU_DEP_2)
	v_add_co_u32 v16, vcc_lo, v19, v16
	v_add_co_ci_u32_e32 v19, vcc_lo, 0, v20, vcc_lo
	s_delay_alu instid0(VALU_DEP_2) | instskip(NEXT) | instid1(VALU_DEP_2)
	v_add_co_u32 v3, vcc_lo, v3, v16
	v_add_co_ci_u32_e32 v15, vcc_lo, v15, v19, vcc_lo
	s_delay_alu instid0(VALU_DEP_2) | instskip(SKIP_1) | instid1(VALU_DEP_3)
	v_mul_hi_u32 v16, s0, v3
	v_mul_lo_u32 v20, s44, v3
	v_mul_lo_u32 v19, s0, v15
	s_delay_alu instid0(VALU_DEP_1) | instskip(SKIP_1) | instid1(VALU_DEP_2)
	v_add_nc_u32_e32 v16, v16, v19
	v_mul_lo_u32 v19, s0, v3
	v_add_nc_u32_e32 v16, v16, v20
	s_delay_alu instid0(VALU_DEP_2) | instskip(NEXT) | instid1(VALU_DEP_2)
	v_mul_hi_u32 v20, v3, v19
	v_mul_lo_u32 v21, v3, v16
	v_mul_hi_u32 v22, v3, v16
	v_mul_hi_u32 v23, v15, v19
	v_mul_lo_u32 v19, v15, v19
	v_mul_hi_u32 v24, v15, v16
	v_mul_lo_u32 v16, v15, v16
	v_add_co_u32 v20, vcc_lo, v20, v21
	v_add_co_ci_u32_e32 v21, vcc_lo, 0, v22, vcc_lo
	s_delay_alu instid0(VALU_DEP_2) | instskip(NEXT) | instid1(VALU_DEP_2)
	v_add_co_u32 v19, vcc_lo, v20, v19
	v_add_co_ci_u32_e32 v19, vcc_lo, v21, v23, vcc_lo
	v_add_co_ci_u32_e32 v20, vcc_lo, 0, v24, vcc_lo
	s_delay_alu instid0(VALU_DEP_2) | instskip(NEXT) | instid1(VALU_DEP_2)
	v_add_co_u32 v16, vcc_lo, v19, v16
	v_add_co_ci_u32_e32 v19, vcc_lo, 0, v20, vcc_lo
	s_delay_alu instid0(VALU_DEP_2) | instskip(NEXT) | instid1(VALU_DEP_2)
	v_add_co_u32 v3, vcc_lo, v3, v16
	v_add_co_ci_u32_e32 v23, vcc_lo, v15, v19, vcc_lo
	s_delay_alu instid0(VALU_DEP_2) | instskip(SKIP_1) | instid1(VALU_DEP_3)
	v_mul_hi_u32 v24, v13, v3
	v_mad_u64_u32 v[19:20], null, v14, v3, 0
	v_mad_u64_u32 v[15:16], null, v13, v23, 0
	;; [unrolled: 1-line block ×3, first 2 shown]
	s_delay_alu instid0(VALU_DEP_2) | instskip(NEXT) | instid1(VALU_DEP_3)
	v_add_co_u32 v3, vcc_lo, v24, v15
	v_add_co_ci_u32_e32 v15, vcc_lo, 0, v16, vcc_lo
	s_delay_alu instid0(VALU_DEP_2) | instskip(NEXT) | instid1(VALU_DEP_2)
	v_add_co_u32 v3, vcc_lo, v3, v19
	v_add_co_ci_u32_e32 v3, vcc_lo, v15, v20, vcc_lo
	v_add_co_ci_u32_e32 v15, vcc_lo, 0, v22, vcc_lo
	s_delay_alu instid0(VALU_DEP_2) | instskip(NEXT) | instid1(VALU_DEP_2)
	v_add_co_u32 v3, vcc_lo, v3, v21
	v_add_co_ci_u32_e32 v19, vcc_lo, 0, v15, vcc_lo
	s_delay_alu instid0(VALU_DEP_2) | instskip(SKIP_1) | instid1(VALU_DEP_3)
	v_mul_lo_u32 v20, s27, v3
	v_mad_u64_u32 v[15:16], null, s26, v3, 0
	v_mul_lo_u32 v21, s26, v19
	s_delay_alu instid0(VALU_DEP_2) | instskip(NEXT) | instid1(VALU_DEP_2)
	v_sub_co_u32 v15, vcc_lo, v13, v15
	v_add3_u32 v16, v16, v21, v20
	s_delay_alu instid0(VALU_DEP_1) | instskip(NEXT) | instid1(VALU_DEP_1)
	v_sub_nc_u32_e32 v20, v14, v16
	v_subrev_co_ci_u32_e64 v20, s0, s27, v20, vcc_lo
	v_add_co_u32 v21, s0, v3, 2
	s_delay_alu instid0(VALU_DEP_1) | instskip(SKIP_3) | instid1(VALU_DEP_3)
	v_add_co_ci_u32_e64 v22, s0, 0, v19, s0
	v_sub_co_u32 v23, s0, v15, s26
	v_sub_co_ci_u32_e32 v16, vcc_lo, v14, v16, vcc_lo
	v_subrev_co_ci_u32_e64 v20, s0, 0, v20, s0
	v_cmp_le_u32_e32 vcc_lo, s26, v23
	s_delay_alu instid0(VALU_DEP_3) | instskip(SKIP_1) | instid1(VALU_DEP_4)
	v_cmp_eq_u32_e64 s0, s27, v16
	v_cndmask_b32_e64 v23, 0, -1, vcc_lo
	v_cmp_le_u32_e32 vcc_lo, s27, v20
	v_cndmask_b32_e64 v24, 0, -1, vcc_lo
	v_cmp_le_u32_e32 vcc_lo, s26, v15
	;; [unrolled: 2-line block ×3, first 2 shown]
	v_cndmask_b32_e64 v25, 0, -1, vcc_lo
	v_cmp_eq_u32_e32 vcc_lo, s27, v20
	s_delay_alu instid0(VALU_DEP_2) | instskip(SKIP_3) | instid1(VALU_DEP_3)
	v_cndmask_b32_e64 v15, v25, v15, s0
	v_cndmask_b32_e32 v20, v24, v23, vcc_lo
	v_add_co_u32 v23, vcc_lo, v3, 1
	v_add_co_ci_u32_e32 v24, vcc_lo, 0, v19, vcc_lo
	v_cmp_ne_u32_e32 vcc_lo, 0, v20
	s_delay_alu instid0(VALU_DEP_2) | instskip(NEXT) | instid1(VALU_DEP_4)
	v_cndmask_b32_e32 v16, v24, v22, vcc_lo
	v_cndmask_b32_e32 v20, v23, v21, vcc_lo
	v_cmp_ne_u32_e32 vcc_lo, 0, v15
	s_delay_alu instid0(VALU_DEP_2) | instskip(NEXT) | instid1(VALU_DEP_4)
	v_cndmask_b32_e32 v15, v3, v20, vcc_lo
	v_cndmask_b32_e32 v16, v19, v16, vcc_lo
.LBB120_44:                             ;   in Loop: Header=BB120_42 Depth=2
	s_and_not1_saveexec_b32 s0, s43
	s_cbranch_execz .LBB120_41
; %bb.45:                               ;   in Loop: Header=BB120_42 Depth=2
	v_cvt_f32_u32_e32 v3, s26
	s_sub_i32 s43, 0, s26
	s_delay_alu instid0(VALU_DEP_1) | instskip(SKIP_2) | instid1(VALU_DEP_1)
	v_rcp_iflag_f32_e32 v3, v3
	s_waitcnt_depctr 0xfff
	v_mul_f32_e32 v3, 0x4f7ffffe, v3
	v_cvt_u32_f32_e32 v3, v3
	s_delay_alu instid0(VALU_DEP_1) | instskip(NEXT) | instid1(VALU_DEP_1)
	v_mul_lo_u32 v15, s43, v3
	v_mul_hi_u32 v15, v3, v15
	s_delay_alu instid0(VALU_DEP_1) | instskip(NEXT) | instid1(VALU_DEP_1)
	v_add_nc_u32_e32 v3, v3, v15
	v_mul_hi_u32 v3, v13, v3
	s_delay_alu instid0(VALU_DEP_1) | instskip(SKIP_1) | instid1(VALU_DEP_2)
	v_mul_lo_u32 v15, v3, s26
	v_add_nc_u32_e32 v16, 1, v3
	v_sub_nc_u32_e32 v15, v13, v15
	s_delay_alu instid0(VALU_DEP_1) | instskip(SKIP_1) | instid1(VALU_DEP_2)
	v_subrev_nc_u32_e32 v19, s26, v15
	v_cmp_le_u32_e32 vcc_lo, s26, v15
	v_cndmask_b32_e32 v15, v15, v19, vcc_lo
	v_cndmask_b32_e32 v3, v3, v16, vcc_lo
	s_delay_alu instid0(VALU_DEP_2) | instskip(NEXT) | instid1(VALU_DEP_2)
	v_cmp_le_u32_e32 vcc_lo, s26, v15
	v_add_nc_u32_e32 v16, 1, v3
	s_delay_alu instid0(VALU_DEP_1)
	v_dual_cndmask_b32 v15, v3, v16 :: v_dual_mov_b32 v16, v2
	s_branch .LBB120_41
.LBB120_46:                             ;   in Loop: Header=BB120_3 Depth=1
	s_delay_alu instid0(VALU_DEP_1) | instskip(SKIP_2) | instid1(VALU_DEP_1)
	v_mad_u64_u32 v[13:14], null, s14, v21, v[19:20]
	v_mul_lo_u32 v3, s14, v22
	v_mul_lo_u32 v19, s15, v21
	v_add3_u32 v14, v19, v14, v3
.LBB120_47:                             ;   in Loop: Header=BB120_3 Depth=1
	s_or_b32 exec_lo, exec_lo, s42
	v_mov_b32_e32 v19, 0
	v_mov_b32_e32 v20, 0
	s_and_saveexec_b32 s1, s0
	s_cbranch_execz .LBB120_50
; %bb.48:                               ;   in Loop: Header=BB120_3 Depth=1
	v_mov_b32_e32 v21, 0
	v_mov_b32_e32 v22, 0
	s_and_not1_b32 vcc_lo, exec_lo, s29
	s_mov_b64 s[24:25], s[22:23]
	s_mov_b32 s42, s34
	s_cbranch_vccz .LBB120_59
.LBB120_49:                             ;   in Loop: Header=BB120_3 Depth=1
	s_delay_alu instid0(VALU_DEP_1) | instskip(NEXT) | instid1(VALU_DEP_2)
	v_mad_u64_u32 v[19:20], null, s2, v17, v[21:22]
	v_mul_lo_u32 v3, s2, v18
	v_mul_lo_u32 v17, s3, v17
	s_delay_alu instid0(VALU_DEP_1)
	v_add3_u32 v20, v17, v20, v3
.LBB120_50:                             ;   in Loop: Header=BB120_3 Depth=1
	s_or_b32 exec_lo, exec_lo, s1
	v_dual_mov_b32 v22, v5 :: v_dual_mov_b32 v17, 0
	v_or_b32_e32 v21, 3, v4
	v_mov_b32_e32 v18, 0
	v_cmp_lt_i32_e64 s0, 3, v32
	s_delay_alu instid0(VALU_DEP_1)
	s_and_saveexec_b32 s42, s0
	s_cbranch_execz .LBB120_64
; %bb.51:                               ;   in Loop: Header=BB120_3 Depth=1
	v_mov_b32_e32 v23, 0
	v_dual_mov_b32 v24, 0 :: v_dual_mov_b32 v17, v21
	v_mov_b32_e32 v18, v22
	v_dual_mov_b32 v26, v22 :: v_dual_mov_b32 v25, v21
	s_and_not1_b32 vcc_lo, exec_lo, s28
	s_mov_b64 s[24:25], s[20:21]
	s_mov_b32 s43, s33
	s_cbranch_vccnz .LBB120_63
.LBB120_52:                             ;   Parent Loop BB120_3 Depth=1
                                        ; =>  This Inner Loop Header: Depth=2
	s_load_b64 s[26:27], s[24:25], 0x0
                                        ; implicit-def: $vgpr25_vgpr26
	s_mov_b32 s1, exec_lo
	s_waitcnt lgkmcnt(0)
	v_or_b32_e32 v3, s27, v18
	s_delay_alu instid0(VALU_DEP_1)
	v_cmpx_ne_u64_e32 0, v[2:3]
	s_xor_b32 s44, exec_lo, s1
	s_cbranch_execz .LBB120_54
; %bb.53:                               ;   in Loop: Header=BB120_52 Depth=2
	v_cvt_f32_u32_e32 v3, s26
	v_cvt_f32_u32_e32 v25, s27
	s_sub_u32 s1, 0, s26
	s_subb_u32 s45, 0, s27
	s_delay_alu instid0(VALU_DEP_1) | instskip(NEXT) | instid1(VALU_DEP_1)
	v_fmac_f32_e32 v3, 0x4f800000, v25
	v_rcp_f32_e32 v3, v3
	s_waitcnt_depctr 0xfff
	v_mul_f32_e32 v3, 0x5f7ffffc, v3
	s_delay_alu instid0(VALU_DEP_1) | instskip(NEXT) | instid1(VALU_DEP_1)
	v_mul_f32_e32 v25, 0x2f800000, v3
	v_trunc_f32_e32 v25, v25
	s_delay_alu instid0(VALU_DEP_1) | instskip(SKIP_1) | instid1(VALU_DEP_2)
	v_fmac_f32_e32 v3, 0xcf800000, v25
	v_cvt_u32_f32_e32 v25, v25
	v_cvt_u32_f32_e32 v3, v3
	s_delay_alu instid0(VALU_DEP_2) | instskip(NEXT) | instid1(VALU_DEP_2)
	v_mul_lo_u32 v26, s1, v25
	v_mul_hi_u32 v27, s1, v3
	v_mul_lo_u32 v28, s45, v3
	s_delay_alu instid0(VALU_DEP_2) | instskip(SKIP_1) | instid1(VALU_DEP_2)
	v_add_nc_u32_e32 v26, v27, v26
	v_mul_lo_u32 v27, s1, v3
	v_add_nc_u32_e32 v26, v26, v28
	s_delay_alu instid0(VALU_DEP_2) | instskip(NEXT) | instid1(VALU_DEP_2)
	v_mul_hi_u32 v28, v3, v27
	v_mul_lo_u32 v29, v3, v26
	v_mul_hi_u32 v30, v3, v26
	v_mul_hi_u32 v31, v25, v27
	v_mul_lo_u32 v27, v25, v27
	v_mul_hi_u32 v33, v25, v26
	v_mul_lo_u32 v26, v25, v26
	v_add_co_u32 v28, vcc_lo, v28, v29
	v_add_co_ci_u32_e32 v29, vcc_lo, 0, v30, vcc_lo
	s_delay_alu instid0(VALU_DEP_2) | instskip(NEXT) | instid1(VALU_DEP_2)
	v_add_co_u32 v27, vcc_lo, v28, v27
	v_add_co_ci_u32_e32 v27, vcc_lo, v29, v31, vcc_lo
	v_add_co_ci_u32_e32 v28, vcc_lo, 0, v33, vcc_lo
	s_delay_alu instid0(VALU_DEP_2) | instskip(NEXT) | instid1(VALU_DEP_2)
	v_add_co_u32 v26, vcc_lo, v27, v26
	v_add_co_ci_u32_e32 v27, vcc_lo, 0, v28, vcc_lo
	s_delay_alu instid0(VALU_DEP_2) | instskip(NEXT) | instid1(VALU_DEP_2)
	v_add_co_u32 v3, vcc_lo, v3, v26
	v_add_co_ci_u32_e32 v25, vcc_lo, v25, v27, vcc_lo
	s_delay_alu instid0(VALU_DEP_2) | instskip(SKIP_1) | instid1(VALU_DEP_3)
	v_mul_hi_u32 v26, s1, v3
	v_mul_lo_u32 v28, s45, v3
	v_mul_lo_u32 v27, s1, v25
	s_delay_alu instid0(VALU_DEP_1) | instskip(SKIP_1) | instid1(VALU_DEP_2)
	v_add_nc_u32_e32 v26, v26, v27
	v_mul_lo_u32 v27, s1, v3
	v_add_nc_u32_e32 v26, v26, v28
	s_delay_alu instid0(VALU_DEP_2) | instskip(NEXT) | instid1(VALU_DEP_2)
	v_mul_hi_u32 v28, v3, v27
	v_mul_lo_u32 v29, v3, v26
	v_mul_hi_u32 v30, v3, v26
	v_mul_hi_u32 v31, v25, v27
	v_mul_lo_u32 v27, v25, v27
	v_mul_hi_u32 v33, v25, v26
	v_mul_lo_u32 v26, v25, v26
	v_add_co_u32 v28, vcc_lo, v28, v29
	v_add_co_ci_u32_e32 v29, vcc_lo, 0, v30, vcc_lo
	s_delay_alu instid0(VALU_DEP_2) | instskip(NEXT) | instid1(VALU_DEP_2)
	v_add_co_u32 v27, vcc_lo, v28, v27
	v_add_co_ci_u32_e32 v27, vcc_lo, v29, v31, vcc_lo
	v_add_co_ci_u32_e32 v28, vcc_lo, 0, v33, vcc_lo
	s_delay_alu instid0(VALU_DEP_2) | instskip(NEXT) | instid1(VALU_DEP_2)
	v_add_co_u32 v26, vcc_lo, v27, v26
	v_add_co_ci_u32_e32 v27, vcc_lo, 0, v28, vcc_lo
	s_delay_alu instid0(VALU_DEP_2) | instskip(NEXT) | instid1(VALU_DEP_2)
	v_add_co_u32 v3, vcc_lo, v3, v26
	v_add_co_ci_u32_e32 v31, vcc_lo, v25, v27, vcc_lo
	s_delay_alu instid0(VALU_DEP_2) | instskip(SKIP_1) | instid1(VALU_DEP_3)
	v_mul_hi_u32 v33, v17, v3
	v_mad_u64_u32 v[27:28], null, v18, v3, 0
	v_mad_u64_u32 v[25:26], null, v17, v31, 0
	;; [unrolled: 1-line block ×3, first 2 shown]
	s_delay_alu instid0(VALU_DEP_2) | instskip(NEXT) | instid1(VALU_DEP_3)
	v_add_co_u32 v3, vcc_lo, v33, v25
	v_add_co_ci_u32_e32 v25, vcc_lo, 0, v26, vcc_lo
	s_delay_alu instid0(VALU_DEP_2) | instskip(NEXT) | instid1(VALU_DEP_2)
	v_add_co_u32 v3, vcc_lo, v3, v27
	v_add_co_ci_u32_e32 v3, vcc_lo, v25, v28, vcc_lo
	v_add_co_ci_u32_e32 v25, vcc_lo, 0, v30, vcc_lo
	s_delay_alu instid0(VALU_DEP_2) | instskip(NEXT) | instid1(VALU_DEP_2)
	v_add_co_u32 v3, vcc_lo, v3, v29
	v_add_co_ci_u32_e32 v27, vcc_lo, 0, v25, vcc_lo
	s_delay_alu instid0(VALU_DEP_2) | instskip(SKIP_1) | instid1(VALU_DEP_3)
	v_mul_lo_u32 v28, s27, v3
	v_mad_u64_u32 v[25:26], null, s26, v3, 0
	v_mul_lo_u32 v29, s26, v27
	s_delay_alu instid0(VALU_DEP_2) | instskip(NEXT) | instid1(VALU_DEP_2)
	v_sub_co_u32 v25, vcc_lo, v17, v25
	v_add3_u32 v26, v26, v29, v28
	s_delay_alu instid0(VALU_DEP_1) | instskip(NEXT) | instid1(VALU_DEP_1)
	v_sub_nc_u32_e32 v28, v18, v26
	v_subrev_co_ci_u32_e64 v28, s1, s27, v28, vcc_lo
	v_add_co_u32 v29, s1, v3, 2
	s_delay_alu instid0(VALU_DEP_1) | instskip(SKIP_3) | instid1(VALU_DEP_3)
	v_add_co_ci_u32_e64 v30, s1, 0, v27, s1
	v_sub_co_u32 v31, s1, v25, s26
	v_sub_co_ci_u32_e32 v26, vcc_lo, v18, v26, vcc_lo
	v_subrev_co_ci_u32_e64 v28, s1, 0, v28, s1
	v_cmp_le_u32_e32 vcc_lo, s26, v31
	s_delay_alu instid0(VALU_DEP_3) | instskip(SKIP_1) | instid1(VALU_DEP_4)
	v_cmp_eq_u32_e64 s1, s27, v26
	v_cndmask_b32_e64 v31, 0, -1, vcc_lo
	v_cmp_le_u32_e32 vcc_lo, s27, v28
	v_cndmask_b32_e64 v33, 0, -1, vcc_lo
	v_cmp_le_u32_e32 vcc_lo, s26, v25
	;; [unrolled: 2-line block ×3, first 2 shown]
	v_cndmask_b32_e64 v34, 0, -1, vcc_lo
	v_cmp_eq_u32_e32 vcc_lo, s27, v28
	s_delay_alu instid0(VALU_DEP_2) | instskip(SKIP_3) | instid1(VALU_DEP_3)
	v_cndmask_b32_e64 v25, v34, v25, s1
	v_cndmask_b32_e32 v28, v33, v31, vcc_lo
	v_add_co_u32 v31, vcc_lo, v3, 1
	v_add_co_ci_u32_e32 v33, vcc_lo, 0, v27, vcc_lo
	v_cmp_ne_u32_e32 vcc_lo, 0, v28
	s_delay_alu instid0(VALU_DEP_3) | instskip(NEXT) | instid1(VALU_DEP_3)
	v_cndmask_b32_e32 v28, v31, v29, vcc_lo
	v_cndmask_b32_e32 v26, v33, v30, vcc_lo
	v_cmp_ne_u32_e32 vcc_lo, 0, v25
	s_delay_alu instid0(VALU_DEP_3) | instskip(NEXT) | instid1(VALU_DEP_3)
	v_cndmask_b32_e32 v25, v3, v28, vcc_lo
	v_cndmask_b32_e32 v26, v27, v26, vcc_lo
.LBB120_54:                             ;   in Loop: Header=BB120_52 Depth=2
	s_and_not1_saveexec_b32 s1, s44
	s_cbranch_execz .LBB120_56
; %bb.55:                               ;   in Loop: Header=BB120_52 Depth=2
	v_cvt_f32_u32_e32 v3, s26
	s_sub_i32 s44, 0, s26
	s_delay_alu instid0(VALU_DEP_1) | instskip(SKIP_2) | instid1(VALU_DEP_1)
	v_rcp_iflag_f32_e32 v3, v3
	s_waitcnt_depctr 0xfff
	v_mul_f32_e32 v3, 0x4f7ffffe, v3
	v_cvt_u32_f32_e32 v3, v3
	s_delay_alu instid0(VALU_DEP_1) | instskip(NEXT) | instid1(VALU_DEP_1)
	v_mul_lo_u32 v25, s44, v3
	v_mul_hi_u32 v25, v3, v25
	s_delay_alu instid0(VALU_DEP_1) | instskip(NEXT) | instid1(VALU_DEP_1)
	v_add_nc_u32_e32 v3, v3, v25
	v_mul_hi_u32 v3, v17, v3
	s_delay_alu instid0(VALU_DEP_1) | instskip(SKIP_1) | instid1(VALU_DEP_2)
	v_mul_lo_u32 v25, v3, s26
	v_add_nc_u32_e32 v26, 1, v3
	v_sub_nc_u32_e32 v25, v17, v25
	s_delay_alu instid0(VALU_DEP_1) | instskip(SKIP_1) | instid1(VALU_DEP_2)
	v_subrev_nc_u32_e32 v27, s26, v25
	v_cmp_le_u32_e32 vcc_lo, s26, v25
	v_cndmask_b32_e32 v25, v25, v27, vcc_lo
	v_cndmask_b32_e32 v3, v3, v26, vcc_lo
	s_delay_alu instid0(VALU_DEP_2) | instskip(NEXT) | instid1(VALU_DEP_2)
	v_cmp_le_u32_e32 vcc_lo, s26, v25
	v_add_nc_u32_e32 v26, 1, v3
	s_delay_alu instid0(VALU_DEP_1)
	v_dual_cndmask_b32 v25, v3, v26 :: v_dual_mov_b32 v26, v2
.LBB120_56:                             ;   in Loop: Header=BB120_52 Depth=2
	s_or_b32 exec_lo, exec_lo, s1
	s_load_b64 s[44:45], s[24:25], 0xc8
	s_delay_alu instid0(VALU_DEP_1) | instskip(NEXT) | instid1(VALU_DEP_2)
	v_mul_lo_u32 v3, v26, s26
	v_mul_lo_u32 v29, v25, s27
	v_mad_u64_u32 v[27:28], null, v25, s26, 0
	s_add_i32 s43, s43, -1
	s_add_u32 s24, s24, -8
	s_addc_u32 s25, s25, -1
	s_cmp_gt_u32 s43, 2
	s_delay_alu instid0(VALU_DEP_1) | instskip(NEXT) | instid1(VALU_DEP_2)
	v_add3_u32 v3, v28, v29, v3
	v_sub_co_u32 v27, vcc_lo, v17, v27
	s_delay_alu instid0(VALU_DEP_2) | instskip(SKIP_1) | instid1(VALU_DEP_2)
	v_sub_co_ci_u32_e32 v3, vcc_lo, v18, v3, vcc_lo
	s_waitcnt lgkmcnt(0)
	v_mul_lo_u32 v28, s45, v27
	s_delay_alu instid0(VALU_DEP_2) | instskip(SKIP_1) | instid1(VALU_DEP_1)
	v_mul_lo_u32 v3, s44, v3
	v_mad_u64_u32 v[17:18], null, s44, v27, v[23:24]
	v_add3_u32 v24, v28, v18, v3
	s_delay_alu instid0(VALU_DEP_2)
	v_mov_b32_e32 v23, v17
	s_cbranch_scc0 .LBB120_63
; %bb.57:                               ;   in Loop: Header=BB120_52 Depth=2
	v_dual_mov_b32 v17, v25 :: v_dual_mov_b32 v18, v26
	s_branch .LBB120_52
.LBB120_58:                             ;   in Loop: Header=BB120_59 Depth=2
	s_or_b32 exec_lo, exec_lo, s0
	s_load_b64 s[44:45], s[24:25], 0xc8
	s_delay_alu instid0(VALU_DEP_1)
	v_mul_lo_u32 v3, v20, s26
	v_mul_lo_u32 v25, v19, s27
	v_mad_u64_u32 v[23:24], null, v19, s26, 0
	s_add_i32 s42, s42, -1
	s_add_u32 s24, s24, -8
	s_addc_u32 s25, s25, -1
	s_cmp_gt_u32 s42, 2
	s_delay_alu instid0(VALU_DEP_1) | instskip(NEXT) | instid1(VALU_DEP_2)
	v_add3_u32 v3, v24, v25, v3
	v_sub_co_u32 v23, vcc_lo, v17, v23
	s_delay_alu instid0(VALU_DEP_2) | instskip(SKIP_1) | instid1(VALU_DEP_2)
	v_sub_co_ci_u32_e32 v3, vcc_lo, v18, v3, vcc_lo
	s_waitcnt lgkmcnt(0)
	v_mul_lo_u32 v24, s45, v23
	s_delay_alu instid0(VALU_DEP_2) | instskip(SKIP_1) | instid1(VALU_DEP_1)
	v_mul_lo_u32 v3, s44, v3
	v_mad_u64_u32 v[17:18], null, s44, v23, v[21:22]
	v_add3_u32 v22, v24, v18, v3
	s_delay_alu instid0(VALU_DEP_2)
	v_mov_b32_e32 v21, v17
	v_dual_mov_b32 v17, v19 :: v_dual_mov_b32 v18, v20
	s_cbranch_scc0 .LBB120_49
.LBB120_59:                             ;   Parent Loop BB120_3 Depth=1
                                        ; =>  This Inner Loop Header: Depth=2
	s_load_b64 s[26:27], s[24:25], 0x0
                                        ; implicit-def: $vgpr19_vgpr20
	s_mov_b32 s0, exec_lo
	s_waitcnt lgkmcnt(0)
	v_or_b32_e32 v3, s27, v18
	s_delay_alu instid0(VALU_DEP_1)
	v_cmpx_ne_u64_e32 0, v[2:3]
	s_xor_b32 s43, exec_lo, s0
	s_cbranch_execz .LBB120_61
; %bb.60:                               ;   in Loop: Header=BB120_59 Depth=2
	v_cvt_f32_u32_e32 v3, s26
	v_cvt_f32_u32_e32 v19, s27
	s_sub_u32 s0, 0, s26
	s_subb_u32 s44, 0, s27
	s_delay_alu instid0(VALU_DEP_1) | instskip(NEXT) | instid1(VALU_DEP_1)
	v_fmac_f32_e32 v3, 0x4f800000, v19
	v_rcp_f32_e32 v3, v3
	s_waitcnt_depctr 0xfff
	v_mul_f32_e32 v3, 0x5f7ffffc, v3
	s_delay_alu instid0(VALU_DEP_1) | instskip(NEXT) | instid1(VALU_DEP_1)
	v_mul_f32_e32 v19, 0x2f800000, v3
	v_trunc_f32_e32 v19, v19
	s_delay_alu instid0(VALU_DEP_1) | instskip(SKIP_1) | instid1(VALU_DEP_2)
	v_fmac_f32_e32 v3, 0xcf800000, v19
	v_cvt_u32_f32_e32 v19, v19
	v_cvt_u32_f32_e32 v3, v3
	s_delay_alu instid0(VALU_DEP_2) | instskip(NEXT) | instid1(VALU_DEP_2)
	v_mul_lo_u32 v20, s0, v19
	v_mul_hi_u32 v23, s0, v3
	v_mul_lo_u32 v24, s44, v3
	s_delay_alu instid0(VALU_DEP_2) | instskip(SKIP_1) | instid1(VALU_DEP_2)
	v_add_nc_u32_e32 v20, v23, v20
	v_mul_lo_u32 v23, s0, v3
	v_add_nc_u32_e32 v20, v20, v24
	s_delay_alu instid0(VALU_DEP_2) | instskip(NEXT) | instid1(VALU_DEP_2)
	v_mul_hi_u32 v24, v3, v23
	v_mul_lo_u32 v25, v3, v20
	v_mul_hi_u32 v26, v3, v20
	v_mul_hi_u32 v27, v19, v23
	v_mul_lo_u32 v23, v19, v23
	v_mul_hi_u32 v28, v19, v20
	v_mul_lo_u32 v20, v19, v20
	v_add_co_u32 v24, vcc_lo, v24, v25
	v_add_co_ci_u32_e32 v25, vcc_lo, 0, v26, vcc_lo
	s_delay_alu instid0(VALU_DEP_2) | instskip(NEXT) | instid1(VALU_DEP_2)
	v_add_co_u32 v23, vcc_lo, v24, v23
	v_add_co_ci_u32_e32 v23, vcc_lo, v25, v27, vcc_lo
	v_add_co_ci_u32_e32 v24, vcc_lo, 0, v28, vcc_lo
	s_delay_alu instid0(VALU_DEP_2) | instskip(NEXT) | instid1(VALU_DEP_2)
	v_add_co_u32 v20, vcc_lo, v23, v20
	v_add_co_ci_u32_e32 v23, vcc_lo, 0, v24, vcc_lo
	s_delay_alu instid0(VALU_DEP_2) | instskip(NEXT) | instid1(VALU_DEP_2)
	v_add_co_u32 v3, vcc_lo, v3, v20
	v_add_co_ci_u32_e32 v19, vcc_lo, v19, v23, vcc_lo
	s_delay_alu instid0(VALU_DEP_2) | instskip(SKIP_1) | instid1(VALU_DEP_3)
	v_mul_hi_u32 v20, s0, v3
	v_mul_lo_u32 v24, s44, v3
	v_mul_lo_u32 v23, s0, v19
	s_delay_alu instid0(VALU_DEP_1) | instskip(SKIP_1) | instid1(VALU_DEP_2)
	v_add_nc_u32_e32 v20, v20, v23
	v_mul_lo_u32 v23, s0, v3
	v_add_nc_u32_e32 v20, v20, v24
	s_delay_alu instid0(VALU_DEP_2) | instskip(NEXT) | instid1(VALU_DEP_2)
	v_mul_hi_u32 v24, v3, v23
	v_mul_lo_u32 v25, v3, v20
	v_mul_hi_u32 v26, v3, v20
	v_mul_hi_u32 v27, v19, v23
	v_mul_lo_u32 v23, v19, v23
	v_mul_hi_u32 v28, v19, v20
	v_mul_lo_u32 v20, v19, v20
	v_add_co_u32 v24, vcc_lo, v24, v25
	v_add_co_ci_u32_e32 v25, vcc_lo, 0, v26, vcc_lo
	s_delay_alu instid0(VALU_DEP_2) | instskip(NEXT) | instid1(VALU_DEP_2)
	v_add_co_u32 v23, vcc_lo, v24, v23
	v_add_co_ci_u32_e32 v23, vcc_lo, v25, v27, vcc_lo
	v_add_co_ci_u32_e32 v24, vcc_lo, 0, v28, vcc_lo
	s_delay_alu instid0(VALU_DEP_2) | instskip(NEXT) | instid1(VALU_DEP_2)
	v_add_co_u32 v20, vcc_lo, v23, v20
	v_add_co_ci_u32_e32 v23, vcc_lo, 0, v24, vcc_lo
	s_delay_alu instid0(VALU_DEP_2) | instskip(NEXT) | instid1(VALU_DEP_2)
	v_add_co_u32 v3, vcc_lo, v3, v20
	v_add_co_ci_u32_e32 v27, vcc_lo, v19, v23, vcc_lo
	s_delay_alu instid0(VALU_DEP_2) | instskip(SKIP_1) | instid1(VALU_DEP_3)
	v_mul_hi_u32 v28, v17, v3
	v_mad_u64_u32 v[23:24], null, v18, v3, 0
	v_mad_u64_u32 v[19:20], null, v17, v27, 0
	;; [unrolled: 1-line block ×3, first 2 shown]
	s_delay_alu instid0(VALU_DEP_2) | instskip(NEXT) | instid1(VALU_DEP_3)
	v_add_co_u32 v3, vcc_lo, v28, v19
	v_add_co_ci_u32_e32 v19, vcc_lo, 0, v20, vcc_lo
	s_delay_alu instid0(VALU_DEP_2) | instskip(NEXT) | instid1(VALU_DEP_2)
	v_add_co_u32 v3, vcc_lo, v3, v23
	v_add_co_ci_u32_e32 v3, vcc_lo, v19, v24, vcc_lo
	v_add_co_ci_u32_e32 v19, vcc_lo, 0, v26, vcc_lo
	s_delay_alu instid0(VALU_DEP_2) | instskip(NEXT) | instid1(VALU_DEP_2)
	v_add_co_u32 v3, vcc_lo, v3, v25
	v_add_co_ci_u32_e32 v23, vcc_lo, 0, v19, vcc_lo
	s_delay_alu instid0(VALU_DEP_2) | instskip(SKIP_1) | instid1(VALU_DEP_3)
	v_mul_lo_u32 v24, s27, v3
	v_mad_u64_u32 v[19:20], null, s26, v3, 0
	v_mul_lo_u32 v25, s26, v23
	s_delay_alu instid0(VALU_DEP_2) | instskip(NEXT) | instid1(VALU_DEP_2)
	v_sub_co_u32 v19, vcc_lo, v17, v19
	v_add3_u32 v20, v20, v25, v24
	s_delay_alu instid0(VALU_DEP_1) | instskip(NEXT) | instid1(VALU_DEP_1)
	v_sub_nc_u32_e32 v24, v18, v20
	v_subrev_co_ci_u32_e64 v24, s0, s27, v24, vcc_lo
	v_add_co_u32 v25, s0, v3, 2
	s_delay_alu instid0(VALU_DEP_1) | instskip(SKIP_3) | instid1(VALU_DEP_3)
	v_add_co_ci_u32_e64 v26, s0, 0, v23, s0
	v_sub_co_u32 v27, s0, v19, s26
	v_sub_co_ci_u32_e32 v20, vcc_lo, v18, v20, vcc_lo
	v_subrev_co_ci_u32_e64 v24, s0, 0, v24, s0
	v_cmp_le_u32_e32 vcc_lo, s26, v27
	s_delay_alu instid0(VALU_DEP_3) | instskip(SKIP_1) | instid1(VALU_DEP_4)
	v_cmp_eq_u32_e64 s0, s27, v20
	v_cndmask_b32_e64 v27, 0, -1, vcc_lo
	v_cmp_le_u32_e32 vcc_lo, s27, v24
	v_cndmask_b32_e64 v28, 0, -1, vcc_lo
	v_cmp_le_u32_e32 vcc_lo, s26, v19
	;; [unrolled: 2-line block ×3, first 2 shown]
	v_cndmask_b32_e64 v29, 0, -1, vcc_lo
	v_cmp_eq_u32_e32 vcc_lo, s27, v24
	s_delay_alu instid0(VALU_DEP_2) | instskip(SKIP_3) | instid1(VALU_DEP_3)
	v_cndmask_b32_e64 v19, v29, v19, s0
	v_cndmask_b32_e32 v24, v28, v27, vcc_lo
	v_add_co_u32 v27, vcc_lo, v3, 1
	v_add_co_ci_u32_e32 v28, vcc_lo, 0, v23, vcc_lo
	v_cmp_ne_u32_e32 vcc_lo, 0, v24
	s_delay_alu instid0(VALU_DEP_2) | instskip(NEXT) | instid1(VALU_DEP_4)
	v_cndmask_b32_e32 v20, v28, v26, vcc_lo
	v_cndmask_b32_e32 v24, v27, v25, vcc_lo
	v_cmp_ne_u32_e32 vcc_lo, 0, v19
	s_delay_alu instid0(VALU_DEP_2) | instskip(NEXT) | instid1(VALU_DEP_4)
	v_cndmask_b32_e32 v19, v3, v24, vcc_lo
	v_cndmask_b32_e32 v20, v23, v20, vcc_lo
.LBB120_61:                             ;   in Loop: Header=BB120_59 Depth=2
	s_and_not1_saveexec_b32 s0, s43
	s_cbranch_execz .LBB120_58
; %bb.62:                               ;   in Loop: Header=BB120_59 Depth=2
	v_cvt_f32_u32_e32 v3, s26
	s_sub_i32 s43, 0, s26
	s_delay_alu instid0(VALU_DEP_1) | instskip(SKIP_2) | instid1(VALU_DEP_1)
	v_rcp_iflag_f32_e32 v3, v3
	s_waitcnt_depctr 0xfff
	v_mul_f32_e32 v3, 0x4f7ffffe, v3
	v_cvt_u32_f32_e32 v3, v3
	s_delay_alu instid0(VALU_DEP_1) | instskip(NEXT) | instid1(VALU_DEP_1)
	v_mul_lo_u32 v19, s43, v3
	v_mul_hi_u32 v19, v3, v19
	s_delay_alu instid0(VALU_DEP_1) | instskip(NEXT) | instid1(VALU_DEP_1)
	v_add_nc_u32_e32 v3, v3, v19
	v_mul_hi_u32 v3, v17, v3
	s_delay_alu instid0(VALU_DEP_1) | instskip(SKIP_1) | instid1(VALU_DEP_2)
	v_mul_lo_u32 v19, v3, s26
	v_add_nc_u32_e32 v20, 1, v3
	v_sub_nc_u32_e32 v19, v17, v19
	s_delay_alu instid0(VALU_DEP_1) | instskip(SKIP_1) | instid1(VALU_DEP_2)
	v_subrev_nc_u32_e32 v23, s26, v19
	v_cmp_le_u32_e32 vcc_lo, s26, v19
	v_cndmask_b32_e32 v19, v19, v23, vcc_lo
	v_cndmask_b32_e32 v3, v3, v20, vcc_lo
	s_delay_alu instid0(VALU_DEP_2) | instskip(NEXT) | instid1(VALU_DEP_2)
	v_cmp_le_u32_e32 vcc_lo, s26, v19
	v_add_nc_u32_e32 v20, 1, v3
	s_delay_alu instid0(VALU_DEP_1)
	v_dual_cndmask_b32 v19, v3, v20 :: v_dual_mov_b32 v20, v2
	s_branch .LBB120_58
.LBB120_63:                             ;   in Loop: Header=BB120_3 Depth=1
	s_delay_alu instid0(VALU_DEP_1) | instskip(SKIP_2) | instid1(VALU_DEP_1)
	v_mad_u64_u32 v[17:18], null, s14, v25, v[23:24]
	v_mul_lo_u32 v3, s14, v26
	v_mul_lo_u32 v23, s15, v25
	v_add3_u32 v18, v23, v18, v3
.LBB120_64:                             ;   in Loop: Header=BB120_3 Depth=1
	s_or_b32 exec_lo, exec_lo, s42
	v_mov_b32_e32 v25, 0
	v_mov_b32_e32 v26, 0
	s_and_saveexec_b32 s1, s0
	s_cbranch_execz .LBB120_67
; %bb.65:                               ;   in Loop: Header=BB120_3 Depth=1
	v_mov_b32_e32 v23, 0
	v_mov_b32_e32 v24, 0
	s_and_not1_b32 vcc_lo, exec_lo, s29
	s_mov_b64 s[24:25], s[22:23]
	s_mov_b32 s42, s34
	s_cbranch_vccz .LBB120_97
.LBB120_66:                             ;   in Loop: Header=BB120_3 Depth=1
	s_delay_alu instid0(VALU_DEP_1) | instskip(NEXT) | instid1(VALU_DEP_2)
	v_mad_u64_u32 v[25:26], null, s2, v21, v[23:24]
	v_mul_lo_u32 v3, s2, v22
	v_mul_lo_u32 v21, s3, v21
	s_delay_alu instid0(VALU_DEP_1)
	v_add3_u32 v26, v21, v26, v3
.LBB120_67:                             ;   in Loop: Header=BB120_3 Depth=1
	s_or_b32 exec_lo, exec_lo, s1
	v_lshlrev_b64 v[11:12], 2, v[11:12]
	v_lshlrev_b64 v[15:16], 2, v[15:16]
	;; [unrolled: 1-line block ×4, first 2 shown]
	s_delay_alu instid0(VALU_DEP_4)
	v_add_co_u32 v11, vcc_lo, s12, v11
	v_add_co_ci_u32_e32 v12, vcc_lo, s13, v12, vcc_lo
	v_add_co_u32 v15, vcc_lo, s12, v15
	v_add_co_ci_u32_e32 v16, vcc_lo, s13, v16, vcc_lo
	;; [unrolled: 2-line block ×4, first 2 shown]
	s_clause 0x3
	global_load_b32 v3, v[11:12], off
	global_load_b32 v33, v[15:16], off
	;; [unrolled: 1-line block ×4, first 2 shown]
	v_dual_mov_b32 v20, s9 :: v_dual_mov_b32 v19, s8
	v_dual_mov_b32 v22, s7 :: v_dual_mov_b32 v21, s6
	s_and_not1_b32 vcc_lo, exec_lo, s30
	s_cbranch_vccnz .LBB120_69
; %bb.68:                               ;   in Loop: Header=BB120_3 Depth=1
	v_dual_mov_b32 v12, s9 :: v_dual_mov_b32 v11, s8
	v_dual_mov_b32 v16, s7 :: v_dual_mov_b32 v15, s6
	flat_load_b64 v[11:12], v[11:12]
	flat_load_b64 v[21:22], v[15:16]
	s_waitcnt vmcnt(1) lgkmcnt(1)
	v_add_co_u32 v19, vcc_lo, v11, s10
	v_add_co_ci_u32_e32 v20, vcc_lo, s11, v12, vcc_lo
.LBB120_69:                             ;   in Loop: Header=BB120_3 Depth=1
	s_delay_alu instid0(VALU_DEP_1)
	v_alignbit_b32 v23, v20, v19, 2
	v_lshrrev_b32_e32 v15, 2, v20
	s_waitcnt vmcnt(0) lgkmcnt(0)
	v_add_nc_u32_e32 v36, 0x9e3779b9, v21
	v_add_nc_u32_e32 v38, 0x3c6ef372, v21
	;; [unrolled: 1-line block ×3, first 2 shown]
	v_add_co_u32 v16, vcc_lo, v23, 1
	s_delay_alu instid0(VALU_DEP_1) | instskip(SKIP_4) | instid1(VALU_DEP_4)
	v_cndmask_b32_e64 v11, 0, 1, vcc_lo
	v_add_co_ci_u32_e32 v20, vcc_lo, 0, v15, vcc_lo
	v_xor3_b32 v25, v0, v21, v15
	v_add_nc_u32_e32 v40, 0x32370b8f, v22
	v_add_nc_u32_e32 v41, 0xed9eba14, v22
	v_cmp_eq_u32_e32 vcc_lo, 0, v20
	v_add_nc_u32_e32 v42, 0x646e171e, v22
	v_add_nc_u32_e32 v43, 0x1fd5c5a3, v22
	s_mov_b32 s0, exec_lo
	v_dual_cndmask_b32 v24, 0, v11 :: v_dual_add_nc_u32 v37, 0xbb67ae85, v22
	v_mad_u64_u32 v[11:12], null, 0xd2511f53, v16, 0
	v_mad_u64_u32 v[15:16], null, 0xd2511f53, v23, 0
	s_delay_alu instid0(VALU_DEP_3) | instskip(NEXT) | instid1(VALU_DEP_3)
	v_add_nc_u32_e32 v27, v24, v1
	v_xor_b32_e32 v12, v12, v22
	s_delay_alu instid0(VALU_DEP_2) | instskip(SKIP_1) | instid1(VALU_DEP_1)
	v_cmp_eq_u32_e32 vcc_lo, 0, v27
	v_cndmask_b32_e32 v24, 0, v24, vcc_lo
	v_xor_b32_e32 v12, v24, v12
	v_mad_u64_u32 v[23:24], null, 0xd2511f53, v25, 0
	v_mad_u64_u32 v[25:26], null, 0xcd9e8d57, v27, 0
	s_delay_alu instid0(VALU_DEP_3) | instskip(SKIP_1) | instid1(VALU_DEP_4)
	v_mad_u64_u32 v[27:28], null, 0xcd9e8d57, v12, 0
	v_xor_b32_e32 v12, v16, v22
	v_xor3_b32 v29, v37, v24, v15
	s_delay_alu instid0(VALU_DEP_2) | instskip(SKIP_2) | instid1(VALU_DEP_4)
	v_mad_u64_u32 v[15:16], null, 0xcd9e8d57, v12, 0
	v_xor3_b32 v12, v26, v21, v20
	v_xor3_b32 v20, v36, v28, v25
	v_mad_u64_u32 v[24:25], null, 0xcd9e8d57, v29, 0
	s_delay_alu instid0(VALU_DEP_3) | instskip(NEXT) | instid1(VALU_DEP_3)
	v_mad_u64_u32 v[28:29], null, 0xd2511f53, v12, 0
	v_mad_u64_u32 v[30:31], null, 0xd2511f53, v20, 0
	v_xor3_b32 v12, v6, v16, v36
	s_delay_alu instid0(VALU_DEP_4) | instskip(SKIP_2) | instid1(VALU_DEP_4)
	v_xor3_b32 v25, v38, v25, v15
	v_add_nc_u32_e32 v20, 0xdaa66d2b, v21
	v_xor3_b32 v29, v37, v29, v11
	v_mad_u64_u32 v[15:16], null, 0xd2511f53, v12, 0
	v_xor3_b32 v31, v39, v31, v28
	v_mad_u64_u32 v[11:12], null, 0xd2511f53, v25, 0
	s_delay_alu instid0(VALU_DEP_4) | instskip(NEXT) | instid1(VALU_DEP_3)
	v_mad_u64_u32 v[25:26], null, 0xcd9e8d57, v29, 0
	v_mad_u64_u32 v[28:29], null, 0xcd9e8d57, v31, 0
	v_xor3_b32 v23, v39, v16, v23
	v_add_nc_u32_e32 v31, 0x78dde6e4, v21
	v_xor3_b32 v12, v40, v12, v15
	s_delay_alu instid0(VALU_DEP_3) | instskip(SKIP_2) | instid1(VALU_DEP_4)
	v_mad_u64_u32 v[15:16], null, 0xcd9e8d57, v23, 0
	v_xor3_b32 v23, v38, v26, v27
	v_xor3_b32 v27, v20, v29, v25
	v_mad_u64_u32 v[25:26], null, 0xcd9e8d57, v12, 0
	s_delay_alu instid0(VALU_DEP_3) | instskip(NEXT) | instid1(VALU_DEP_3)
	v_mad_u64_u32 v[36:37], null, 0xd2511f53, v23, 0
	v_mad_u64_u32 v[38:39], null, 0xd2511f53, v27, 0
	v_xor3_b32 v12, v20, v16, v24
	s_delay_alu instid0(VALU_DEP_4) | instskip(SKIP_2) | instid1(VALU_DEP_4)
	v_xor3_b32 v23, v31, v26, v15
	v_add_nc_u32_e32 v20, 0x1715609d, v21
	v_add_nc_u32_e32 v27, 0xa9066899, v22
	v_mad_u64_u32 v[15:16], null, 0xd2511f53, v12, 0
	v_xor3_b32 v12, v40, v37, v30
	v_xor3_b32 v26, v41, v39, v36
	v_mad_u64_u32 v[29:30], null, 0xd2511f53, v23, 0
	s_delay_alu instid0(VALU_DEP_3) | instskip(NEXT) | instid1(VALU_DEP_3)
	v_mad_u64_u32 v[23:24], null, 0xcd9e8d57, v12, 0
	v_mad_u64_u32 v[36:37], null, 0xcd9e8d57, v26, 0
	v_xor3_b32 v16, v41, v16, v11
	s_delay_alu instid0(VALU_DEP_4) | instskip(SKIP_2) | instid1(VALU_DEP_4)
	v_xor3_b32 v26, v27, v30, v15
	v_add_nc_u32_e32 v41, 0xb54cda56, v21
	v_xor3_b32 v28, v31, v24, v28
	v_mad_u64_u32 v[11:12], null, 0xcd9e8d57, v16, 0
	v_xor3_b32 v30, v20, v37, v23
	v_mad_u64_u32 v[15:16], null, 0xcd9e8d57, v26, 0
	s_delay_alu instid0(VALU_DEP_4) | instskip(NEXT) | instid1(VALU_DEP_3)
	v_mad_u64_u32 v[23:24], null, 0xd2511f53, v28, 0
	v_mad_u64_u32 v[39:40], null, 0xd2511f53, v30, 0
	v_xor3_b32 v20, v20, v12, v25
	v_add_nc_u32_e32 v28, 0x5384540f, v21
	v_xor3_b32 v16, v41, v16, v11
	v_add_nc_u32_e32 v37, 0xdb3d7428, v22
	s_delay_alu instid0(VALU_DEP_4) | instskip(SKIP_4) | instid1(VALU_DEP_4)
	v_mad_u64_u32 v[11:12], null, 0xd2511f53, v20, 0
	v_xor3_b32 v20, v27, v24, v38
	v_xor3_b32 v25, v42, v40, v23
	v_mad_u64_u32 v[23:24], null, 0xd2511f53, v16, 0
	v_add_nc_u32_e32 v38, 0x96a522ad, v22
	v_mad_u64_u32 v[30:31], null, 0xcd9e8d57, v20, 0
	s_delay_alu instid0(VALU_DEP_4) | instskip(SKIP_3) | instid1(VALU_DEP_3)
	v_mad_u64_u32 v[26:27], null, 0xcd9e8d57, v25, 0
	v_xor3_b32 v16, v42, v12, v29
	v_xor3_b32 v29, v43, v24, v11
	v_add_co_u32 v20, null, 0xf1bbcdc8, v21
	v_mad_u64_u32 v[11:12], null, 0xcd9e8d57, v16, 0
	v_xor3_b32 v16, v41, v31, v36
	v_xor3_b32 v27, v28, v27, v30
	v_mad_u64_u32 v[24:25], null, 0xcd9e8d57, v29, 0
	v_and_b32_e32 v36, 3, v19
	s_delay_alu instid0(VALU_DEP_4) | instskip(NEXT) | instid1(VALU_DEP_4)
	v_mad_u64_u32 v[40:41], null, 0xd2511f53, v16, 0
	v_mad_u64_u32 v[29:30], null, 0xd2511f53, v27, 0
	v_xor3_b32 v12, v28, v12, v15
	v_xor3_b32 v15, v20, v25, v11
	s_delay_alu instid0(VALU_DEP_4) | instskip(NEXT) | instid1(VALU_DEP_3)
	v_xor3_b32 v16, v43, v41, v39
	v_mad_u64_u32 v[27:28], null, 0xd2511f53, v12, 0
	v_xor3_b32 v25, v37, v30, v40
	s_delay_alu instid0(VALU_DEP_4) | instskip(NEXT) | instid1(VALU_DEP_4)
	v_mad_u64_u32 v[11:12], null, 0xd2511f53, v15, 0
	v_mad_u64_u32 v[30:31], null, 0xcd9e8d57, v16, 0
	s_delay_alu instid0(VALU_DEP_3) | instskip(SKIP_1) | instid1(VALU_DEP_4)
	v_mad_u64_u32 v[15:16], null, 0xcd9e8d57, v25, 0
	v_add_nc_u32_e32 v25, 0x8ff34781, v21
                                        ; implicit-def: $vgpr21
	v_xor3_b32 v22, v12, v27, v38
	s_delay_alu instid0(VALU_DEP_2)
	v_xor3_b32 v12, v16, v30, v25
	v_cmpx_lt_i32_e32 1, v36
	s_xor_b32 s0, exec_lo, s0
	s_cbranch_execz .LBB120_75
; %bb.70:                               ;   in Loop: Header=BB120_3 Depth=1
	s_mov_b32 s1, exec_lo
                                        ; implicit-def: $vgpr21
	v_cmpx_lt_i32_e32 2, v36
	s_xor_b32 s1, exec_lo, s1
; %bb.71:                               ;   in Loop: Header=BB120_3 Depth=1
	v_xor3_b32 v16, v20, v31, v26
                                        ; implicit-def: $vgpr22
	s_delay_alu instid0(VALU_DEP_1) | instskip(NEXT) | instid1(VALU_DEP_1)
	v_mul_hi_u32 v16, 0xd2511f53, v16
	v_xor3_b32 v21, v16, v29, v38
; %bb.72:                               ;   in Loop: Header=BB120_3 Depth=1
	s_and_not1_saveexec_b32 s1, s1
; %bb.73:                               ;   in Loop: Header=BB120_3 Depth=1
	v_mov_b32_e32 v21, v15
	v_dual_mov_b32 v15, v12 :: v_dual_mov_b32 v12, v11
	v_mov_b32_e32 v11, v22
; %bb.74:                               ;   in Loop: Header=BB120_3 Depth=1
	s_or_b32 exec_lo, exec_lo, s1
                                        ; implicit-def: $vgpr23_vgpr24
                                        ; implicit-def: $vgpr36
                                        ; implicit-def: $vgpr22
                                        ; implicit-def: $vgpr37
                                        ; implicit-def: $vgpr27_vgpr28
                                        ; implicit-def: $vgpr24_vgpr25
                                        ; implicit-def: $vgpr25
.LBB120_75:                             ;   in Loop: Header=BB120_3 Depth=1
	s_and_not1_saveexec_b32 s0, s0
	s_cbranch_execz .LBB120_79
; %bb.76:                               ;   in Loop: Header=BB120_3 Depth=1
	v_xor3_b32 v15, v37, v28, v23
	v_mov_b32_e32 v21, v11
	s_mov_b32 s1, exec_lo
	s_delay_alu instid0(VALU_DEP_2) | instskip(NEXT) | instid1(VALU_DEP_1)
	v_mad_u64_u32 v[19:20], null, 0xcd9e8d57, v15, 0
	v_dual_mov_b32 v15, v22 :: v_dual_mov_b32 v16, v19
	s_delay_alu instid0(VALU_DEP_2)
	v_xor3_b32 v20, v20, v24, v25
	v_cmpx_eq_u32_e32 1, v36
; %bb.77:                               ;   in Loop: Header=BB120_3 Depth=1
	v_dual_mov_b32 v21, v12 :: v_dual_mov_b32 v16, v22
	v_mov_b32_e32 v15, v11
	v_mov_b32_e32 v20, v19
; %bb.78:                               ;   in Loop: Header=BB120_3 Depth=1
	s_or_b32 exec_lo, exec_lo, s1
	s_delay_alu instid0(VALU_DEP_1)
	v_mov_b32_e32 v11, v20
	v_mov_b32_e32 v12, v16
.LBB120_79:                             ;   in Loop: Header=BB120_3 Depth=1
	s_or_b32 exec_lo, exec_lo, s0
	v_min_i32_e32 v16, 4, v32
	s_mov_b32 s1, 0
	s_mov_b32 s43, 0
	;; [unrolled: 1-line block ×3, first 2 shown]
                                        ; implicit-def: $sgpr25
                                        ; implicit-def: $sgpr26
                                        ; implicit-def: $sgpr27
	s_mov_b32 s0, exec_lo
	v_cmpx_lt_i32_e32 2, v16
	s_xor_b32 s42, exec_lo, s0
	s_cbranch_execz .LBB120_91
; %bb.80:                               ;   in Loop: Header=BB120_3 Depth=1
	s_mov_b32 s0, -1
	s_mov_b32 s44, 0
	s_mov_b32 s26, exec_lo
                                        ; implicit-def: $sgpr24
                                        ; implicit-def: $sgpr25
	v_cmpx_lt_i32_e32 3, v16
	s_cbranch_execz .LBB120_86
; %bb.81:                               ;   in Loop: Header=BB120_3 Depth=1
	s_mov_b32 s0, 0
	s_mov_b32 s44, -1
	s_mov_b32 s27, exec_lo
                                        ; implicit-def: $sgpr24
                                        ; implicit-def: $sgpr25
	v_cmpx_eq_u32_e32 4, v16
	s_cbranch_execz .LBB120_85
; %bb.82:                               ;   in Loop: Header=BB120_3 Depth=1
	v_cmp_le_f32_e32 vcc_lo, 0, v35
	v_cmp_ge_f32_e64 s0, 1.0, v35
	s_mov_b32 s24, 0
	s_delay_alu instid0(VALU_DEP_1)
	s_and_b32 s44, vcc_lo, s0
	s_mov_b32 s0, 0
	s_and_saveexec_b32 s25, s44
	s_cbranch_execz .LBB120_84
; %bb.83:                               ;   in Loop: Header=BB120_3 Depth=1
	v_cvt_f32_u32_e32 v19, v21
	v_add_co_u32 v17, vcc_lo, s16, v17
	v_add_co_ci_u32_e32 v18, vcc_lo, s17, v18, vcc_lo
	s_delay_alu instid0(VALU_DEP_3) | instskip(SKIP_1) | instid1(VALU_DEP_1)
	v_fmaak_f32 v19, 0x2f800000, v19, 0x2f800000
	s_mov_b32 s0, exec_lo
	v_cmp_le_f32_e32 vcc_lo, v19, v35
	v_cndmask_b32_e64 v19, 0, 1, vcc_lo
	global_store_b8 v[17:18], v19, off
.LBB120_84:                             ;   in Loop: Header=BB120_3 Depth=1
	s_or_b32 exec_lo, exec_lo, s25
	s_mov_b32 s25, -1
	s_xor_b32 s44, exec_lo, -1
	s_and_b32 s0, s0, exec_lo
.LBB120_85:                             ;   in Loop: Header=BB120_3 Depth=1
	s_or_b32 exec_lo, exec_lo, s27
	s_delay_alu instid0(SALU_CYCLE_1)
	s_and_b32 s44, s44, exec_lo
	s_or_not1_b32 s0, s0, exec_lo
.LBB120_86:                             ;   in Loop: Header=BB120_3 Depth=1
	s_or_b32 exec_lo, exec_lo, s26
	s_mov_b32 s27, s24
	s_and_saveexec_b32 s26, s0
	s_cbranch_execz .LBB120_90
; %bb.87:                               ;   in Loop: Header=BB120_3 Depth=1
	v_cmp_le_f32_e32 vcc_lo, 0, v34
	v_cmp_ge_f32_e64 s0, 1.0, v34
	s_delay_alu instid0(VALU_DEP_1) | instskip(SKIP_2) | instid1(SALU_CYCLE_1)
	s_and_b32 s27, vcc_lo, s0
	s_mov_b32 s0, 0
	s_and_saveexec_b32 s43, s27
	s_xor_b32 s27, exec_lo, s43
	s_cbranch_execz .LBB120_89
; %bb.88:                               ;   in Loop: Header=BB120_3 Depth=1
	v_cvt_f32_u32_e32 v15, v15
	v_add_co_u32 v13, vcc_lo, s16, v13
	v_add_co_ci_u32_e32 v14, vcc_lo, s17, v14, vcc_lo
	s_delay_alu instid0(VALU_DEP_3) | instskip(SKIP_1) | instid1(VALU_DEP_1)
	v_fmaak_f32 v15, 0x2f800000, v15, 0x2f800000
	s_mov_b32 s0, exec_lo
	v_cmp_le_f32_e32 vcc_lo, v15, v34
	v_cndmask_b32_e64 v15, 0, 1, vcc_lo
	global_store_b8 v[13:14], v15, off
.LBB120_89:                             ;   in Loop: Header=BB120_3 Depth=1
	s_or_b32 exec_lo, exec_lo, s27
	s_delay_alu instid0(SALU_CYCLE_1)
	s_and_not1_b32 s27, s24, exec_lo
	s_or_b32 s24, s24, exec_lo
	s_and_not1_b32 s25, s25, exec_lo
	s_and_b32 s43, s0, exec_lo
.LBB120_90:                             ;   in Loop: Header=BB120_3 Depth=1
	s_or_b32 exec_lo, exec_lo, s26
	s_delay_alu instid0(SALU_CYCLE_1)
	s_and_b32 s27, s27, exec_lo
	s_and_b32 s26, s24, exec_lo
	;; [unrolled: 1-line block ×5, first 2 shown]
.LBB120_91:                             ;   in Loop: Header=BB120_3 Depth=1
	s_and_not1_saveexec_b32 s0, s42
; %bb.92:                               ;   in Loop: Header=BB120_3 Depth=1
	v_cmp_lt_i32_e32 vcc_lo, 1, v16
	s_and_not1_b32 s42, s43, exec_lo
	s_mov_b32 s1, exec_lo
	s_and_not1_b32 s27, s27, exec_lo
	s_and_not1_b32 s26, s26, exec_lo
	s_and_b32 s43, vcc_lo, exec_lo
	s_and_not1_b32 s25, s25, exec_lo
	s_or_b32 s43, s42, s43
; %bb.93:                               ;   in Loop: Header=BB120_3 Depth=1
	s_or_b32 exec_lo, exec_lo, s0
	s_mov_b32 s0, 0
	s_mov_b32 s42, s27
	s_and_saveexec_b32 s44, s43
	s_cbranch_execnz .LBB120_101
; %bb.94:                               ;   in Loop: Header=BB120_3 Depth=1
	s_or_b32 exec_lo, exec_lo, s44
	s_and_saveexec_b32 s43, s1
	s_cbranch_execnz .LBB120_104
.LBB120_95:                             ;   in Loop: Header=BB120_3 Depth=1
	s_or_b32 exec_lo, exec_lo, s43
	s_and_saveexec_b32 s1, s0
	s_cbranch_execnz .LBB120_105
	s_branch .LBB120_108
.LBB120_96:                             ;   in Loop: Header=BB120_97 Depth=2
	s_or_b32 exec_lo, exec_lo, s0
	s_load_b64 s[44:45], s[24:25], 0xc8
	s_delay_alu instid0(VALU_DEP_1)
	v_mul_lo_u32 v3, v26, s26
	v_mul_lo_u32 v29, v25, s27
	v_mad_u64_u32 v[27:28], null, v25, s26, 0
	s_add_i32 s42, s42, -1
	s_add_u32 s24, s24, -8
	s_addc_u32 s25, s25, -1
	s_cmp_gt_u32 s42, 2
	s_delay_alu instid0(VALU_DEP_1) | instskip(NEXT) | instid1(VALU_DEP_2)
	v_add3_u32 v3, v28, v29, v3
	v_sub_co_u32 v27, vcc_lo, v21, v27
	s_delay_alu instid0(VALU_DEP_2) | instskip(SKIP_1) | instid1(VALU_DEP_2)
	v_sub_co_ci_u32_e32 v3, vcc_lo, v22, v3, vcc_lo
	s_waitcnt lgkmcnt(0)
	v_mul_lo_u32 v28, s45, v27
	s_delay_alu instid0(VALU_DEP_2) | instskip(SKIP_1) | instid1(VALU_DEP_1)
	v_mul_lo_u32 v3, s44, v3
	v_mad_u64_u32 v[21:22], null, s44, v27, v[23:24]
	v_add3_u32 v24, v28, v22, v3
	s_delay_alu instid0(VALU_DEP_2)
	v_mov_b32_e32 v23, v21
	v_dual_mov_b32 v21, v25 :: v_dual_mov_b32 v22, v26
	s_cbranch_scc0 .LBB120_66
.LBB120_97:                             ;   Parent Loop BB120_3 Depth=1
                                        ; =>  This Inner Loop Header: Depth=2
	s_load_b64 s[26:27], s[24:25], 0x0
                                        ; implicit-def: $vgpr25_vgpr26
	s_mov_b32 s0, exec_lo
	s_waitcnt lgkmcnt(0)
	v_or_b32_e32 v3, s27, v22
	s_delay_alu instid0(VALU_DEP_1)
	v_cmpx_ne_u64_e32 0, v[2:3]
	s_xor_b32 s43, exec_lo, s0
	s_cbranch_execz .LBB120_99
; %bb.98:                               ;   in Loop: Header=BB120_97 Depth=2
	v_cvt_f32_u32_e32 v3, s26
	v_cvt_f32_u32_e32 v25, s27
	s_sub_u32 s0, 0, s26
	s_subb_u32 s44, 0, s27
	s_delay_alu instid0(VALU_DEP_1) | instskip(NEXT) | instid1(VALU_DEP_1)
	v_fmac_f32_e32 v3, 0x4f800000, v25
	v_rcp_f32_e32 v3, v3
	s_waitcnt_depctr 0xfff
	v_mul_f32_e32 v3, 0x5f7ffffc, v3
	s_delay_alu instid0(VALU_DEP_1) | instskip(NEXT) | instid1(VALU_DEP_1)
	v_mul_f32_e32 v25, 0x2f800000, v3
	v_trunc_f32_e32 v25, v25
	s_delay_alu instid0(VALU_DEP_1) | instskip(SKIP_1) | instid1(VALU_DEP_2)
	v_fmac_f32_e32 v3, 0xcf800000, v25
	v_cvt_u32_f32_e32 v25, v25
	v_cvt_u32_f32_e32 v3, v3
	s_delay_alu instid0(VALU_DEP_2) | instskip(NEXT) | instid1(VALU_DEP_2)
	v_mul_lo_u32 v26, s0, v25
	v_mul_hi_u32 v27, s0, v3
	v_mul_lo_u32 v28, s44, v3
	s_delay_alu instid0(VALU_DEP_2) | instskip(SKIP_1) | instid1(VALU_DEP_2)
	v_add_nc_u32_e32 v26, v27, v26
	v_mul_lo_u32 v27, s0, v3
	v_add_nc_u32_e32 v26, v26, v28
	s_delay_alu instid0(VALU_DEP_2) | instskip(NEXT) | instid1(VALU_DEP_2)
	v_mul_hi_u32 v28, v3, v27
	v_mul_lo_u32 v29, v3, v26
	v_mul_hi_u32 v30, v3, v26
	v_mul_hi_u32 v31, v25, v27
	v_mul_lo_u32 v27, v25, v27
	v_mul_hi_u32 v33, v25, v26
	v_mul_lo_u32 v26, v25, v26
	v_add_co_u32 v28, vcc_lo, v28, v29
	v_add_co_ci_u32_e32 v29, vcc_lo, 0, v30, vcc_lo
	s_delay_alu instid0(VALU_DEP_2) | instskip(NEXT) | instid1(VALU_DEP_2)
	v_add_co_u32 v27, vcc_lo, v28, v27
	v_add_co_ci_u32_e32 v27, vcc_lo, v29, v31, vcc_lo
	v_add_co_ci_u32_e32 v28, vcc_lo, 0, v33, vcc_lo
	s_delay_alu instid0(VALU_DEP_2) | instskip(NEXT) | instid1(VALU_DEP_2)
	v_add_co_u32 v26, vcc_lo, v27, v26
	v_add_co_ci_u32_e32 v27, vcc_lo, 0, v28, vcc_lo
	s_delay_alu instid0(VALU_DEP_2) | instskip(NEXT) | instid1(VALU_DEP_2)
	v_add_co_u32 v3, vcc_lo, v3, v26
	v_add_co_ci_u32_e32 v25, vcc_lo, v25, v27, vcc_lo
	s_delay_alu instid0(VALU_DEP_2) | instskip(SKIP_1) | instid1(VALU_DEP_3)
	v_mul_hi_u32 v26, s0, v3
	v_mul_lo_u32 v28, s44, v3
	v_mul_lo_u32 v27, s0, v25
	s_delay_alu instid0(VALU_DEP_1) | instskip(SKIP_1) | instid1(VALU_DEP_2)
	v_add_nc_u32_e32 v26, v26, v27
	v_mul_lo_u32 v27, s0, v3
	v_add_nc_u32_e32 v26, v26, v28
	s_delay_alu instid0(VALU_DEP_2) | instskip(NEXT) | instid1(VALU_DEP_2)
	v_mul_hi_u32 v28, v3, v27
	v_mul_lo_u32 v29, v3, v26
	v_mul_hi_u32 v30, v3, v26
	v_mul_hi_u32 v31, v25, v27
	v_mul_lo_u32 v27, v25, v27
	v_mul_hi_u32 v33, v25, v26
	v_mul_lo_u32 v26, v25, v26
	v_add_co_u32 v28, vcc_lo, v28, v29
	v_add_co_ci_u32_e32 v29, vcc_lo, 0, v30, vcc_lo
	s_delay_alu instid0(VALU_DEP_2) | instskip(NEXT) | instid1(VALU_DEP_2)
	v_add_co_u32 v27, vcc_lo, v28, v27
	v_add_co_ci_u32_e32 v27, vcc_lo, v29, v31, vcc_lo
	v_add_co_ci_u32_e32 v28, vcc_lo, 0, v33, vcc_lo
	s_delay_alu instid0(VALU_DEP_2) | instskip(NEXT) | instid1(VALU_DEP_2)
	v_add_co_u32 v26, vcc_lo, v27, v26
	v_add_co_ci_u32_e32 v27, vcc_lo, 0, v28, vcc_lo
	s_delay_alu instid0(VALU_DEP_2) | instskip(NEXT) | instid1(VALU_DEP_2)
	v_add_co_u32 v3, vcc_lo, v3, v26
	v_add_co_ci_u32_e32 v31, vcc_lo, v25, v27, vcc_lo
	s_delay_alu instid0(VALU_DEP_2) | instskip(SKIP_1) | instid1(VALU_DEP_3)
	v_mul_hi_u32 v33, v21, v3
	v_mad_u64_u32 v[27:28], null, v22, v3, 0
	v_mad_u64_u32 v[25:26], null, v21, v31, 0
	;; [unrolled: 1-line block ×3, first 2 shown]
	s_delay_alu instid0(VALU_DEP_2) | instskip(NEXT) | instid1(VALU_DEP_3)
	v_add_co_u32 v3, vcc_lo, v33, v25
	v_add_co_ci_u32_e32 v25, vcc_lo, 0, v26, vcc_lo
	s_delay_alu instid0(VALU_DEP_2) | instskip(NEXT) | instid1(VALU_DEP_2)
	v_add_co_u32 v3, vcc_lo, v3, v27
	v_add_co_ci_u32_e32 v3, vcc_lo, v25, v28, vcc_lo
	v_add_co_ci_u32_e32 v25, vcc_lo, 0, v30, vcc_lo
	s_delay_alu instid0(VALU_DEP_2) | instskip(NEXT) | instid1(VALU_DEP_2)
	v_add_co_u32 v3, vcc_lo, v3, v29
	v_add_co_ci_u32_e32 v27, vcc_lo, 0, v25, vcc_lo
	s_delay_alu instid0(VALU_DEP_2) | instskip(SKIP_1) | instid1(VALU_DEP_3)
	v_mul_lo_u32 v28, s27, v3
	v_mad_u64_u32 v[25:26], null, s26, v3, 0
	v_mul_lo_u32 v29, s26, v27
	s_delay_alu instid0(VALU_DEP_2) | instskip(NEXT) | instid1(VALU_DEP_2)
	v_sub_co_u32 v25, vcc_lo, v21, v25
	v_add3_u32 v26, v26, v29, v28
	s_delay_alu instid0(VALU_DEP_1) | instskip(NEXT) | instid1(VALU_DEP_1)
	v_sub_nc_u32_e32 v28, v22, v26
	v_subrev_co_ci_u32_e64 v28, s0, s27, v28, vcc_lo
	v_add_co_u32 v29, s0, v3, 2
	s_delay_alu instid0(VALU_DEP_1) | instskip(SKIP_3) | instid1(VALU_DEP_3)
	v_add_co_ci_u32_e64 v30, s0, 0, v27, s0
	v_sub_co_u32 v31, s0, v25, s26
	v_sub_co_ci_u32_e32 v26, vcc_lo, v22, v26, vcc_lo
	v_subrev_co_ci_u32_e64 v28, s0, 0, v28, s0
	v_cmp_le_u32_e32 vcc_lo, s26, v31
	s_delay_alu instid0(VALU_DEP_3) | instskip(SKIP_1) | instid1(VALU_DEP_4)
	v_cmp_eq_u32_e64 s0, s27, v26
	v_cndmask_b32_e64 v31, 0, -1, vcc_lo
	v_cmp_le_u32_e32 vcc_lo, s27, v28
	v_cndmask_b32_e64 v33, 0, -1, vcc_lo
	v_cmp_le_u32_e32 vcc_lo, s26, v25
	v_cndmask_b32_e64 v25, 0, -1, vcc_lo
	v_cmp_le_u32_e32 vcc_lo, s27, v26
	v_cndmask_b32_e64 v34, 0, -1, vcc_lo
	v_cmp_eq_u32_e32 vcc_lo, s27, v28
	s_delay_alu instid0(VALU_DEP_2) | instskip(SKIP_3) | instid1(VALU_DEP_3)
	v_cndmask_b32_e64 v25, v34, v25, s0
	v_cndmask_b32_e32 v28, v33, v31, vcc_lo
	v_add_co_u32 v31, vcc_lo, v3, 1
	v_add_co_ci_u32_e32 v33, vcc_lo, 0, v27, vcc_lo
	v_cmp_ne_u32_e32 vcc_lo, 0, v28
	s_delay_alu instid0(VALU_DEP_3) | instskip(NEXT) | instid1(VALU_DEP_3)
	v_cndmask_b32_e32 v28, v31, v29, vcc_lo
	v_cndmask_b32_e32 v26, v33, v30, vcc_lo
	v_cmp_ne_u32_e32 vcc_lo, 0, v25
	s_delay_alu instid0(VALU_DEP_3) | instskip(NEXT) | instid1(VALU_DEP_3)
	v_cndmask_b32_e32 v25, v3, v28, vcc_lo
	v_cndmask_b32_e32 v26, v27, v26, vcc_lo
.LBB120_99:                             ;   in Loop: Header=BB120_97 Depth=2
	s_and_not1_saveexec_b32 s0, s43
	s_cbranch_execz .LBB120_96
; %bb.100:                              ;   in Loop: Header=BB120_97 Depth=2
	v_cvt_f32_u32_e32 v3, s26
	s_sub_i32 s43, 0, s26
	s_delay_alu instid0(VALU_DEP_1) | instskip(SKIP_2) | instid1(VALU_DEP_1)
	v_rcp_iflag_f32_e32 v3, v3
	s_waitcnt_depctr 0xfff
	v_mul_f32_e32 v3, 0x4f7ffffe, v3
	v_cvt_u32_f32_e32 v3, v3
	s_delay_alu instid0(VALU_DEP_1) | instskip(NEXT) | instid1(VALU_DEP_1)
	v_mul_lo_u32 v25, s43, v3
	v_mul_hi_u32 v25, v3, v25
	s_delay_alu instid0(VALU_DEP_1) | instskip(NEXT) | instid1(VALU_DEP_1)
	v_add_nc_u32_e32 v3, v3, v25
	v_mul_hi_u32 v3, v21, v3
	s_delay_alu instid0(VALU_DEP_1) | instskip(SKIP_1) | instid1(VALU_DEP_2)
	v_mul_lo_u32 v25, v3, s26
	v_add_nc_u32_e32 v26, 1, v3
	v_sub_nc_u32_e32 v25, v21, v25
	s_delay_alu instid0(VALU_DEP_1) | instskip(SKIP_1) | instid1(VALU_DEP_2)
	v_subrev_nc_u32_e32 v27, s26, v25
	v_cmp_le_u32_e32 vcc_lo, s26, v25
	v_cndmask_b32_e32 v25, v25, v27, vcc_lo
	v_cndmask_b32_e32 v3, v3, v26, vcc_lo
	s_delay_alu instid0(VALU_DEP_2) | instskip(NEXT) | instid1(VALU_DEP_2)
	v_cmp_le_u32_e32 vcc_lo, s26, v25
	v_add_nc_u32_e32 v26, 1, v3
	s_delay_alu instid0(VALU_DEP_1)
	v_dual_cndmask_b32 v25, v3, v26 :: v_dual_mov_b32 v26, v2
	s_branch .LBB120_96
.LBB120_101:                            ;   in Loop: Header=BB120_3 Depth=1
	v_cmp_le_f32_e32 vcc_lo, 0, v33
	v_cmp_ge_f32_e64 s0, 1.0, v33
	s_delay_alu instid0(VALU_DEP_1) | instskip(SKIP_2) | instid1(SALU_CYCLE_1)
	s_and_b32 s42, vcc_lo, s0
	s_mov_b32 s0, 0
	s_and_saveexec_b32 s43, s42
	s_xor_b32 s42, exec_lo, s43
	s_cbranch_execz .LBB120_103
; %bb.102:                              ;   in Loop: Header=BB120_3 Depth=1
	v_cvt_f32_u32_e32 v12, v12
	v_add_co_u32 v9, vcc_lo, s16, v9
	v_add_co_ci_u32_e32 v10, vcc_lo, s17, v10, vcc_lo
	s_delay_alu instid0(VALU_DEP_3) | instskip(SKIP_1) | instid1(VALU_DEP_1)
	v_fmaak_f32 v12, 0x2f800000, v12, 0x2f800000
	s_mov_b32 s0, exec_lo
	v_cmp_le_f32_e32 vcc_lo, v12, v33
	v_cndmask_b32_e64 v12, 0, 1, vcc_lo
	global_store_b8 v[9:10], v12, off
.LBB120_103:                            ;   in Loop: Header=BB120_3 Depth=1
	s_or_b32 exec_lo, exec_lo, s42
	s_delay_alu instid0(SALU_CYCLE_1)
	s_and_not1_b32 s42, s27, exec_lo
	s_or_b32 s27, s27, exec_lo
	s_and_not1_b32 s26, s26, exec_lo
	s_and_not1_b32 s25, s25, exec_lo
	s_and_b32 s0, s0, exec_lo
	s_and_not1_b32 s1, s1, exec_lo
	s_or_b32 exec_lo, exec_lo, s44
	s_and_saveexec_b32 s43, s1
	s_cbranch_execz .LBB120_95
.LBB120_104:                            ;   in Loop: Header=BB120_3 Depth=1
	v_cmp_eq_u32_e32 vcc_lo, 1, v16
	s_and_not1_b32 s0, s0, exec_lo
	s_and_not1_b32 s42, s42, exec_lo
	;; [unrolled: 1-line block ×4, first 2 shown]
	s_and_b32 s1, vcc_lo, exec_lo
	s_and_not1_b32 s25, s25, exec_lo
	s_or_b32 s24, s24, exec_lo
	s_or_b32 s0, s0, s1
	s_or_b32 exec_lo, exec_lo, s43
	s_and_saveexec_b32 s1, s0
	s_cbranch_execz .LBB120_108
.LBB120_105:                            ;   in Loop: Header=BB120_3 Depth=1
	v_cmp_le_f32_e32 vcc_lo, 0, v3
	v_cmp_ge_f32_e64 s0, 1.0, v3
	s_delay_alu instid0(VALU_DEP_1)
	s_and_b32 s44, vcc_lo, s0
	s_mov_b32 s0, 0
	s_and_saveexec_b32 s43, s44
	s_cbranch_execz .LBB120_107
; %bb.106:                              ;   in Loop: Header=BB120_3 Depth=1
	v_cvt_f32_u32_e32 v9, v11
	v_add_co_u32 v7, vcc_lo, s16, v7
	v_add_co_ci_u32_e32 v8, vcc_lo, s17, v8, vcc_lo
	s_delay_alu instid0(VALU_DEP_3) | instskip(SKIP_1) | instid1(VALU_DEP_1)
	v_fmaak_f32 v9, 0x2f800000, v9, 0x2f800000
	s_mov_b32 s0, exec_lo
	v_cmp_le_f32_e32 vcc_lo, v9, v3
	v_cndmask_b32_e64 v3, 0, 1, vcc_lo
	global_store_b8 v[7:8], v3, off
.LBB120_107:                            ;   in Loop: Header=BB120_3 Depth=1
	s_or_b32 exec_lo, exec_lo, s43
	s_delay_alu instid0(SALU_CYCLE_1)
	s_and_not1_b32 s24, s24, exec_lo
	s_and_b32 s0, s0, exec_lo
	s_or_b32 s42, s42, exec_lo
	s_and_not1_b32 s27, s27, exec_lo
	s_and_not1_b32 s26, s26, exec_lo
	;; [unrolled: 1-line block ×3, first 2 shown]
	s_or_b32 s24, s24, s0
.LBB120_108:                            ;   in Loop: Header=BB120_3 Depth=1
	s_or_b32 exec_lo, exec_lo, s1
	s_delay_alu instid0(SALU_CYCLE_1)
	s_and_not1_b32 s1, s41, exec_lo
	s_and_b32 s41, s42, exec_lo
	s_and_not1_b32 s39, s39, exec_lo
	s_and_b32 s27, s27, exec_lo
	s_or_b32 s41, s1, s41
	s_or_b32 s39, s39, s27
	s_and_not1_b32 s1, s40, exec_lo
	s_and_b32 s26, s26, exec_lo
	s_and_not1_b32 s27, s38, exec_lo
	s_and_b32 s25, s25, exec_lo
	s_mov_b32 s0, -1
	s_or_b32 s40, s1, s26
	s_or_b32 s38, s27, s25
	s_and_saveexec_b32 s1, s24
	s_cbranch_execz .LBB120_2
; %bb.109:                              ;   in Loop: Header=BB120_3 Depth=1
	v_add_co_u32 v4, vcc_lo, v4, s31
	v_add_co_ci_u32_e32 v5, vcc_lo, 0, v5, vcc_lo
	s_and_not1_b32 s41, s41, exec_lo
	s_and_not1_b32 s39, s39, exec_lo
	;; [unrolled: 1-line block ×3, first 2 shown]
	s_delay_alu instid0(VALU_DEP_1)
	v_cmp_le_u64_e32 vcc_lo, s[4:5], v[4:5]
	s_and_not1_b32 s38, s38, exec_lo
	s_or_not1_b32 s0, vcc_lo, exec_lo
	s_branch .LBB120_2
.LBB120_110:
	s_or_b32 exec_lo, exec_lo, s19
	s_xor_b32 s3, s36, -1
	s_xor_b32 s4, s37, -1
	;; [unrolled: 1-line block ×3, first 2 shown]
	s_mov_b32 s1, 0
	s_and_saveexec_b32 s2, s0
	s_delay_alu instid0(SALU_CYCLE_1)
	s_xor_b32 s0, exec_lo, s2
	s_cbranch_execz .LBB120_119
; %bb.111:
	s_mov_b32 s2, 0
	s_and_saveexec_b32 s1, s4
	s_delay_alu instid0(SALU_CYCLE_1)
	s_xor_b32 s1, exec_lo, s1
	s_cbranch_execz .LBB120_117
; %bb.112:
	s_and_saveexec_b32 s4, s3
	s_delay_alu instid0(SALU_CYCLE_1)
	s_xor_b32 s3, exec_lo, s4
	s_cbranch_execz .LBB120_115
; %bb.113:
	s_and_saveexec_b32 s4, s18
	s_delay_alu instid0(SALU_CYCLE_1)
	s_xor_b32 s4, exec_lo, s4
	s_cbranch_execnz .LBB120_133
.LBB120_114:
	s_or_b32 exec_lo, exec_lo, s4
	s_delay_alu instid0(SALU_CYCLE_1)
	s_and_b32 s2, s2, exec_lo
.LBB120_115:
	s_and_not1_saveexec_b32 s3, s3
	s_cbranch_execnz .LBB120_129
.LBB120_116:
	s_or_b32 exec_lo, exec_lo, s3
	s_delay_alu instid0(SALU_CYCLE_1)
	s_and_b32 s2, s2, exec_lo
.LBB120_117:
	s_and_not1_saveexec_b32 s1, s1
	s_cbranch_execnz .LBB120_125
.LBB120_118:
	s_or_b32 exec_lo, exec_lo, s1
	s_delay_alu instid0(SALU_CYCLE_1)
	s_and_b32 s1, s2, exec_lo
.LBB120_119:
	s_and_not1_saveexec_b32 s0, s0
	s_cbranch_execnz .LBB120_123
; %bb.120:
	s_or_b32 exec_lo, exec_lo, s0
	s_delay_alu instid0(SALU_CYCLE_1)
	s_and_b32 exec_lo, exec_lo, s1
.LBB120_121:
	; divergent unreachable
.LBB120_122:
	s_nop 0
	s_sendmsg sendmsg(MSG_DEALLOC_VGPRS)
	s_endpgm
.LBB120_123:
	s_cbranch_execnz .LBB120_127
; %bb.124:
	s_or_b32 s1, s1, exec_lo
	s_or_b32 exec_lo, exec_lo, s0
	s_delay_alu instid0(SALU_CYCLE_1)
	s_and_b32 exec_lo, exec_lo, s1
	s_cbranch_execnz .LBB120_121
	s_branch .LBB120_122
.LBB120_125:
	s_cbranch_execnz .LBB120_131
; %bb.126:
	s_or_b32 s2, s2, exec_lo
	s_branch .LBB120_118
.LBB120_127:
	s_trap 2
	s_sendmsg_rtn_b32 s0, sendmsg(MSG_RTN_GET_DOORBELL)
	s_mov_b32 ttmp2, m0
	s_waitcnt lgkmcnt(0)
	s_and_b32 s0, s0, 0x3ff
	s_delay_alu instid0(SALU_CYCLE_1) | instskip(NEXT) | instid1(SALU_CYCLE_1)
	s_bitset1_b32 s0, 10
	s_mov_b32 m0, s0
	s_sendmsg sendmsg(MSG_INTERRUPT)
	s_mov_b32 m0, ttmp2
.LBB120_128:                            ; =>This Inner Loop Header: Depth=1
	s_sethalt 5
	s_branch .LBB120_128
.LBB120_129:
	s_cbranch_execnz .LBB120_135
; %bb.130:
	s_or_b32 s2, s2, exec_lo
	s_branch .LBB120_116
.LBB120_131:
	s_trap 2
	s_sendmsg_rtn_b32 s0, sendmsg(MSG_RTN_GET_DOORBELL)
	s_mov_b32 ttmp2, m0
	s_waitcnt lgkmcnt(0)
	s_and_b32 s0, s0, 0x3ff
	s_delay_alu instid0(SALU_CYCLE_1) | instskip(NEXT) | instid1(SALU_CYCLE_1)
	s_bitset1_b32 s0, 10
	s_mov_b32 m0, s0
	s_sendmsg sendmsg(MSG_INTERRUPT)
	s_mov_b32 m0, ttmp2
.LBB120_132:                            ; =>This Inner Loop Header: Depth=1
	s_sethalt 5
	s_branch .LBB120_132
.LBB120_133:
	s_cbranch_execnz .LBB120_137
; %bb.134:
	s_mov_b32 s2, exec_lo
	s_branch .LBB120_114
.LBB120_135:
	s_trap 2
	s_sendmsg_rtn_b32 s0, sendmsg(MSG_RTN_GET_DOORBELL)
	s_mov_b32 ttmp2, m0
	s_waitcnt lgkmcnt(0)
	s_and_b32 s0, s0, 0x3ff
	s_delay_alu instid0(SALU_CYCLE_1) | instskip(NEXT) | instid1(SALU_CYCLE_1)
	s_bitset1_b32 s0, 10
	s_mov_b32 m0, s0
	s_sendmsg sendmsg(MSG_INTERRUPT)
	s_mov_b32 m0, ttmp2
.LBB120_136:                            ; =>This Inner Loop Header: Depth=1
	s_sethalt 5
	s_branch .LBB120_136
.LBB120_137:
	s_trap 2
	s_sendmsg_rtn_b32 s0, sendmsg(MSG_RTN_GET_DOORBELL)
	s_mov_b32 ttmp2, m0
	s_waitcnt lgkmcnt(0)
	s_and_b32 s0, s0, 0x3ff
	s_delay_alu instid0(SALU_CYCLE_1) | instskip(NEXT) | instid1(SALU_CYCLE_1)
	s_bitset1_b32 s0, 10
	s_mov_b32 m0, s0
	s_sendmsg sendmsg(MSG_INTERRUPT)
	s_mov_b32 m0, ttmp2
.LBB120_138:                            ; =>This Inner Loop Header: Depth=1
	s_sethalt 5
	s_branch .LBB120_138
	.section	.rodata,"a",@progbits
	.p2align	6, 0x0
	.amdhsa_kernel _ZN2at4cuda12_GLOBAL__N_121kernelPointwiseApply2IZNS_6native9templates4cuda28bernoulli_tensor_cuda_kernelIbfEEvRKNS_10TensorBaseES9_NS_15PhiloxCudaStateEEUliRbSB_SB_SB_RKfSD_SD_SD_E_bSC_mLin1ELin1ELi4ELi512ELi2EEEvNS0_6detail10TensorInfoIT0_T2_EENSG_IT1_SI_EESI_T_
		.amdhsa_group_segment_fixed_size 0
		.amdhsa_private_segment_fixed_size 0
		.amdhsa_kernarg_size 1128
		.amdhsa_user_sgpr_count 15
		.amdhsa_user_sgpr_dispatch_ptr 0
		.amdhsa_user_sgpr_queue_ptr 0
		.amdhsa_user_sgpr_kernarg_segment_ptr 1
		.amdhsa_user_sgpr_dispatch_id 0
		.amdhsa_user_sgpr_private_segment_size 0
		.amdhsa_wavefront_size32 1
		.amdhsa_uses_dynamic_stack 0
		.amdhsa_enable_private_segment 0
		.amdhsa_system_sgpr_workgroup_id_x 1
		.amdhsa_system_sgpr_workgroup_id_y 0
		.amdhsa_system_sgpr_workgroup_id_z 0
		.amdhsa_system_sgpr_workgroup_info 0
		.amdhsa_system_vgpr_workitem_id 0
		.amdhsa_next_free_vgpr 44
		.amdhsa_next_free_sgpr 46
		.amdhsa_reserve_vcc 1
		.amdhsa_float_round_mode_32 0
		.amdhsa_float_round_mode_16_64 0
		.amdhsa_float_denorm_mode_32 3
		.amdhsa_float_denorm_mode_16_64 3
		.amdhsa_dx10_clamp 1
		.amdhsa_ieee_mode 1
		.amdhsa_fp16_overflow 0
		.amdhsa_workgroup_processor_mode 1
		.amdhsa_memory_ordered 1
		.amdhsa_forward_progress 0
		.amdhsa_shared_vgpr_count 0
		.amdhsa_exception_fp_ieee_invalid_op 0
		.amdhsa_exception_fp_denorm_src 0
		.amdhsa_exception_fp_ieee_div_zero 0
		.amdhsa_exception_fp_ieee_overflow 0
		.amdhsa_exception_fp_ieee_underflow 0
		.amdhsa_exception_fp_ieee_inexact 0
		.amdhsa_exception_int_div_zero 0
	.end_amdhsa_kernel
	.section	.text._ZN2at4cuda12_GLOBAL__N_121kernelPointwiseApply2IZNS_6native9templates4cuda28bernoulli_tensor_cuda_kernelIbfEEvRKNS_10TensorBaseES9_NS_15PhiloxCudaStateEEUliRbSB_SB_SB_RKfSD_SD_SD_E_bSC_mLin1ELin1ELi4ELi512ELi2EEEvNS0_6detail10TensorInfoIT0_T2_EENSG_IT1_SI_EESI_T_,"axG",@progbits,_ZN2at4cuda12_GLOBAL__N_121kernelPointwiseApply2IZNS_6native9templates4cuda28bernoulli_tensor_cuda_kernelIbfEEvRKNS_10TensorBaseES9_NS_15PhiloxCudaStateEEUliRbSB_SB_SB_RKfSD_SD_SD_E_bSC_mLin1ELin1ELi4ELi512ELi2EEEvNS0_6detail10TensorInfoIT0_T2_EENSG_IT1_SI_EESI_T_,comdat
.Lfunc_end120:
	.size	_ZN2at4cuda12_GLOBAL__N_121kernelPointwiseApply2IZNS_6native9templates4cuda28bernoulli_tensor_cuda_kernelIbfEEvRKNS_10TensorBaseES9_NS_15PhiloxCudaStateEEUliRbSB_SB_SB_RKfSD_SD_SD_E_bSC_mLin1ELin1ELi4ELi512ELi2EEEvNS0_6detail10TensorInfoIT0_T2_EENSG_IT1_SI_EESI_T_, .Lfunc_end120-_ZN2at4cuda12_GLOBAL__N_121kernelPointwiseApply2IZNS_6native9templates4cuda28bernoulli_tensor_cuda_kernelIbfEEvRKNS_10TensorBaseES9_NS_15PhiloxCudaStateEEUliRbSB_SB_SB_RKfSD_SD_SD_E_bSC_mLin1ELin1ELi4ELi512ELi2EEEvNS0_6detail10TensorInfoIT0_T2_EENSG_IT1_SI_EESI_T_
                                        ; -- End function
	.section	.AMDGPU.csdata,"",@progbits
; Kernel info:
; codeLenInByte = 12372
; NumSgprs: 48
; NumVgprs: 44
; ScratchSize: 0
; MemoryBound: 0
; FloatMode: 240
; IeeeMode: 1
; LDSByteSize: 0 bytes/workgroup (compile time only)
; SGPRBlocks: 5
; VGPRBlocks: 5
; NumSGPRsForWavesPerEU: 48
; NumVGPRsForWavesPerEU: 44
; Occupancy: 16
; WaveLimiterHint : 1
; COMPUTE_PGM_RSRC2:SCRATCH_EN: 0
; COMPUTE_PGM_RSRC2:USER_SGPR: 15
; COMPUTE_PGM_RSRC2:TRAP_HANDLER: 0
; COMPUTE_PGM_RSRC2:TGID_X_EN: 1
; COMPUTE_PGM_RSRC2:TGID_Y_EN: 0
; COMPUTE_PGM_RSRC2:TGID_Z_EN: 0
; COMPUTE_PGM_RSRC2:TIDIG_COMP_CNT: 0
	.section	.text._ZN2at6native12_GLOBAL__N_143distribution_elementwise_grid_stride_kernelIfLi4EZNS0_9templates4cuda21uniform_and_transformIhfPNS_17CUDAGeneratorImplEZZZNS4_16bernoulli_kernelIS7_EEvRNS_18TensorIteratorBaseEdT_ENKUlvE_clEvENKUlvE_clEvEUlfE_EEvSA_T1_T2_EUlP25hiprandStatePhilox4_32_10E_ZNS1_27distribution_nullary_kernelIhf15HIP_vector_typeIdLj2EES7_SJ_SE_EEvSA_SG_RKT3_T4_EUlifE_EEvlNS_15PhiloxCudaStateESF_SG_,"axG",@progbits,_ZN2at6native12_GLOBAL__N_143distribution_elementwise_grid_stride_kernelIfLi4EZNS0_9templates4cuda21uniform_and_transformIhfPNS_17CUDAGeneratorImplEZZZNS4_16bernoulli_kernelIS7_EEvRNS_18TensorIteratorBaseEdT_ENKUlvE_clEvENKUlvE_clEvEUlfE_EEvSA_T1_T2_EUlP25hiprandStatePhilox4_32_10E_ZNS1_27distribution_nullary_kernelIhf15HIP_vector_typeIdLj2EES7_SJ_SE_EEvSA_SG_RKT3_T4_EUlifE_EEvlNS_15PhiloxCudaStateESF_SG_,comdat
	.globl	_ZN2at6native12_GLOBAL__N_143distribution_elementwise_grid_stride_kernelIfLi4EZNS0_9templates4cuda21uniform_and_transformIhfPNS_17CUDAGeneratorImplEZZZNS4_16bernoulli_kernelIS7_EEvRNS_18TensorIteratorBaseEdT_ENKUlvE_clEvENKUlvE_clEvEUlfE_EEvSA_T1_T2_EUlP25hiprandStatePhilox4_32_10E_ZNS1_27distribution_nullary_kernelIhf15HIP_vector_typeIdLj2EES7_SJ_SE_EEvSA_SG_RKT3_T4_EUlifE_EEvlNS_15PhiloxCudaStateESF_SG_ ; -- Begin function _ZN2at6native12_GLOBAL__N_143distribution_elementwise_grid_stride_kernelIfLi4EZNS0_9templates4cuda21uniform_and_transformIhfPNS_17CUDAGeneratorImplEZZZNS4_16bernoulli_kernelIS7_EEvRNS_18TensorIteratorBaseEdT_ENKUlvE_clEvENKUlvE_clEvEUlfE_EEvSA_T1_T2_EUlP25hiprandStatePhilox4_32_10E_ZNS1_27distribution_nullary_kernelIhf15HIP_vector_typeIdLj2EES7_SJ_SE_EEvSA_SG_RKT3_T4_EUlifE_EEvlNS_15PhiloxCudaStateESF_SG_
	.p2align	8
	.type	_ZN2at6native12_GLOBAL__N_143distribution_elementwise_grid_stride_kernelIfLi4EZNS0_9templates4cuda21uniform_and_transformIhfPNS_17CUDAGeneratorImplEZZZNS4_16bernoulli_kernelIS7_EEvRNS_18TensorIteratorBaseEdT_ENKUlvE_clEvENKUlvE_clEvEUlfE_EEvSA_T1_T2_EUlP25hiprandStatePhilox4_32_10E_ZNS1_27distribution_nullary_kernelIhf15HIP_vector_typeIdLj2EES7_SJ_SE_EEvSA_SG_RKT3_T4_EUlifE_EEvlNS_15PhiloxCudaStateESF_SG_,@function
_ZN2at6native12_GLOBAL__N_143distribution_elementwise_grid_stride_kernelIfLi4EZNS0_9templates4cuda21uniform_and_transformIhfPNS_17CUDAGeneratorImplEZZZNS4_16bernoulli_kernelIS7_EEvRNS_18TensorIteratorBaseEdT_ENKUlvE_clEvENKUlvE_clEvEUlfE_EEvSA_T1_T2_EUlP25hiprandStatePhilox4_32_10E_ZNS1_27distribution_nullary_kernelIhf15HIP_vector_typeIdLj2EES7_SJ_SE_EEvSA_SG_RKT3_T4_EUlifE_EEvlNS_15PhiloxCudaStateESF_SG_: ; @_ZN2at6native12_GLOBAL__N_143distribution_elementwise_grid_stride_kernelIfLi4EZNS0_9templates4cuda21uniform_and_transformIhfPNS_17CUDAGeneratorImplEZZZNS4_16bernoulli_kernelIS7_EEvRNS_18TensorIteratorBaseEdT_ENKUlvE_clEvENKUlvE_clEvEUlfE_EEvSA_T1_T2_EUlP25hiprandStatePhilox4_32_10E_ZNS1_27distribution_nullary_kernelIhf15HIP_vector_typeIdLj2EES7_SJ_SE_EEvSA_SG_RKT3_T4_EUlifE_EEvlNS_15PhiloxCudaStateESF_SG_
; %bb.0:
	s_clause 0x2
	s_load_b64 s[8:9], s[0:1], 0x10
	s_load_b128 s[4:7], s[0:1], 0x0
	s_load_b32 s2, s[0:1], 0x20
	s_waitcnt lgkmcnt(0)
	v_dual_mov_b32 v2, s8 :: v_dual_mov_b32 v3, s9
	v_dual_mov_b32 v12, s7 :: v_dual_mov_b32 v11, s6
	s_bitcmp0_b32 s2, 0
	s_mov_b32 s2, 0
	s_cbranch_scc1 .LBB121_2
; %bb.1:
	v_dual_mov_b32 v1, s8 :: v_dual_mov_b32 v2, s9
	v_dual_mov_b32 v4, s6 :: v_dual_mov_b32 v5, s7
	s_load_b64 s[6:7], s[0:1], 0x18
	flat_load_b64 v[2:3], v[1:2]
	flat_load_b64 v[11:12], v[4:5]
	s_waitcnt vmcnt(1) lgkmcnt(0)
	v_add_co_u32 v2, vcc_lo, v2, s6
	v_add_co_ci_u32_e32 v3, vcc_lo, s7, v3, vcc_lo
.LBB121_2:
	s_clause 0x1
	s_load_b32 s3, s[0:1], 0x54
	s_load_b32 s11, s[0:1], 0x48
	s_waitcnt lgkmcnt(0)
	s_and_b32 s10, s3, 0xffff
	s_add_u32 s6, s4, -1
	s_mul_i32 s8, s11, s10
	s_addc_u32 s3, s5, -1
	s_lshl_b32 s9, s8, 2
	s_cmp_lg_u64 s[2:3], 0
	s_cbranch_scc0 .LBB121_23
; %bb.3:
	v_cvt_f32_ubyte0_e32 v1, 0
	v_cvt_f32_u32_e32 v4, s9
	s_sub_u32 s12, 0, s9
	s_subb_u32 s13, 0, 0
	s_delay_alu instid0(VALU_DEP_1) | instskip(NEXT) | instid1(VALU_DEP_1)
	v_fmamk_f32 v1, v1, 0x4f800000, v4
	v_rcp_f32_e32 v1, v1
	s_waitcnt_depctr 0xfff
	v_mul_f32_e32 v1, 0x5f7ffffc, v1
	s_delay_alu instid0(VALU_DEP_1) | instskip(NEXT) | instid1(VALU_DEP_1)
	v_mul_f32_e32 v4, 0x2f800000, v1
	v_trunc_f32_e32 v4, v4
	s_delay_alu instid0(VALU_DEP_1) | instskip(SKIP_1) | instid1(VALU_DEP_2)
	v_fmamk_f32 v1, v4, 0xcf800000, v1
	v_cvt_u32_f32_e32 v4, v4
	v_cvt_u32_f32_e32 v1, v1
	s_delay_alu instid0(VALU_DEP_2) | instskip(NEXT) | instid1(VALU_DEP_2)
	v_readfirstlane_b32 s2, v4
	v_readfirstlane_b32 s7, v1
	s_delay_alu instid0(VALU_DEP_2) | instskip(NEXT) | instid1(VALU_DEP_1)
	s_mul_i32 s14, s12, s2
	s_mul_hi_u32 s17, s12, s7
	s_mul_i32 s16, s13, s7
	s_add_i32 s14, s17, s14
	s_mul_i32 s18, s12, s7
	s_add_i32 s14, s14, s16
	s_mul_hi_u32 s17, s7, s18
	s_mul_hi_u32 s19, s2, s18
	s_mul_i32 s16, s2, s18
	s_mul_hi_u32 s18, s7, s14
	s_mul_i32 s7, s7, s14
	s_mul_hi_u32 s20, s2, s14
	s_add_u32 s7, s17, s7
	s_addc_u32 s17, 0, s18
	s_add_u32 s7, s7, s16
	s_mul_i32 s14, s2, s14
	s_addc_u32 s7, s17, s19
	s_addc_u32 s16, s20, 0
	s_add_u32 s7, s7, s14
	s_addc_u32 s14, 0, s16
	v_add_co_u32 v1, s7, v1, s7
	s_delay_alu instid0(VALU_DEP_1) | instskip(SKIP_1) | instid1(VALU_DEP_1)
	s_cmp_lg_u32 s7, 0
	s_addc_u32 s2, s2, s14
	v_readfirstlane_b32 s7, v1
	s_mul_i32 s14, s12, s2
	s_delay_alu instid0(VALU_DEP_1)
	s_mul_hi_u32 s16, s12, s7
	s_mul_i32 s13, s13, s7
	s_add_i32 s14, s16, s14
	s_mul_i32 s12, s12, s7
	s_add_i32 s14, s14, s13
	s_mul_hi_u32 s16, s2, s12
	s_mul_i32 s17, s2, s12
	s_mul_hi_u32 s12, s7, s12
	s_mul_hi_u32 s18, s7, s14
	s_mul_i32 s7, s7, s14
	s_mul_hi_u32 s13, s2, s14
	s_add_u32 s7, s12, s7
	s_addc_u32 s12, 0, s18
	s_add_u32 s7, s7, s17
	s_mul_i32 s14, s2, s14
	s_addc_u32 s7, s12, s16
	s_addc_u32 s12, s13, 0
	s_add_u32 s7, s7, s14
	s_addc_u32 s12, 0, s12
	v_add_co_u32 v1, s7, v1, s7
	s_delay_alu instid0(VALU_DEP_1) | instskip(SKIP_2) | instid1(VALU_DEP_1)
	s_cmp_lg_u32 s7, 0
	s_addc_u32 s7, s2, s12
	s_ashr_i32 s12, s3, 31
	v_readfirstlane_b32 s14, v1
	s_add_u32 s2, s6, s12
	s_mov_b32 s13, s12
	s_addc_u32 s3, s3, s12
	s_delay_alu instid0(SALU_CYCLE_1) | instskip(NEXT) | instid1(SALU_CYCLE_1)
	s_xor_b64 s[2:3], s[2:3], s[12:13]
	s_mul_i32 s17, s2, s7
	s_mul_hi_u32 s18, s2, s14
	s_mul_hi_u32 s16, s2, s7
	;; [unrolled: 1-line block ×3, first 2 shown]
	s_mul_i32 s14, s3, s14
	s_add_u32 s17, s18, s17
	s_addc_u32 s16, 0, s16
	s_mul_hi_u32 s19, s3, s7
	s_add_u32 s14, s17, s14
	s_mul_i32 s7, s3, s7
	s_addc_u32 s14, s16, s20
	s_addc_u32 s16, s19, 0
	s_add_u32 s7, s14, s7
	s_addc_u32 s14, 0, s16
	s_mul_i32 s17, s9, s7
	s_add_u32 s16, s7, 1
	v_sub_co_u32 v1, s2, s2, s17
	s_mul_hi_u32 s17, s9, s7
	s_addc_u32 s18, s14, 0
	s_mul_i32 s19, s9, s14
	s_delay_alu instid0(VALU_DEP_1)
	v_sub_co_u32 v4, s20, v1, s9
	s_add_u32 s21, s7, 2
	s_addc_u32 s22, s14, 0
	s_add_i32 s17, s17, s19
	s_cmp_lg_u32 s2, 0
	v_readfirstlane_b32 s2, v4
	s_subb_u32 s3, s3, s17
	s_cmp_lg_u32 s20, 0
	s_subb_u32 s17, s3, 0
	s_delay_alu instid0(VALU_DEP_1) | instskip(SKIP_4) | instid1(SALU_CYCLE_1)
	s_cmp_ge_u32 s2, s9
	s_cselect_b32 s2, -1, 0
	s_cmp_eq_u32 s17, 0
	v_readfirstlane_b32 s17, v1
	s_cselect_b32 s2, s2, -1
	s_cmp_lg_u32 s2, 0
	s_cselect_b32 s2, s21, s16
	s_cselect_b32 s16, s22, s18
	s_cmp_ge_u32 s17, s9
	s_cselect_b32 s17, -1, 0
	s_cmp_eq_u32 s3, 0
	s_cselect_b32 s3, s17, -1
	s_delay_alu instid0(SALU_CYCLE_1) | instskip(SKIP_2) | instid1(SALU_CYCLE_1)
	s_cmp_lg_u32 s3, 0
	s_cselect_b32 s3, s16, s14
	s_cselect_b32 s2, s2, s7
	s_xor_b64 s[2:3], s[2:3], s[12:13]
	s_delay_alu instid0(SALU_CYCLE_1)
	s_sub_u32 s2, s2, s12
	s_subb_u32 s3, s3, s12
	s_cbranch_execnz .LBB121_5
.LBB121_4:
	v_cvt_f32_u32_e32 v1, s9
	s_sub_i32 s3, 0, s9
	s_delay_alu instid0(VALU_DEP_1) | instskip(SKIP_2) | instid1(VALU_DEP_1)
	v_rcp_iflag_f32_e32 v1, v1
	s_waitcnt_depctr 0xfff
	v_mul_f32_e32 v1, 0x4f7ffffe, v1
	v_cvt_u32_f32_e32 v1, v1
	s_delay_alu instid0(VALU_DEP_1) | instskip(NEXT) | instid1(VALU_DEP_1)
	v_readfirstlane_b32 s2, v1
	s_mul_i32 s3, s3, s2
	s_delay_alu instid0(SALU_CYCLE_1) | instskip(NEXT) | instid1(SALU_CYCLE_1)
	s_mul_hi_u32 s3, s2, s3
	s_add_i32 s2, s2, s3
	s_delay_alu instid0(SALU_CYCLE_1) | instskip(NEXT) | instid1(SALU_CYCLE_1)
	s_mul_hi_u32 s2, s6, s2
	s_mul_i32 s3, s2, s9
	s_delay_alu instid0(SALU_CYCLE_1)
	s_sub_i32 s3, s6, s3
	s_add_i32 s6, s2, 1
	s_sub_i32 s7, s3, s9
	s_cmp_ge_u32 s3, s9
	s_cselect_b32 s2, s6, s2
	s_cselect_b32 s3, s7, s3
	s_add_i32 s6, s2, 1
	s_cmp_ge_u32 s3, s9
	s_mov_b32 s3, 0
	s_cselect_b32 s2, s6, s2
.LBB121_5:
	v_mov_b32_e32 v1, 0
	s_add_u32 s2, s2, 1
	s_addc_u32 s3, s3, 0
	s_mul_hi_u32 s6, s8, s2
	s_mul_i32 s3, s8, s3
	v_mad_u64_u32 v[13:14], null, s10, s15, v[0:1]
	s_mul_hi_u32 s7, s11, s10
	s_add_i32 s3, s6, s3
	s_mul_i32 s7, s7, s2
	s_mul_i32 s2, s8, s2
	s_add_i32 s3, s3, s7
	s_mov_b32 s6, exec_lo
	s_lshl_b64 s[2:3], s[2:3], 2
	s_delay_alu instid0(SALU_CYCLE_1)
	v_cmpx_gt_i64_e64 s[2:3], v[13:14]
	s_cbranch_execz .LBB121_22
; %bb.6:
	v_alignbit_b32 v17, v3, v2, 2
	v_mad_u64_u32 v[6:7], null, 0xcd9e8d57, v13, 0
	v_lshrrev_b32_e32 v18, 2, v3
	s_waitcnt vmcnt(0)
	v_dual_mov_b32 v15, v12 :: v_dual_and_b32 v34, 3, v2
	v_mad_u64_u32 v[4:5], null, 0xd2511f53, v17, 0
	v_add_co_u32 v20, null, 0x9e3779b9, v11
	v_xor3_b32 v3, v11, v7, v18
	s_delay_alu instid0(VALU_DEP_4) | instskip(SKIP_2) | instid1(VALU_DEP_4)
	v_add_co_u32 v19, null, 0xbb67ae85, v15
	v_add_co_u32 v21, null, 0x3c6ef372, v11
	v_xor_b32_e32 v1, v5, v12
	v_mad_u64_u32 v[7:8], null, 0xd2511f53, v3, 0
	v_add_co_u32 v22, null, 0x76cf5d0a, v15
	s_delay_alu instid0(VALU_DEP_3) | instskip(SKIP_2) | instid1(VALU_DEP_3)
	v_xor_b32_e32 v1, v1, v14
	v_add_co_u32 v23, null, 0x32370b8f, v15
	v_add_co_u32 v24, null, 0xdaa66d2b, v11
	v_mad_u64_u32 v[9:10], null, 0xcd9e8d57, v1, 0
	v_xor3_b32 v1, v19, v8, v4
	v_add_co_u32 v25, null, 0x78dde6e4, v11
	v_add_co_u32 v26, null, 0xed9eba14, v15
	s_delay_alu instid0(VALU_DEP_3) | instskip(SKIP_3) | instid1(VALU_DEP_3)
	v_mad_u64_u32 v[3:4], null, 0xcd9e8d57, v1, 0
	v_xor3_b32 v8, v20, v10, v6
	v_add_co_u32 v27, null, 0xa9066899, v15
	v_add_co_u32 v28, null, 0x1715609d, v11
	v_mad_u64_u32 v[5:6], null, 0xd2511f53, v8, 0
	v_xor3_b32 v1, v21, v4, v9
	s_load_b64 s[12:13], s[0:1], 0x40
	v_add_co_u32 v29, null, 0xb54cda56, v11
	v_add_co_u32 v30, null, 0x646e171e, v15
	s_delay_alu instid0(VALU_DEP_4) | instskip(SKIP_2) | instid1(VALU_DEP_3)
	v_xor3_b32 v4, v22, v6, v7
	v_mad_u64_u32 v[6:7], null, 0xd2511f53, v1, 0
	v_add_co_u32 v31, null, 0x1fd5c5a3, v15
	v_mad_u64_u32 v[8:9], null, 0xcd9e8d57, v4, 0
	v_add_co_u32 v32, null, 0x5384540f, v11
	s_delay_alu instid0(VALU_DEP_4) | instskip(SKIP_4) | instid1(VALU_DEP_4)
	v_xor3_b32 v1, v23, v7, v5
	s_clause 0x1
	s_load_b64 s[6:7], s[0:1], 0x30
	s_load_b32 s0, s[0:1], 0x38
	v_add_co_u32 v36, null, 0xf1bbcdc8, v11
	v_xor3_b32 v5, v24, v9, v3
	v_mad_u64_u32 v[3:4], null, 0xcd9e8d57, v1, 0
	s_waitcnt lgkmcnt(0)
	v_cvt_f32_f64_e32 v33, s[12:13]
	v_add_co_u32 v37, null, 0xdb3d7428, v15
	v_mad_u64_u32 v[9:10], null, 0xd2511f53, v5, 0
	v_dual_mov_b32 v42, v14 :: v_dual_add_nc_u32 v35, 0x8ff34781, v11
	v_xor3_b32 v1, v25, v4, v8
	v_dual_mov_b32 v39, v13 :: v_dual_add_nc_u32 v38, 0x96a522ad, v12
	s_delay_alu instid0(VALU_DEP_4) | instskip(NEXT) | instid1(VALU_DEP_3)
	v_xor3_b32 v8, v26, v10, v6
	v_mad_u64_u32 v[4:5], null, 0xd2511f53, v1, 0
	s_mul_i32 s1, s11, s0
	s_delay_alu instid0(VALU_DEP_2) | instskip(SKIP_1) | instid1(VALU_DEP_2)
	v_mad_u64_u32 v[6:7], null, 0xcd9e8d57, v8, 0
	s_mul_i32 s1, s1, s10
	v_xor3_b32 v1, v27, v5, v9
	s_lshl_b32 s1, s1, 2
	s_delay_alu instid0(VALU_DEP_2) | instskip(NEXT) | instid1(VALU_DEP_2)
	v_xor3_b32 v3, v28, v7, v3
	v_mad_u64_u32 v[7:8], null, 0xcd9e8d57, v1, 0
	s_delay_alu instid0(VALU_DEP_2) | instskip(NEXT) | instid1(VALU_DEP_2)
	v_mad_u64_u32 v[9:10], null, 0xd2511f53, v3, 0
	v_xor3_b32 v1, v29, v8, v6
	s_delay_alu instid0(VALU_DEP_2) | instskip(NEXT) | instid1(VALU_DEP_2)
	v_xor3_b32 v8, v30, v10, v4
	v_mad_u64_u32 v[3:4], null, 0xd2511f53, v1, 0
	s_delay_alu instid0(VALU_DEP_2) | instskip(NEXT) | instid1(VALU_DEP_2)
	v_mad_u64_u32 v[5:6], null, 0xcd9e8d57, v8, 0
	v_xor3_b32 v1, v31, v4, v9
	s_delay_alu instid0(VALU_DEP_2) | instskip(NEXT) | instid1(VALU_DEP_2)
	v_xor3_b32 v2, v32, v6, v7
	v_mad_u64_u32 v[6:7], null, 0xcd9e8d57, v1, 0
	v_mad_u64_u32 v[15:16], null, s15, s10, v[0:1]
	s_delay_alu instid0(VALU_DEP_3) | instskip(SKIP_1) | instid1(VALU_DEP_3)
	v_mad_u64_u32 v[8:9], null, 0xd2511f53, v2, 0
	s_add_i32 s15, s15, s11
	v_xor3_b32 v1, v36, v7, v5
	s_delay_alu instid0(VALU_DEP_3) | instskip(NEXT) | instid1(VALU_DEP_3)
	v_mul_lo_u32 v40, s0, v15
	v_xor3_b32 v7, v37, v9, v3
	s_delay_alu instid0(VALU_DEP_3) | instskip(SKIP_1) | instid1(VALU_DEP_3)
	v_mad_u64_u32 v[3:4], null, s15, s10, v[0:1]
	v_mad_u64_u32 v[4:5], null, 0xd2511f53, v1, 0
	;; [unrolled: 1-line block ×3, first 2 shown]
	s_mov_b32 s10, 0
	s_delay_alu instid0(VALU_DEP_3) | instskip(SKIP_1) | instid1(VALU_DEP_3)
	v_mul_lo_u32 v41, s0, v3
	s_mov_b32 s0, 0
	v_mov_b32_e32 v3, v4
	s_delay_alu instid0(VALU_DEP_3)
	v_xor3_b32 v0, v2, v6, v35
	v_xor3_b32 v2, v5, v8, v38
	s_branch .LBB121_8
.LBB121_7:                              ;   in Loop: Header=BB121_8 Depth=1
	s_or_b32 exec_lo, exec_lo, s11
	v_add_co_u32 v13, vcc_lo, v13, s9
	v_add_co_ci_u32_e32 v14, vcc_lo, 0, v14, vcc_lo
	v_mov_b32_e32 v7, v15
	v_dual_mov_b32 v0, v4 :: v_dual_mov_b32 v1, v5
	s_delay_alu instid0(VALU_DEP_3) | instskip(NEXT) | instid1(VALU_DEP_3)
	v_cmp_le_i64_e32 vcc_lo, s[2:3], v[13:14]
	v_dual_mov_b32 v2, v6 :: v_dual_mov_b32 v3, v7
	s_add_i32 s10, s10, s1
	s_waitcnt_vscnt null, 0x0
	s_barrier
	s_or_b32 s0, vcc_lo, s0
	buffer_gl0_inv
	s_and_not1_b32 exec_lo, exec_lo, s0
	s_cbranch_execz .LBB121_22
.LBB121_8:                              ; =>This Inner Loop Header: Depth=1
	v_add_co_u32 v17, vcc_lo, v17, 1
	s_delay_alu instid0(VALU_DEP_1) | instskip(SKIP_2) | instid1(VALU_DEP_1)
	v_cndmask_b32_e64 v4, 0, 1, vcc_lo
	v_add_co_ci_u32_e32 v18, vcc_lo, 0, v18, vcc_lo
	s_mov_b32 s11, exec_lo
	v_cmp_eq_u32_e32 vcc_lo, 0, v18
	s_delay_alu instid0(VALU_DEP_3) | instskip(NEXT) | instid1(VALU_DEP_1)
	v_cndmask_b32_e32 v4, 0, v4, vcc_lo
	v_add_nc_u32_e32 v39, v4, v39
	s_delay_alu instid0(VALU_DEP_1) | instskip(SKIP_2) | instid1(VALU_DEP_2)
	v_cmp_eq_u32_e32 vcc_lo, 0, v39
	v_cndmask_b32_e32 v4, 0, v4, vcc_lo
	v_mad_u64_u32 v[6:7], null, 0xcd9e8d57, v39, 0
	v_add_nc_u32_e32 v42, v4, v42
	v_mad_u64_u32 v[4:5], null, 0xd2511f53, v17, 0
	s_delay_alu instid0(VALU_DEP_3) | instskip(NEXT) | instid1(VALU_DEP_2)
	v_xor3_b32 v9, v7, v11, v18
	v_xor_b32_e32 v5, v5, v12
	s_delay_alu instid0(VALU_DEP_2) | instskip(NEXT) | instid1(VALU_DEP_2)
	v_mad_u64_u32 v[7:8], null, 0xd2511f53, v9, 0
	v_xor_b32_e32 v5, v42, v5
	s_delay_alu instid0(VALU_DEP_2) | instskip(NEXT) | instid1(VALU_DEP_2)
	v_xor3_b32 v8, v19, v8, v4
	v_mad_u64_u32 v[9:10], null, 0xcd9e8d57, v5, 0
	s_delay_alu instid0(VALU_DEP_2) | instskip(NEXT) | instid1(VALU_DEP_2)
	v_mad_u64_u32 v[4:5], null, 0xcd9e8d57, v8, 0
	v_xor3_b32 v6, v20, v10, v6
	s_delay_alu instid0(VALU_DEP_2) | instskip(NEXT) | instid1(VALU_DEP_2)
	v_xor3_b32 v8, v21, v5, v9
	v_mad_u64_u32 v[15:16], null, 0xd2511f53, v6, 0
	s_delay_alu instid0(VALU_DEP_2) | instskip(NEXT) | instid1(VALU_DEP_2)
	v_mad_u64_u32 v[5:6], null, 0xd2511f53, v8, 0
	v_xor3_b32 v9, v22, v16, v7
	s_delay_alu instid0(VALU_DEP_2) | instskip(NEXT) | instid1(VALU_DEP_2)
	v_xor3_b32 v6, v23, v6, v15
	v_mad_u64_u32 v[7:8], null, 0xcd9e8d57, v9, 0
	s_delay_alu instid0(VALU_DEP_1) | instskip(NEXT) | instid1(VALU_DEP_3)
	v_xor3_b32 v4, v24, v8, v4
	v_mad_u64_u32 v[8:9], null, 0xcd9e8d57, v6, 0
	s_delay_alu instid0(VALU_DEP_2) | instskip(NEXT) | instid1(VALU_DEP_2)
	v_mad_u64_u32 v[15:16], null, 0xd2511f53, v4, 0
	v_xor3_b32 v6, v25, v9, v7
	s_delay_alu instid0(VALU_DEP_2) | instskip(NEXT) | instid1(VALU_DEP_2)
	v_xor3_b32 v9, v26, v16, v5
	v_mad_u64_u32 v[4:5], null, 0xd2511f53, v6, 0
	s_delay_alu instid0(VALU_DEP_2) | instskip(NEXT) | instid1(VALU_DEP_2)
	v_mad_u64_u32 v[6:7], null, 0xcd9e8d57, v9, 0
	v_xor3_b32 v5, v27, v5, v15
	s_delay_alu instid0(VALU_DEP_2) | instskip(NEXT) | instid1(VALU_DEP_2)
	;; [unrolled: 6-line block ×6, first 2 shown]
	v_xor3_b32 v4, v6, v7, v35
	v_mov_b32_e32 v6, v10
	v_cmpx_lt_i32_e32 1, v34
	s_xor_b32 s11, exec_lo, s11
	s_cbranch_execnz .LBB121_14
; %bb.9:                                ;   in Loop: Header=BB121_8 Depth=1
	s_and_not1_saveexec_b32 s11, s11
	s_cbranch_execnz .LBB121_19
.LBB121_10:                             ;   in Loop: Header=BB121_8 Depth=1
	s_or_b32 exec_lo, exec_lo, s11
	s_delay_alu instid0(SALU_CYCLE_1)
	s_mov_b32 s11, exec_lo
	v_cmpx_gt_i64_e64 s[4:5], v[13:14]
	s_cbranch_execz .LBB121_12
.LBB121_11:                             ;   in Loop: Header=BB121_8 Depth=1
	v_lshrrev_b32_e32 v1, 11, v1
	s_delay_alu instid0(VALU_DEP_1) | instskip(SKIP_1) | instid1(VALU_DEP_2)
	v_cvt_f64_u32_e32 v[7:8], v1
	v_cvt_f64_u32_e32 v[0:1], v0
	v_ldexp_f64 v[7:8], v[7:8], 32
	s_delay_alu instid0(VALU_DEP_1) | instskip(NEXT) | instid1(VALU_DEP_1)
	v_add_f64 v[0:1], v[7:8], v[0:1]
	v_fma_f64 v[0:1], 0x3ca00000, v[0:1], 0x3ca00000
	s_delay_alu instid0(VALU_DEP_1) | instskip(SKIP_1) | instid1(VALU_DEP_1)
	v_cvt_f32_f64_e32 v7, v[0:1]
	v_add_nc_u32_e32 v0, s10, v40
	v_ashrrev_i32_e32 v1, 31, v0
	v_add_co_u32 v0, vcc_lo, s6, v0
	s_delay_alu instid0(VALU_DEP_2)
	v_add_co_ci_u32_e32 v1, vcc_lo, s7, v1, vcc_lo
	v_cmp_gt_f32_e32 vcc_lo, v33, v7
	v_cndmask_b32_e64 v7, 0, 1, vcc_lo
	global_store_b8 v[0:1], v7, off
.LBB121_12:                             ;   in Loop: Header=BB121_8 Depth=1
	s_or_b32 exec_lo, exec_lo, s11
	v_add_co_u32 v0, vcc_lo, s8, v13
	v_add_co_ci_u32_e32 v1, vcc_lo, 0, v14, vcc_lo
	s_mov_b32 s11, exec_lo
	s_delay_alu instid0(VALU_DEP_1)
	v_cmpx_gt_i64_e64 s[4:5], v[0:1]
	s_cbranch_execz .LBB121_7
; %bb.13:                               ;   in Loop: Header=BB121_8 Depth=1
	v_lshrrev_b32_e32 v0, 11, v3
	v_cvt_f64_u32_e32 v[2:3], v2
	s_delay_alu instid0(VALU_DEP_2) | instskip(NEXT) | instid1(VALU_DEP_1)
	v_cvt_f64_u32_e32 v[0:1], v0
	v_ldexp_f64 v[0:1], v[0:1], 32
	s_delay_alu instid0(VALU_DEP_1) | instskip(NEXT) | instid1(VALU_DEP_1)
	v_add_f64 v[0:1], v[0:1], v[2:3]
	v_fma_f64 v[0:1], 0x3ca00000, v[0:1], 0x3ca00000
	s_delay_alu instid0(VALU_DEP_1) | instskip(SKIP_1) | instid1(VALU_DEP_1)
	v_cvt_f32_f64_e32 v2, v[0:1]
	v_add_nc_u32_e32 v0, s10, v41
	v_ashrrev_i32_e32 v1, 31, v0
	v_add_co_u32 v0, vcc_lo, s6, v0
	s_delay_alu instid0(VALU_DEP_2)
	v_add_co_ci_u32_e32 v1, vcc_lo, s7, v1, vcc_lo
	v_cmp_gt_f32_e32 vcc_lo, v33, v2
	v_cndmask_b32_e64 v2, 0, 1, vcc_lo
	global_store_b8 v[0:1], v2, off
	s_branch .LBB121_7
.LBB121_14:                             ;   in Loop: Header=BB121_8 Depth=1
	s_mov_b32 s12, exec_lo
	v_cmpx_lt_i32_e32 2, v34
	s_xor_b32 s12, exec_lo, s12
; %bb.15:                               ;   in Loop: Header=BB121_8 Depth=1
	v_dual_mov_b32 v7, v3 :: v_dual_mov_b32 v8, v4
	v_mov_b32_e32 v9, v5
	s_delay_alu instid0(VALU_DEP_2) | instskip(NEXT) | instid1(VALU_DEP_2)
	v_dual_mov_b32 v0, v7 :: v_dual_mov_b32 v1, v8
	v_dual_mov_b32 v2, v9 :: v_dual_mov_b32 v3, v10
; %bb.16:                               ;   in Loop: Header=BB121_8 Depth=1
	s_and_not1_saveexec_b32 s12, s12
; %bb.17:                               ;   in Loop: Header=BB121_8 Depth=1
	s_delay_alu instid0(VALU_DEP_1)
	v_dual_mov_b32 v0, v2 :: v_dual_mov_b32 v1, v3
	v_dual_mov_b32 v2, v4 :: v_dual_mov_b32 v3, v5
; %bb.18:                               ;   in Loop: Header=BB121_8 Depth=1
	s_or_b32 exec_lo, exec_lo, s12
	s_and_not1_saveexec_b32 s11, s11
	s_cbranch_execz .LBB121_10
.LBB121_19:                             ;   in Loop: Header=BB121_8 Depth=1
	s_mov_b32 s12, exec_lo
	v_cmpx_eq_u32_e32 1, v34
; %bb.20:                               ;   in Loop: Header=BB121_8 Depth=1
	v_dual_mov_b32 v0, v1 :: v_dual_mov_b32 v1, v2
	v_dual_mov_b32 v2, v3 :: v_dual_mov_b32 v3, v4
; %bb.21:                               ;   in Loop: Header=BB121_8 Depth=1
	s_or_b32 exec_lo, exec_lo, s12
	s_delay_alu instid0(SALU_CYCLE_1) | instskip(NEXT) | instid1(SALU_CYCLE_1)
	s_or_b32 exec_lo, exec_lo, s11
	s_mov_b32 s11, exec_lo
	v_cmpx_gt_i64_e64 s[4:5], v[13:14]
	s_cbranch_execnz .LBB121_11
	s_branch .LBB121_12
.LBB121_22:
	s_endpgm
.LBB121_23:
                                        ; implicit-def: $sgpr2_sgpr3
	s_branch .LBB121_4
	.section	.rodata,"a",@progbits
	.p2align	6, 0x0
	.amdhsa_kernel _ZN2at6native12_GLOBAL__N_143distribution_elementwise_grid_stride_kernelIfLi4EZNS0_9templates4cuda21uniform_and_transformIhfPNS_17CUDAGeneratorImplEZZZNS4_16bernoulli_kernelIS7_EEvRNS_18TensorIteratorBaseEdT_ENKUlvE_clEvENKUlvE_clEvEUlfE_EEvSA_T1_T2_EUlP25hiprandStatePhilox4_32_10E_ZNS1_27distribution_nullary_kernelIhf15HIP_vector_typeIdLj2EES7_SJ_SE_EEvSA_SG_RKT3_T4_EUlifE_EEvlNS_15PhiloxCudaStateESF_SG_
		.amdhsa_group_segment_fixed_size 0
		.amdhsa_private_segment_fixed_size 0
		.amdhsa_kernarg_size 328
		.amdhsa_user_sgpr_count 15
		.amdhsa_user_sgpr_dispatch_ptr 0
		.amdhsa_user_sgpr_queue_ptr 0
		.amdhsa_user_sgpr_kernarg_segment_ptr 1
		.amdhsa_user_sgpr_dispatch_id 0
		.amdhsa_user_sgpr_private_segment_size 0
		.amdhsa_wavefront_size32 1
		.amdhsa_uses_dynamic_stack 0
		.amdhsa_enable_private_segment 0
		.amdhsa_system_sgpr_workgroup_id_x 1
		.amdhsa_system_sgpr_workgroup_id_y 0
		.amdhsa_system_sgpr_workgroup_id_z 0
		.amdhsa_system_sgpr_workgroup_info 0
		.amdhsa_system_vgpr_workitem_id 0
		.amdhsa_next_free_vgpr 43
		.amdhsa_next_free_sgpr 23
		.amdhsa_reserve_vcc 1
		.amdhsa_float_round_mode_32 0
		.amdhsa_float_round_mode_16_64 0
		.amdhsa_float_denorm_mode_32 3
		.amdhsa_float_denorm_mode_16_64 3
		.amdhsa_dx10_clamp 1
		.amdhsa_ieee_mode 1
		.amdhsa_fp16_overflow 0
		.amdhsa_workgroup_processor_mode 1
		.amdhsa_memory_ordered 1
		.amdhsa_forward_progress 0
		.amdhsa_shared_vgpr_count 0
		.amdhsa_exception_fp_ieee_invalid_op 0
		.amdhsa_exception_fp_denorm_src 0
		.amdhsa_exception_fp_ieee_div_zero 0
		.amdhsa_exception_fp_ieee_overflow 0
		.amdhsa_exception_fp_ieee_underflow 0
		.amdhsa_exception_fp_ieee_inexact 0
		.amdhsa_exception_int_div_zero 0
	.end_amdhsa_kernel
	.section	.text._ZN2at6native12_GLOBAL__N_143distribution_elementwise_grid_stride_kernelIfLi4EZNS0_9templates4cuda21uniform_and_transformIhfPNS_17CUDAGeneratorImplEZZZNS4_16bernoulli_kernelIS7_EEvRNS_18TensorIteratorBaseEdT_ENKUlvE_clEvENKUlvE_clEvEUlfE_EEvSA_T1_T2_EUlP25hiprandStatePhilox4_32_10E_ZNS1_27distribution_nullary_kernelIhf15HIP_vector_typeIdLj2EES7_SJ_SE_EEvSA_SG_RKT3_T4_EUlifE_EEvlNS_15PhiloxCudaStateESF_SG_,"axG",@progbits,_ZN2at6native12_GLOBAL__N_143distribution_elementwise_grid_stride_kernelIfLi4EZNS0_9templates4cuda21uniform_and_transformIhfPNS_17CUDAGeneratorImplEZZZNS4_16bernoulli_kernelIS7_EEvRNS_18TensorIteratorBaseEdT_ENKUlvE_clEvENKUlvE_clEvEUlfE_EEvSA_T1_T2_EUlP25hiprandStatePhilox4_32_10E_ZNS1_27distribution_nullary_kernelIhf15HIP_vector_typeIdLj2EES7_SJ_SE_EEvSA_SG_RKT3_T4_EUlifE_EEvlNS_15PhiloxCudaStateESF_SG_,comdat
.Lfunc_end121:
	.size	_ZN2at6native12_GLOBAL__N_143distribution_elementwise_grid_stride_kernelIfLi4EZNS0_9templates4cuda21uniform_and_transformIhfPNS_17CUDAGeneratorImplEZZZNS4_16bernoulli_kernelIS7_EEvRNS_18TensorIteratorBaseEdT_ENKUlvE_clEvENKUlvE_clEvEUlfE_EEvSA_T1_T2_EUlP25hiprandStatePhilox4_32_10E_ZNS1_27distribution_nullary_kernelIhf15HIP_vector_typeIdLj2EES7_SJ_SE_EEvSA_SG_RKT3_T4_EUlifE_EEvlNS_15PhiloxCudaStateESF_SG_, .Lfunc_end121-_ZN2at6native12_GLOBAL__N_143distribution_elementwise_grid_stride_kernelIfLi4EZNS0_9templates4cuda21uniform_and_transformIhfPNS_17CUDAGeneratorImplEZZZNS4_16bernoulli_kernelIS7_EEvRNS_18TensorIteratorBaseEdT_ENKUlvE_clEvENKUlvE_clEvEUlfE_EEvSA_T1_T2_EUlP25hiprandStatePhilox4_32_10E_ZNS1_27distribution_nullary_kernelIhf15HIP_vector_typeIdLj2EES7_SJ_SE_EEvSA_SG_RKT3_T4_EUlifE_EEvlNS_15PhiloxCudaStateESF_SG_
                                        ; -- End function
	.section	.AMDGPU.csdata,"",@progbits
; Kernel info:
; codeLenInByte = 2760
; NumSgprs: 25
; NumVgprs: 43
; ScratchSize: 0
; MemoryBound: 0
; FloatMode: 240
; IeeeMode: 1
; LDSByteSize: 0 bytes/workgroup (compile time only)
; SGPRBlocks: 3
; VGPRBlocks: 5
; NumSGPRsForWavesPerEU: 25
; NumVGPRsForWavesPerEU: 43
; Occupancy: 16
; WaveLimiterHint : 0
; COMPUTE_PGM_RSRC2:SCRATCH_EN: 0
; COMPUTE_PGM_RSRC2:USER_SGPR: 15
; COMPUTE_PGM_RSRC2:TRAP_HANDLER: 0
; COMPUTE_PGM_RSRC2:TGID_X_EN: 1
; COMPUTE_PGM_RSRC2:TGID_Y_EN: 0
; COMPUTE_PGM_RSRC2:TGID_Z_EN: 0
; COMPUTE_PGM_RSRC2:TIDIG_COMP_CNT: 0
	.section	.text._ZN2at6native12_GLOBAL__N_143distribution_elementwise_grid_stride_kernelIfLi4EZNS0_9templates4cuda21uniform_and_transformIhfPNS_17CUDAGeneratorImplEZZZNS4_16bernoulli_kernelIS7_EEvRNS_18TensorIteratorBaseEdT_ENKUlvE_clEvENKUlvE_clEvEUlfE_EEvSA_T1_T2_EUlP25hiprandStatePhilox4_32_10E_ZNS1_27distribution_nullary_kernelIhf15HIP_vector_typeIdLj2EES7_SJ_SE_EEvSA_SG_RKT3_T4_EUlifE0_EEvlNS_15PhiloxCudaStateESF_SG_,"axG",@progbits,_ZN2at6native12_GLOBAL__N_143distribution_elementwise_grid_stride_kernelIfLi4EZNS0_9templates4cuda21uniform_and_transformIhfPNS_17CUDAGeneratorImplEZZZNS4_16bernoulli_kernelIS7_EEvRNS_18TensorIteratorBaseEdT_ENKUlvE_clEvENKUlvE_clEvEUlfE_EEvSA_T1_T2_EUlP25hiprandStatePhilox4_32_10E_ZNS1_27distribution_nullary_kernelIhf15HIP_vector_typeIdLj2EES7_SJ_SE_EEvSA_SG_RKT3_T4_EUlifE0_EEvlNS_15PhiloxCudaStateESF_SG_,comdat
	.globl	_ZN2at6native12_GLOBAL__N_143distribution_elementwise_grid_stride_kernelIfLi4EZNS0_9templates4cuda21uniform_and_transformIhfPNS_17CUDAGeneratorImplEZZZNS4_16bernoulli_kernelIS7_EEvRNS_18TensorIteratorBaseEdT_ENKUlvE_clEvENKUlvE_clEvEUlfE_EEvSA_T1_T2_EUlP25hiprandStatePhilox4_32_10E_ZNS1_27distribution_nullary_kernelIhf15HIP_vector_typeIdLj2EES7_SJ_SE_EEvSA_SG_RKT3_T4_EUlifE0_EEvlNS_15PhiloxCudaStateESF_SG_ ; -- Begin function _ZN2at6native12_GLOBAL__N_143distribution_elementwise_grid_stride_kernelIfLi4EZNS0_9templates4cuda21uniform_and_transformIhfPNS_17CUDAGeneratorImplEZZZNS4_16bernoulli_kernelIS7_EEvRNS_18TensorIteratorBaseEdT_ENKUlvE_clEvENKUlvE_clEvEUlfE_EEvSA_T1_T2_EUlP25hiprandStatePhilox4_32_10E_ZNS1_27distribution_nullary_kernelIhf15HIP_vector_typeIdLj2EES7_SJ_SE_EEvSA_SG_RKT3_T4_EUlifE0_EEvlNS_15PhiloxCudaStateESF_SG_
	.p2align	8
	.type	_ZN2at6native12_GLOBAL__N_143distribution_elementwise_grid_stride_kernelIfLi4EZNS0_9templates4cuda21uniform_and_transformIhfPNS_17CUDAGeneratorImplEZZZNS4_16bernoulli_kernelIS7_EEvRNS_18TensorIteratorBaseEdT_ENKUlvE_clEvENKUlvE_clEvEUlfE_EEvSA_T1_T2_EUlP25hiprandStatePhilox4_32_10E_ZNS1_27distribution_nullary_kernelIhf15HIP_vector_typeIdLj2EES7_SJ_SE_EEvSA_SG_RKT3_T4_EUlifE0_EEvlNS_15PhiloxCudaStateESF_SG_,@function
_ZN2at6native12_GLOBAL__N_143distribution_elementwise_grid_stride_kernelIfLi4EZNS0_9templates4cuda21uniform_and_transformIhfPNS_17CUDAGeneratorImplEZZZNS4_16bernoulli_kernelIS7_EEvRNS_18TensorIteratorBaseEdT_ENKUlvE_clEvENKUlvE_clEvEUlfE_EEvSA_T1_T2_EUlP25hiprandStatePhilox4_32_10E_ZNS1_27distribution_nullary_kernelIhf15HIP_vector_typeIdLj2EES7_SJ_SE_EEvSA_SG_RKT3_T4_EUlifE0_EEvlNS_15PhiloxCudaStateESF_SG_: ; @_ZN2at6native12_GLOBAL__N_143distribution_elementwise_grid_stride_kernelIfLi4EZNS0_9templates4cuda21uniform_and_transformIhfPNS_17CUDAGeneratorImplEZZZNS4_16bernoulli_kernelIS7_EEvRNS_18TensorIteratorBaseEdT_ENKUlvE_clEvENKUlvE_clEvEUlfE_EEvSA_T1_T2_EUlP25hiprandStatePhilox4_32_10E_ZNS1_27distribution_nullary_kernelIhf15HIP_vector_typeIdLj2EES7_SJ_SE_EEvSA_SG_RKT3_T4_EUlifE0_EEvlNS_15PhiloxCudaStateESF_SG_
; %bb.0:
	s_clause 0x2
	s_load_b64 s[4:5], s[0:1], 0x10
	s_load_b128 s[16:19], s[0:1], 0x0
	s_load_b32 s2, s[0:1], 0x20
	s_waitcnt lgkmcnt(0)
	v_dual_mov_b32 v2, s4 :: v_dual_mov_b32 v3, s5
	v_dual_mov_b32 v11, s18 :: v_dual_mov_b32 v12, s19
	s_bitcmp0_b32 s2, 0
	s_mov_b32 s2, 0
	s_cbranch_scc1 .LBB122_2
; %bb.1:
	v_dual_mov_b32 v1, s4 :: v_dual_mov_b32 v2, s5
	v_dual_mov_b32 v4, s18 :: v_dual_mov_b32 v5, s19
	s_load_b64 s[4:5], s[0:1], 0x18
	flat_load_b64 v[2:3], v[1:2]
	flat_load_b64 v[11:12], v[4:5]
	s_waitcnt vmcnt(1) lgkmcnt(0)
	v_add_co_u32 v2, vcc_lo, v2, s4
	v_add_co_ci_u32_e32 v3, vcc_lo, s5, v3, vcc_lo
.LBB122_2:
	s_clause 0x1
	s_load_b32 s3, s[0:1], 0x154
	s_load_b32 s4, s[0:1], 0x148
	s_waitcnt lgkmcnt(0)
	s_and_b32 s5, s3, 0xffff
	s_add_u32 s6, s16, -1
	s_mul_i32 s24, s4, s5
	s_addc_u32 s3, s17, -1
	s_lshl_b32 s25, s24, 2
	s_cmp_lg_u64 s[2:3], 0
	s_cbranch_scc0 .LBB122_49
; %bb.3:
	v_cvt_f32_ubyte0_e32 v1, 0
	v_cvt_f32_u32_e32 v4, s25
	s_sub_u32 s8, 0, s25
	s_subb_u32 s9, 0, 0
	s_delay_alu instid0(VALU_DEP_1) | instskip(NEXT) | instid1(VALU_DEP_1)
	v_fmamk_f32 v1, v1, 0x4f800000, v4
	v_rcp_f32_e32 v1, v1
	s_waitcnt_depctr 0xfff
	v_mul_f32_e32 v1, 0x5f7ffffc, v1
	s_delay_alu instid0(VALU_DEP_1) | instskip(NEXT) | instid1(VALU_DEP_1)
	v_mul_f32_e32 v4, 0x2f800000, v1
	v_trunc_f32_e32 v4, v4
	s_delay_alu instid0(VALU_DEP_1) | instskip(SKIP_1) | instid1(VALU_DEP_2)
	v_fmamk_f32 v1, v4, 0xcf800000, v1
	v_cvt_u32_f32_e32 v4, v4
	v_cvt_u32_f32_e32 v1, v1
	s_delay_alu instid0(VALU_DEP_2) | instskip(NEXT) | instid1(VALU_DEP_2)
	v_readfirstlane_b32 s2, v4
	v_readfirstlane_b32 s7, v1
	s_delay_alu instid0(VALU_DEP_2) | instskip(NEXT) | instid1(VALU_DEP_1)
	s_mul_i32 s10, s8, s2
	s_mul_hi_u32 s12, s8, s7
	s_mul_i32 s11, s9, s7
	s_add_i32 s10, s12, s10
	s_mul_i32 s13, s8, s7
	s_add_i32 s10, s10, s11
	s_mul_hi_u32 s12, s7, s13
	s_mul_hi_u32 s14, s2, s13
	s_mul_i32 s11, s2, s13
	s_mul_hi_u32 s13, s7, s10
	s_mul_i32 s7, s7, s10
	s_mul_hi_u32 s18, s2, s10
	s_add_u32 s7, s12, s7
	s_addc_u32 s12, 0, s13
	s_add_u32 s7, s7, s11
	s_mul_i32 s10, s2, s10
	s_addc_u32 s7, s12, s14
	s_addc_u32 s11, s18, 0
	s_add_u32 s7, s7, s10
	s_addc_u32 s10, 0, s11
	v_add_co_u32 v1, s7, v1, s7
	s_delay_alu instid0(VALU_DEP_1) | instskip(SKIP_1) | instid1(VALU_DEP_1)
	s_cmp_lg_u32 s7, 0
	s_addc_u32 s2, s2, s10
	v_readfirstlane_b32 s7, v1
	s_mul_i32 s10, s8, s2
	s_delay_alu instid0(VALU_DEP_1)
	s_mul_hi_u32 s11, s8, s7
	s_mul_i32 s9, s9, s7
	s_add_i32 s10, s11, s10
	s_mul_i32 s8, s8, s7
	s_add_i32 s10, s10, s9
	s_mul_hi_u32 s11, s2, s8
	s_mul_i32 s12, s2, s8
	s_mul_hi_u32 s8, s7, s8
	s_mul_hi_u32 s13, s7, s10
	s_mul_i32 s7, s7, s10
	s_mul_hi_u32 s9, s2, s10
	s_add_u32 s7, s8, s7
	s_addc_u32 s8, 0, s13
	s_add_u32 s7, s7, s12
	s_mul_i32 s10, s2, s10
	s_addc_u32 s7, s8, s11
	s_addc_u32 s8, s9, 0
	s_add_u32 s7, s7, s10
	s_addc_u32 s8, 0, s8
	v_add_co_u32 v1, s7, v1, s7
	s_delay_alu instid0(VALU_DEP_1) | instskip(SKIP_2) | instid1(VALU_DEP_1)
	s_cmp_lg_u32 s7, 0
	s_addc_u32 s7, s2, s8
	s_ashr_i32 s8, s3, 31
	v_readfirstlane_b32 s10, v1
	s_add_u32 s2, s6, s8
	s_mov_b32 s9, s8
	s_addc_u32 s3, s3, s8
	s_delay_alu instid0(SALU_CYCLE_1) | instskip(NEXT) | instid1(SALU_CYCLE_1)
	s_xor_b64 s[2:3], s[2:3], s[8:9]
	s_mul_i32 s12, s2, s7
	s_mul_hi_u32 s13, s2, s10
	s_mul_hi_u32 s11, s2, s7
	;; [unrolled: 1-line block ×3, first 2 shown]
	s_mul_i32 s10, s3, s10
	s_add_u32 s12, s13, s12
	s_addc_u32 s11, 0, s11
	s_mul_hi_u32 s14, s3, s7
	s_add_u32 s10, s12, s10
	s_mul_i32 s7, s3, s7
	s_addc_u32 s10, s11, s18
	s_addc_u32 s11, s14, 0
	s_add_u32 s7, s10, s7
	s_addc_u32 s10, 0, s11
	s_mul_i32 s12, s25, s7
	s_add_u32 s11, s7, 1
	v_sub_co_u32 v1, s2, s2, s12
	s_mul_hi_u32 s12, s25, s7
	s_addc_u32 s13, s10, 0
	s_mul_i32 s14, s25, s10
	s_delay_alu instid0(VALU_DEP_1)
	v_sub_co_u32 v4, s18, v1, s25
	s_add_u32 s19, s7, 2
	s_addc_u32 s20, s10, 0
	s_add_i32 s12, s12, s14
	s_cmp_lg_u32 s2, 0
	v_readfirstlane_b32 s2, v4
	s_subb_u32 s3, s3, s12
	s_cmp_lg_u32 s18, 0
	s_subb_u32 s12, s3, 0
	s_delay_alu instid0(VALU_DEP_1) | instskip(SKIP_4) | instid1(SALU_CYCLE_1)
	s_cmp_ge_u32 s2, s25
	s_cselect_b32 s2, -1, 0
	s_cmp_eq_u32 s12, 0
	v_readfirstlane_b32 s12, v1
	s_cselect_b32 s2, s2, -1
	s_cmp_lg_u32 s2, 0
	s_cselect_b32 s2, s19, s11
	s_cselect_b32 s11, s20, s13
	s_cmp_ge_u32 s12, s25
	s_cselect_b32 s12, -1, 0
	s_cmp_eq_u32 s3, 0
	s_cselect_b32 s3, s12, -1
	s_delay_alu instid0(SALU_CYCLE_1) | instskip(SKIP_2) | instid1(SALU_CYCLE_1)
	s_cmp_lg_u32 s3, 0
	s_cselect_b32 s3, s11, s10
	s_cselect_b32 s2, s2, s7
	s_xor_b64 s[2:3], s[2:3], s[8:9]
	s_delay_alu instid0(SALU_CYCLE_1)
	s_sub_u32 s2, s2, s8
	s_subb_u32 s3, s3, s8
	s_cbranch_execnz .LBB122_5
.LBB122_4:
	v_cvt_f32_u32_e32 v1, s25
	s_sub_i32 s3, 0, s25
	s_delay_alu instid0(VALU_DEP_1) | instskip(SKIP_2) | instid1(VALU_DEP_1)
	v_rcp_iflag_f32_e32 v1, v1
	s_waitcnt_depctr 0xfff
	v_mul_f32_e32 v1, 0x4f7ffffe, v1
	v_cvt_u32_f32_e32 v1, v1
	s_delay_alu instid0(VALU_DEP_1) | instskip(NEXT) | instid1(VALU_DEP_1)
	v_readfirstlane_b32 s2, v1
	s_mul_i32 s3, s3, s2
	s_delay_alu instid0(SALU_CYCLE_1) | instskip(NEXT) | instid1(SALU_CYCLE_1)
	s_mul_hi_u32 s3, s2, s3
	s_add_i32 s2, s2, s3
	s_delay_alu instid0(SALU_CYCLE_1) | instskip(NEXT) | instid1(SALU_CYCLE_1)
	s_mul_hi_u32 s2, s6, s2
	s_mul_i32 s3, s2, s25
	s_delay_alu instid0(SALU_CYCLE_1)
	s_sub_i32 s3, s6, s3
	s_add_i32 s6, s2, 1
	s_sub_i32 s7, s3, s25
	s_cmp_ge_u32 s3, s25
	s_cselect_b32 s2, s6, s2
	s_cselect_b32 s3, s7, s3
	s_add_i32 s6, s2, 1
	s_cmp_ge_u32 s3, s25
	s_mov_b32 s3, 0
	s_cselect_b32 s2, s6, s2
.LBB122_5:
	v_mov_b32_e32 v1, 0
	s_add_u32 s2, s2, 1
	s_addc_u32 s3, s3, 0
	s_mul_hi_u32 s6, s24, s2
	s_mul_i32 s3, s24, s3
	v_mad_u64_u32 v[13:14], null, s5, s15, v[0:1]
	s_mul_hi_u32 s4, s4, s5
	s_add_i32 s3, s6, s3
	s_mul_i32 s4, s4, s2
	s_mul_i32 s2, s24, s2
	s_add_i32 s3, s3, s4
	s_mov_b32 s4, exec_lo
	s_lshl_b64 s[2:3], s[2:3], 2
	s_delay_alu instid0(SALU_CYCLE_1)
	v_cmpx_gt_i64_e64 s[2:3], v[13:14]
	s_cbranch_execz .LBB122_48
; %bb.6:
	v_alignbit_b32 v17, v3, v2, 2
	v_mad_u64_u32 v[4:5], null, 0xcd9e8d57, v13, 0
	v_lshrrev_b32_e32 v18, 2, v3
	s_waitcnt vmcnt(0)
	v_dual_mov_b32 v9, v12 :: v_dual_add_nc_u32 v28, 0x8ff34781, v11
	v_mad_u64_u32 v[0:1], null, 0xd2511f53, v17, 0
	v_add_co_u32 v20, null, 0x9e3779b9, v11
	v_xor3_b32 v3, v11, v5, v18
	s_delay_alu instid0(VALU_DEP_4) | instskip(SKIP_2) | instid1(VALU_DEP_4)
	v_add_co_u32 v19, null, 0xbb67ae85, v9
	v_add_co_u32 v21, null, 0x3c6ef372, v11
	v_xor_b32_e32 v1, v1, v12
	v_mad_u64_u32 v[5:6], null, 0xd2511f53, v3, 0
	v_add_co_u32 v22, null, 0x76cf5d0a, v9
	s_delay_alu instid0(VALU_DEP_3) | instskip(SKIP_2) | instid1(VALU_DEP_3)
	v_xor_b32_e32 v1, v1, v14
	v_add_co_u32 v23, null, 0x32370b8f, v9
	v_add_co_u32 v24, null, 0xdaa66d2b, v11
	v_mad_u64_u32 v[7:8], null, 0xcd9e8d57, v1, 0
	v_xor3_b32 v3, v19, v6, v0
	v_add_co_u32 v25, null, 0x78dde6e4, v11
	v_add_co_u32 v26, null, 0xed9eba14, v9
	s_delay_alu instid0(VALU_DEP_3) | instskip(SKIP_3) | instid1(VALU_DEP_3)
	v_mad_u64_u32 v[0:1], null, 0xcd9e8d57, v3, 0
	v_xor3_b32 v6, v20, v8, v4
	v_dual_mov_b32 v40, v14 :: v_dual_and_b32 v27, 3, v2
	v_add_co_u32 v29, null, 0xa9066899, v9
	v_mad_u64_u32 v[3:4], null, 0xd2511f53, v6, 0
	v_xor3_b32 v1, v21, v1, v7
	v_add_co_u32 v30, null, 0x1715609d, v11
	s_clause 0x1
	s_load_b64 s[20:21], s[0:1], 0xf4
	s_load_b128 s[12:15], s[0:1], 0x138
	v_add_co_u32 v32, null, 0xb54cda56, v11
	s_delay_alu instid0(VALU_DEP_4) | instskip(SKIP_2) | instid1(VALU_DEP_3)
	v_xor3_b32 v8, v22, v4, v5
	v_mad_u64_u32 v[4:5], null, 0xd2511f53, v1, 0
	v_add_co_u32 v33, null, 0x646e171e, v9
	v_mad_u64_u32 v[6:7], null, 0xcd9e8d57, v8, 0
	s_load_b256 s[4:11], s[0:1], 0x30
	v_add_co_u32 v31, null, 0x5384540f, v11
	s_delay_alu instid0(VALU_DEP_4) | instskip(SKIP_1) | instid1(VALU_DEP_4)
	v_xor3_b32 v3, v23, v5, v3
	v_add_co_u32 v35, null, 0x1fd5c5a3, v9
	v_xor3_b32 v5, v24, v7, v0
	v_add_co_u32 v34, null, 0xf1bbcdc8, v11
	s_delay_alu instid0(VALU_DEP_4) | instskip(NEXT) | instid1(VALU_DEP_3)
	v_mad_u64_u32 v[0:1], null, 0xcd9e8d57, v3, 0
	v_mad_u64_u32 v[7:8], null, 0xd2511f53, v5, 0
	s_waitcnt lgkmcnt(0)
	v_cvt_f32_f64_e32 v36, s[14:15]
	v_add_co_u32 v37, null, 0xdb3d7428, v9
	s_add_u32 s18, s0, 48
	s_delay_alu instid0(VALU_DEP_4) | instskip(SKIP_1) | instid1(VALU_DEP_4)
	v_xor3_b32 v3, v25, v1, v6
	s_addc_u32 s19, s1, 0
	v_xor3_b32 v5, v26, v8, v4
	s_add_i32 s22, s4, -1
	v_dual_mov_b32 v39, v13 :: v_dual_add_nc_u32 v38, 0x96a522ad, v12
	v_mad_u64_u32 v[1:2], null, 0xd2511f53, v3, 0
	s_delay_alu instid0(VALU_DEP_3) | instskip(SKIP_4) | instid1(VALU_DEP_2)
	v_mad_u64_u32 v[3:4], null, 0xcd9e8d57, v5, 0
	s_cmp_gt_u32 s22, 1
	s_mov_b32 s26, 0
	s_cselect_b32 s11, -1, 0
	s_cmp_lg_u32 s4, 0
	v_xor3_b32 v2, v29, v2, v7
	s_cselect_b32 s27, -1, 0
	s_delay_alu instid0(VALU_DEP_2) | instskip(SKIP_3) | instid1(VALU_DEP_2)
	v_xor3_b32 v0, v30, v4, v0
	s_add_u32 s0, s0, 0xf4
	s_addc_u32 s1, s1, 0
	v_mad_u64_u32 v[4:5], null, 0xcd9e8d57, v2, 0
	v_mad_u64_u32 v[6:7], null, 0xd2511f53, v0, 0
	s_min_u32 s14, s22, 15
	s_cmp_gt_u32 s4, 1
	s_cselect_b32 s4, -1, 0
	s_delay_alu instid0(VALU_DEP_2) | instskip(SKIP_1) | instid1(VALU_DEP_2)
	v_xor3_b32 v2, v32, v5, v3
	s_add_i32 s14, s14, 1
	v_xor3_b32 v5, v33, v7, v1
	s_and_b32 s28, s14, 3
	s_cmp_lg_u32 s22, 2
	v_mad_u64_u32 v[0:1], null, 0xd2511f53, v2, 0
	s_delay_alu instid0(VALU_DEP_2) | instskip(SKIP_3) | instid1(VALU_DEP_2)
	v_mad_u64_u32 v[2:3], null, 0xcd9e8d57, v5, 0
	s_cselect_b32 s29, -1, 0
	s_and_b32 s30, s14, 28
	s_cmp_lg_u32 s28, 0
	v_xor3_b32 v1, v35, v1, v6
	s_cselect_b32 s31, -1, 0
	s_delay_alu instid0(VALU_DEP_2) | instskip(NEXT) | instid1(VALU_DEP_2)
	v_xor3_b32 v3, v31, v3, v4
	v_mad_u64_u32 v[4:5], null, 0xcd9e8d57, v1, 0
	s_delay_alu instid0(VALU_DEP_2) | instskip(NEXT) | instid1(VALU_DEP_2)
	v_mad_u64_u32 v[6:7], null, 0xd2511f53, v3, 0
	v_xor3_b32 v1, v34, v5, v2
	s_delay_alu instid0(VALU_DEP_2) | instskip(NEXT) | instid1(VALU_DEP_2)
	v_xor3_b32 v0, v37, v7, v0
	v_mad_u64_u32 v[7:8], null, 0xd2511f53, v1, 0
	s_delay_alu instid0(VALU_DEP_2) | instskip(NEXT) | instid1(VALU_DEP_2)
	v_mad_u64_u32 v[1:2], null, 0xcd9e8d57, v0, 0
	v_mov_b32_e32 v3, v7
	s_delay_alu instid0(VALU_DEP_2) | instskip(NEXT) | instid1(VALU_DEP_4)
	v_xor3_b32 v0, v2, v4, v28
	v_xor3_b32 v2, v8, v6, v38
	s_branch .LBB122_9
.LBB122_7:                              ;   in Loop: Header=BB122_9 Depth=1
	v_lshrrev_b32_e32 v0, 11, v3
	v_cvt_f64_u32_e32 v[2:3], v2
	s_delay_alu instid0(VALU_DEP_2) | instskip(NEXT) | instid1(VALU_DEP_1)
	v_cvt_f64_u32_e32 v[7:8], v0
	v_ldexp_f64 v[7:8], v[7:8], 32
	s_delay_alu instid0(VALU_DEP_1) | instskip(NEXT) | instid1(VALU_DEP_1)
	v_add_f64 v[2:3], v[7:8], v[2:3]
	v_fma_f64 v[2:3], 0x3ca00000, v[2:3], 0x3ca00000
	s_delay_alu instid0(VALU_DEP_1) | instskip(NEXT) | instid1(VALU_DEP_1)
	v_cvt_f32_f64_e32 v0, v[2:3]
	v_cmp_gt_f32_e32 vcc_lo, v36, v0
	v_cndmask_b32_e64 v0, 0, 1, vcc_lo
	global_store_b8 v1, v0, s[12:13]
.LBB122_8:                              ;   in Loop: Header=BB122_9 Depth=1
	s_or_b32 exec_lo, exec_lo, s33
	v_add_co_u32 v13, vcc_lo, v13, s25
	v_add_co_ci_u32_e32 v14, vcc_lo, 0, v14, vcc_lo
	v_mov_b32_e32 v7, v15
	v_dual_mov_b32 v0, v4 :: v_dual_mov_b32 v1, v5
	s_delay_alu instid0(VALU_DEP_3) | instskip(NEXT) | instid1(VALU_DEP_3)
	v_cmp_le_i64_e32 vcc_lo, s[2:3], v[13:14]
	v_dual_mov_b32 v2, v6 :: v_dual_mov_b32 v3, v7
	s_waitcnt_vscnt null, 0x0
	s_barrier
	buffer_gl0_inv
	s_or_b32 s26, vcc_lo, s26
	s_delay_alu instid0(SALU_CYCLE_1)
	s_and_not1_b32 exec_lo, exec_lo, s26
	s_cbranch_execz .LBB122_48
.LBB122_9:                              ; =>This Loop Header: Depth=1
                                        ;     Child Loop BB122_24 Depth 2
                                        ;     Child Loop BB122_29 Depth 2
	;; [unrolled: 1-line block ×4, first 2 shown]
	v_add_co_u32 v17, vcc_lo, v17, 1
	s_delay_alu instid0(VALU_DEP_1) | instskip(SKIP_2) | instid1(VALU_DEP_1)
	v_cndmask_b32_e64 v4, 0, 1, vcc_lo
	v_add_co_ci_u32_e32 v18, vcc_lo, 0, v18, vcc_lo
	s_mov_b32 s14, exec_lo
	v_cmp_eq_u32_e32 vcc_lo, 0, v18
	s_delay_alu instid0(VALU_DEP_3) | instskip(NEXT) | instid1(VALU_DEP_1)
	v_cndmask_b32_e32 v4, 0, v4, vcc_lo
	v_add_nc_u32_e32 v39, v4, v39
	s_delay_alu instid0(VALU_DEP_1) | instskip(SKIP_2) | instid1(VALU_DEP_2)
	v_cmp_eq_u32_e32 vcc_lo, 0, v39
	v_cndmask_b32_e32 v4, 0, v4, vcc_lo
	v_mad_u64_u32 v[6:7], null, 0xcd9e8d57, v39, 0
	v_add_nc_u32_e32 v40, v4, v40
	v_mad_u64_u32 v[4:5], null, 0xd2511f53, v17, 0
	s_delay_alu instid0(VALU_DEP_3) | instskip(NEXT) | instid1(VALU_DEP_2)
	v_xor3_b32 v9, v7, v11, v18
	v_xor_b32_e32 v5, v5, v12
	s_delay_alu instid0(VALU_DEP_2) | instskip(NEXT) | instid1(VALU_DEP_2)
	v_mad_u64_u32 v[7:8], null, 0xd2511f53, v9, 0
	v_xor_b32_e32 v5, v40, v5
	s_delay_alu instid0(VALU_DEP_2) | instskip(NEXT) | instid1(VALU_DEP_2)
	v_xor3_b32 v8, v19, v8, v4
	v_mad_u64_u32 v[9:10], null, 0xcd9e8d57, v5, 0
	s_delay_alu instid0(VALU_DEP_2) | instskip(NEXT) | instid1(VALU_DEP_2)
	v_mad_u64_u32 v[4:5], null, 0xcd9e8d57, v8, 0
	v_xor3_b32 v6, v20, v10, v6
	s_delay_alu instid0(VALU_DEP_2) | instskip(NEXT) | instid1(VALU_DEP_2)
	v_xor3_b32 v8, v21, v5, v9
	v_mad_u64_u32 v[15:16], null, 0xd2511f53, v6, 0
	s_delay_alu instid0(VALU_DEP_2) | instskip(NEXT) | instid1(VALU_DEP_2)
	v_mad_u64_u32 v[5:6], null, 0xd2511f53, v8, 0
	v_xor3_b32 v9, v22, v16, v7
	s_delay_alu instid0(VALU_DEP_2) | instskip(NEXT) | instid1(VALU_DEP_2)
	v_xor3_b32 v6, v23, v6, v15
	v_mad_u64_u32 v[7:8], null, 0xcd9e8d57, v9, 0
	s_delay_alu instid0(VALU_DEP_1) | instskip(NEXT) | instid1(VALU_DEP_3)
	v_xor3_b32 v4, v24, v8, v4
	v_mad_u64_u32 v[8:9], null, 0xcd9e8d57, v6, 0
	s_delay_alu instid0(VALU_DEP_2) | instskip(NEXT) | instid1(VALU_DEP_2)
	v_mad_u64_u32 v[15:16], null, 0xd2511f53, v4, 0
	v_xor3_b32 v6, v25, v9, v7
	s_delay_alu instid0(VALU_DEP_2) | instskip(NEXT) | instid1(VALU_DEP_2)
	v_xor3_b32 v9, v26, v16, v5
	v_mad_u64_u32 v[4:5], null, 0xd2511f53, v6, 0
	s_delay_alu instid0(VALU_DEP_2) | instskip(NEXT) | instid1(VALU_DEP_2)
	v_mad_u64_u32 v[6:7], null, 0xcd9e8d57, v9, 0
	v_xor3_b32 v5, v29, v5, v15
	s_delay_alu instid0(VALU_DEP_2) | instskip(NEXT) | instid1(VALU_DEP_2)
	;; [unrolled: 6-line block ×6, first 2 shown]
	v_xor3_b32 v4, v6, v7, v28
	v_mov_b32_e32 v6, v10
	v_cmpx_lt_i32_e32 1, v27
	s_xor_b32 s14, exec_lo, s14
	s_cbranch_execnz .LBB122_12
; %bb.10:                               ;   in Loop: Header=BB122_9 Depth=1
	s_and_not1_saveexec_b32 s14, s14
	s_cbranch_execnz .LBB122_17
.LBB122_11:                             ;   in Loop: Header=BB122_9 Depth=1
	s_or_b32 exec_lo, exec_lo, s14
	s_delay_alu instid0(SALU_CYCLE_1)
	s_mov_b32 s33, exec_lo
	v_cmpx_gt_i64_e64 s[16:17], v[13:14]
	s_cbranch_execnz .LBB122_20
	s_branch .LBB122_34
.LBB122_12:                             ;   in Loop: Header=BB122_9 Depth=1
	s_mov_b32 s15, exec_lo
	v_cmpx_lt_i32_e32 2, v27
	s_xor_b32 s15, exec_lo, s15
; %bb.13:                               ;   in Loop: Header=BB122_9 Depth=1
	v_dual_mov_b32 v7, v3 :: v_dual_mov_b32 v8, v4
	v_mov_b32_e32 v9, v5
	s_delay_alu instid0(VALU_DEP_2) | instskip(NEXT) | instid1(VALU_DEP_2)
	v_dual_mov_b32 v0, v7 :: v_dual_mov_b32 v1, v8
	v_dual_mov_b32 v2, v9 :: v_dual_mov_b32 v3, v10
; %bb.14:                               ;   in Loop: Header=BB122_9 Depth=1
	s_and_not1_saveexec_b32 s15, s15
; %bb.15:                               ;   in Loop: Header=BB122_9 Depth=1
	s_delay_alu instid0(VALU_DEP_1)
	v_dual_mov_b32 v0, v2 :: v_dual_mov_b32 v1, v3
	v_dual_mov_b32 v2, v4 :: v_dual_mov_b32 v3, v5
; %bb.16:                               ;   in Loop: Header=BB122_9 Depth=1
	s_or_b32 exec_lo, exec_lo, s15
	s_and_not1_saveexec_b32 s14, s14
	s_cbranch_execz .LBB122_11
.LBB122_17:                             ;   in Loop: Header=BB122_9 Depth=1
	s_mov_b32 s15, exec_lo
	v_cmpx_eq_u32_e32 1, v27
; %bb.18:                               ;   in Loop: Header=BB122_9 Depth=1
	v_dual_mov_b32 v0, v1 :: v_dual_mov_b32 v1, v2
	v_dual_mov_b32 v2, v3 :: v_dual_mov_b32 v3, v4
; %bb.19:                               ;   in Loop: Header=BB122_9 Depth=1
	s_or_b32 exec_lo, exec_lo, s15
	s_delay_alu instid0(SALU_CYCLE_1) | instskip(NEXT) | instid1(SALU_CYCLE_1)
	s_or_b32 exec_lo, exec_lo, s14
	s_mov_b32 s33, exec_lo
	v_cmpx_gt_i64_e64 s[16:17], v[13:14]
	s_cbranch_execz .LBB122_34
.LBB122_20:                             ;   in Loop: Header=BB122_9 Depth=1
	s_and_not1_b32 vcc_lo, exec_lo, s11
	s_cbranch_vccnz .LBB122_26
; %bb.21:                               ;   in Loop: Header=BB122_9 Depth=1
	v_mov_b32_e32 v7, 0
	s_and_not1_b32 vcc_lo, exec_lo, s27
	s_cbranch_vccnz .LBB122_30
; %bb.22:                               ;   in Loop: Header=BB122_9 Depth=1
	s_and_not1_b32 vcc_lo, exec_lo, s29
	s_mov_b32 s14, 0
	s_cbranch_vccnz .LBB122_27
; %bb.23:                               ;   in Loop: Header=BB122_9 Depth=1
	v_dual_mov_b32 v7, 0 :: v_dual_mov_b32 v8, v13
	s_mov_b32 s34, 0
	s_mov_b64 s[14:15], s[18:19]
	s_mov_b64 s[22:23], s[0:1]
.LBB122_24:                             ;   Parent Loop BB122_9 Depth=1
                                        ; =>  This Inner Loop Header: Depth=2
	s_clause 0x1
	s_load_b256 s[36:43], s[14:15], 0x4
	s_load_b128 s[44:47], s[14:15], 0x24
	s_load_b128 s[48:51], s[22:23], 0x0
	s_add_u32 s14, s14, 48
	s_addc_u32 s15, s15, 0
	s_add_i32 s34, s34, 4
	s_add_u32 s22, s22, 16
	s_addc_u32 s23, s23, 0
	s_cmp_lg_u32 s30, s34
	s_waitcnt lgkmcnt(0)
	v_mul_hi_u32 v9, s37, v8
	s_delay_alu instid0(VALU_DEP_1) | instskip(NEXT) | instid1(VALU_DEP_1)
	v_add_nc_u32_e32 v9, v8, v9
	v_lshrrev_b32_e32 v9, s38, v9
	s_delay_alu instid0(VALU_DEP_1) | instskip(SKIP_1) | instid1(VALU_DEP_2)
	v_mul_hi_u32 v10, s40, v9
	v_mul_lo_u32 v42, v9, s36
	v_add_nc_u32_e32 v10, v9, v10
	s_delay_alu instid0(VALU_DEP_2) | instskip(NEXT) | instid1(VALU_DEP_2)
	v_sub_nc_u32_e32 v42, v8, v42
	v_lshrrev_b32_e32 v10, s41, v10
	s_delay_alu instid0(VALU_DEP_2) | instskip(NEXT) | instid1(VALU_DEP_2)
	v_mul_lo_u32 v42, v42, s48
	v_mul_hi_u32 v16, s43, v10
	v_mul_lo_u32 v43, v10, s39
	s_delay_alu instid0(VALU_DEP_2) | instskip(NEXT) | instid1(VALU_DEP_2)
	v_add_nc_u32_e32 v16, v10, v16
	v_sub_nc_u32_e32 v9, v9, v43
	s_delay_alu instid0(VALU_DEP_2) | instskip(NEXT) | instid1(VALU_DEP_2)
	v_lshrrev_b32_e32 v16, s44, v16
	v_mul_lo_u32 v9, v9, s49
	s_delay_alu instid0(VALU_DEP_2) | instskip(NEXT) | instid1(VALU_DEP_2)
	v_mul_hi_u32 v41, s46, v16
	v_add3_u32 v7, v42, v7, v9
	s_delay_alu instid0(VALU_DEP_2) | instskip(NEXT) | instid1(VALU_DEP_1)
	v_add_nc_u32_e32 v41, v16, v41
	v_lshrrev_b32_e32 v8, s47, v41
	v_mul_lo_u32 v41, v16, s42
	s_delay_alu instid0(VALU_DEP_2) | instskip(NEXT) | instid1(VALU_DEP_2)
	v_mul_lo_u32 v44, v8, s45
	v_sub_nc_u32_e32 v10, v10, v41
	s_delay_alu instid0(VALU_DEP_2) | instskip(NEXT) | instid1(VALU_DEP_2)
	v_sub_nc_u32_e32 v16, v16, v44
	v_mul_lo_u32 v10, v10, s50
	s_delay_alu instid0(VALU_DEP_2) | instskip(NEXT) | instid1(VALU_DEP_1)
	v_mul_lo_u32 v16, v16, s51
	v_add3_u32 v7, v10, v7, v16
	s_cbranch_scc1 .LBB122_24
; %bb.25:                               ;   in Loop: Header=BB122_9 Depth=1
	s_mov_b32 s14, s30
	s_and_not1_b32 vcc_lo, exec_lo, s31
	s_cbranch_vccz .LBB122_28
	s_branch .LBB122_30
.LBB122_26:                             ;   in Loop: Header=BB122_9 Depth=1
                                        ; implicit-def: $vgpr7
	s_branch .LBB122_31
.LBB122_27:                             ;   in Loop: Header=BB122_9 Depth=1
	v_mov_b32_e32 v8, v13
	s_and_not1_b32 vcc_lo, exec_lo, s31
	s_cbranch_vccnz .LBB122_30
.LBB122_28:                             ;   in Loop: Header=BB122_9 Depth=1
	s_lshl_b32 s15, s14, 2
	s_mul_i32 s22, s14, 12
	s_add_u32 s14, s0, s15
	s_addc_u32 s15, s1, 0
	s_add_u32 s22, s18, s22
	s_addc_u32 s23, s19, 0
	s_mov_b32 s34, s28
	.p2align	6
.LBB122_29:                             ;   Parent Loop BB122_9 Depth=1
                                        ; =>  This Inner Loop Header: Depth=2
	s_clause 0x1
	s_load_b64 s[36:37], s[22:23], 0x4
	s_load_b32 s35, s[22:23], 0xc
	s_add_u32 s22, s22, 12
	s_addc_u32 s23, s23, 0
	s_waitcnt lgkmcnt(0)
	v_mul_hi_u32 v9, s37, v8
	s_load_b32 s37, s[14:15], 0x0
	s_add_u32 s14, s14, 4
	s_addc_u32 s15, s15, 0
	s_add_i32 s34, s34, -1
	s_delay_alu instid0(SALU_CYCLE_1) | instskip(NEXT) | instid1(VALU_DEP_1)
	s_cmp_lg_u32 s34, 0
	v_add_nc_u32_e32 v9, v8, v9
	s_delay_alu instid0(VALU_DEP_1) | instskip(NEXT) | instid1(VALU_DEP_1)
	v_lshrrev_b32_e32 v16, s35, v9
	v_mul_lo_u32 v9, v16, s36
	s_delay_alu instid0(VALU_DEP_1) | instskip(SKIP_1) | instid1(VALU_DEP_1)
	v_sub_nc_u32_e32 v8, v8, v9
	s_waitcnt lgkmcnt(0)
	v_mad_u64_u32 v[9:10], null, v8, s37, v[7:8]
	s_delay_alu instid0(VALU_DEP_1)
	v_dual_mov_b32 v8, v16 :: v_dual_mov_b32 v7, v9
	s_cbranch_scc1 .LBB122_29
.LBB122_30:                             ;   in Loop: Header=BB122_9 Depth=1
	s_cbranch_execnz .LBB122_33
.LBB122_31:                             ;   in Loop: Header=BB122_9 Depth=1
	v_mul_hi_u32 v7, v13, s6
	s_and_not1_b32 vcc_lo, exec_lo, s4
	s_delay_alu instid0(VALU_DEP_1) | instskip(NEXT) | instid1(VALU_DEP_1)
	v_add_nc_u32_e32 v7, v7, v13
	v_lshrrev_b32_e32 v8, s7, v7
	s_delay_alu instid0(VALU_DEP_1) | instskip(NEXT) | instid1(VALU_DEP_1)
	v_mul_lo_u32 v7, v8, s5
	v_sub_nc_u32_e32 v7, v13, v7
	s_delay_alu instid0(VALU_DEP_1)
	v_mul_lo_u32 v7, v7, s20
	s_cbranch_vccnz .LBB122_33
; %bb.32:                               ;   in Loop: Header=BB122_9 Depth=1
	v_mul_hi_u32 v9, s9, v8
	s_delay_alu instid0(VALU_DEP_1) | instskip(NEXT) | instid1(VALU_DEP_1)
	v_add_nc_u32_e32 v9, v8, v9
	v_lshrrev_b32_e32 v9, s10, v9
	s_delay_alu instid0(VALU_DEP_1) | instskip(NEXT) | instid1(VALU_DEP_1)
	v_mul_lo_u32 v9, v9, s8
	v_sub_nc_u32_e32 v10, v8, v9
	s_delay_alu instid0(VALU_DEP_1) | instskip(NEXT) | instid1(VALU_DEP_1)
	v_mad_u64_u32 v[8:9], null, v10, s21, v[7:8]
	v_mov_b32_e32 v7, v8
.LBB122_33:                             ;   in Loop: Header=BB122_9 Depth=1
	v_lshrrev_b32_e32 v1, 11, v1
	s_delay_alu instid0(VALU_DEP_1) | instskip(SKIP_1) | instid1(VALU_DEP_2)
	v_cvt_f64_u32_e32 v[8:9], v1
	v_cvt_f64_u32_e32 v[0:1], v0
	v_ldexp_f64 v[8:9], v[8:9], 32
	s_delay_alu instid0(VALU_DEP_1) | instskip(NEXT) | instid1(VALU_DEP_1)
	v_add_f64 v[0:1], v[8:9], v[0:1]
	v_fma_f64 v[0:1], 0x3ca00000, v[0:1], 0x3ca00000
	s_delay_alu instid0(VALU_DEP_1) | instskip(NEXT) | instid1(VALU_DEP_1)
	v_cvt_f32_f64_e32 v0, v[0:1]
	v_cmp_gt_f32_e32 vcc_lo, v36, v0
	v_cndmask_b32_e64 v0, 0, 1, vcc_lo
	global_store_b8 v7, v0, s[12:13]
.LBB122_34:                             ;   in Loop: Header=BB122_9 Depth=1
	s_or_b32 exec_lo, exec_lo, s33
	v_add_co_u32 v0, vcc_lo, v13, s24
	v_add_co_ci_u32_e32 v1, vcc_lo, 0, v14, vcc_lo
	s_mov_b32 s33, exec_lo
	s_delay_alu instid0(VALU_DEP_1)
	v_cmpx_gt_i64_e64 s[16:17], v[0:1]
	s_cbranch_execz .LBB122_8
; %bb.35:                               ;   in Loop: Header=BB122_9 Depth=1
	s_and_not1_b32 vcc_lo, exec_lo, s11
	s_cbranch_vccnz .LBB122_41
; %bb.36:                               ;   in Loop: Header=BB122_9 Depth=1
	v_mov_b32_e32 v1, 0
	s_and_not1_b32 vcc_lo, exec_lo, s27
	s_cbranch_vccnz .LBB122_45
; %bb.37:                               ;   in Loop: Header=BB122_9 Depth=1
	s_and_not1_b32 vcc_lo, exec_lo, s29
	s_mov_b32 s14, 0
	s_cbranch_vccnz .LBB122_42
; %bb.38:                               ;   in Loop: Header=BB122_9 Depth=1
	v_mov_b32_e32 v1, 0
	v_mov_b32_e32 v7, v0
	s_mov_b32 s34, 0
	s_mov_b64 s[14:15], s[18:19]
	s_mov_b64 s[22:23], s[0:1]
.LBB122_39:                             ;   Parent Loop BB122_9 Depth=1
                                        ; =>  This Inner Loop Header: Depth=2
	s_clause 0x1
	s_load_b256 s[36:43], s[14:15], 0x4
	s_load_b128 s[44:47], s[14:15], 0x24
	s_load_b128 s[48:51], s[22:23], 0x0
	s_add_u32 s14, s14, 48
	s_addc_u32 s15, s15, 0
	s_add_i32 s34, s34, 4
	s_add_u32 s22, s22, 16
	s_addc_u32 s23, s23, 0
	s_cmp_eq_u32 s30, s34
	s_waitcnt lgkmcnt(0)
	v_mul_hi_u32 v8, s37, v7
	s_delay_alu instid0(VALU_DEP_1) | instskip(NEXT) | instid1(VALU_DEP_1)
	v_add_nc_u32_e32 v8, v7, v8
	v_lshrrev_b32_e32 v8, s38, v8
	s_delay_alu instid0(VALU_DEP_1) | instskip(SKIP_1) | instid1(VALU_DEP_2)
	v_mul_hi_u32 v9, s40, v8
	v_mul_lo_u32 v41, v8, s36
	v_add_nc_u32_e32 v9, v8, v9
	s_delay_alu instid0(VALU_DEP_2) | instskip(NEXT) | instid1(VALU_DEP_2)
	v_sub_nc_u32_e32 v41, v7, v41
	v_lshrrev_b32_e32 v9, s41, v9
	s_delay_alu instid0(VALU_DEP_2) | instskip(NEXT) | instid1(VALU_DEP_2)
	v_mul_lo_u32 v41, v41, s48
	v_mul_hi_u32 v10, s43, v9
	v_mul_lo_u32 v42, v9, s39
	s_delay_alu instid0(VALU_DEP_2) | instskip(NEXT) | instid1(VALU_DEP_2)
	v_add_nc_u32_e32 v10, v9, v10
	v_sub_nc_u32_e32 v8, v8, v42
	s_delay_alu instid0(VALU_DEP_2) | instskip(NEXT) | instid1(VALU_DEP_2)
	v_lshrrev_b32_e32 v10, s44, v10
	v_mul_lo_u32 v8, v8, s49
	s_delay_alu instid0(VALU_DEP_2) | instskip(NEXT) | instid1(VALU_DEP_2)
	v_mul_hi_u32 v16, s46, v10
	v_add3_u32 v1, v41, v1, v8
	s_delay_alu instid0(VALU_DEP_2) | instskip(NEXT) | instid1(VALU_DEP_1)
	v_add_nc_u32_e32 v16, v10, v16
	v_lshrrev_b32_e32 v7, s47, v16
	v_mul_lo_u32 v16, v10, s42
	s_delay_alu instid0(VALU_DEP_2) | instskip(NEXT) | instid1(VALU_DEP_2)
	v_mul_lo_u32 v43, v7, s45
	v_sub_nc_u32_e32 v9, v9, v16
	s_delay_alu instid0(VALU_DEP_2) | instskip(NEXT) | instid1(VALU_DEP_2)
	v_sub_nc_u32_e32 v10, v10, v43
	v_mul_lo_u32 v9, v9, s50
	s_delay_alu instid0(VALU_DEP_2) | instskip(NEXT) | instid1(VALU_DEP_1)
	v_mul_lo_u32 v10, v10, s51
	v_add3_u32 v1, v9, v1, v10
	s_cbranch_scc0 .LBB122_39
; %bb.40:                               ;   in Loop: Header=BB122_9 Depth=1
	s_mov_b32 s14, s30
	s_and_not1_b32 vcc_lo, exec_lo, s31
	s_cbranch_vccz .LBB122_43
	s_branch .LBB122_45
.LBB122_41:                             ;   in Loop: Header=BB122_9 Depth=1
                                        ; implicit-def: $vgpr1
	s_branch .LBB122_46
.LBB122_42:                             ;   in Loop: Header=BB122_9 Depth=1
	v_mov_b32_e32 v7, v0
	s_and_not1_b32 vcc_lo, exec_lo, s31
	s_cbranch_vccnz .LBB122_45
.LBB122_43:                             ;   in Loop: Header=BB122_9 Depth=1
	s_lshl_b32 s15, s14, 2
	s_mul_i32 s22, s14, 12
	s_add_u32 s14, s0, s15
	s_addc_u32 s15, s1, 0
	s_add_u32 s22, s18, s22
	s_addc_u32 s23, s19, 0
	s_mov_b32 s34, s28
	.p2align	6
.LBB122_44:                             ;   Parent Loop BB122_9 Depth=1
                                        ; =>  This Inner Loop Header: Depth=2
	s_clause 0x1
	s_load_b64 s[36:37], s[22:23], 0x4
	s_load_b32 s35, s[22:23], 0xc
	s_add_u32 s22, s22, 12
	s_addc_u32 s23, s23, 0
	s_waitcnt lgkmcnt(0)
	v_mul_hi_u32 v8, s37, v7
	s_load_b32 s37, s[14:15], 0x0
	s_add_u32 s14, s14, 4
	s_addc_u32 s15, s15, 0
	s_add_i32 s34, s34, -1
	s_delay_alu instid0(SALU_CYCLE_1) | instskip(NEXT) | instid1(VALU_DEP_1)
	s_cmp_lg_u32 s34, 0
	v_add_nc_u32_e32 v8, v7, v8
	s_delay_alu instid0(VALU_DEP_1) | instskip(NEXT) | instid1(VALU_DEP_1)
	v_lshrrev_b32_e32 v10, s35, v8
	v_mul_lo_u32 v8, v10, s36
	s_delay_alu instid0(VALU_DEP_1) | instskip(SKIP_1) | instid1(VALU_DEP_1)
	v_sub_nc_u32_e32 v7, v7, v8
	s_waitcnt lgkmcnt(0)
	v_mad_u64_u32 v[8:9], null, v7, s37, v[1:2]
	v_mov_b32_e32 v7, v10
	s_delay_alu instid0(VALU_DEP_2)
	v_mov_b32_e32 v1, v8
	s_cbranch_scc1 .LBB122_44
.LBB122_45:                             ;   in Loop: Header=BB122_9 Depth=1
	s_cbranch_execnz .LBB122_7
.LBB122_46:                             ;   in Loop: Header=BB122_9 Depth=1
	v_mul_hi_u32 v1, v0, s6
	s_and_not1_b32 vcc_lo, exec_lo, s4
	s_delay_alu instid0(VALU_DEP_1) | instskip(NEXT) | instid1(VALU_DEP_1)
	v_add_nc_u32_e32 v1, v1, v0
	v_lshrrev_b32_e32 v7, s7, v1
	s_delay_alu instid0(VALU_DEP_1) | instskip(NEXT) | instid1(VALU_DEP_1)
	v_mul_lo_u32 v1, v7, s5
	v_sub_nc_u32_e32 v0, v0, v1
	s_delay_alu instid0(VALU_DEP_1)
	v_mul_lo_u32 v1, v0, s20
	s_cbranch_vccnz .LBB122_7
; %bb.47:                               ;   in Loop: Header=BB122_9 Depth=1
	v_mul_hi_u32 v0, s9, v7
	s_delay_alu instid0(VALU_DEP_1) | instskip(NEXT) | instid1(VALU_DEP_1)
	v_add_nc_u32_e32 v0, v7, v0
	v_lshrrev_b32_e32 v0, s10, v0
	s_delay_alu instid0(VALU_DEP_1) | instskip(NEXT) | instid1(VALU_DEP_1)
	v_mul_lo_u32 v0, v0, s8
	v_sub_nc_u32_e32 v0, v7, v0
	s_delay_alu instid0(VALU_DEP_1) | instskip(NEXT) | instid1(VALU_DEP_1)
	v_mad_u64_u32 v[7:8], null, v0, s21, v[1:2]
	v_mov_b32_e32 v1, v7
	s_branch .LBB122_7
.LBB122_48:
	s_endpgm
.LBB122_49:
                                        ; implicit-def: $sgpr2_sgpr3
	s_branch .LBB122_4
	.section	.rodata,"a",@progbits
	.p2align	6, 0x0
	.amdhsa_kernel _ZN2at6native12_GLOBAL__N_143distribution_elementwise_grid_stride_kernelIfLi4EZNS0_9templates4cuda21uniform_and_transformIhfPNS_17CUDAGeneratorImplEZZZNS4_16bernoulli_kernelIS7_EEvRNS_18TensorIteratorBaseEdT_ENKUlvE_clEvENKUlvE_clEvEUlfE_EEvSA_T1_T2_EUlP25hiprandStatePhilox4_32_10E_ZNS1_27distribution_nullary_kernelIhf15HIP_vector_typeIdLj2EES7_SJ_SE_EEvSA_SG_RKT3_T4_EUlifE0_EEvlNS_15PhiloxCudaStateESF_SG_
		.amdhsa_group_segment_fixed_size 0
		.amdhsa_private_segment_fixed_size 0
		.amdhsa_kernarg_size 584
		.amdhsa_user_sgpr_count 15
		.amdhsa_user_sgpr_dispatch_ptr 0
		.amdhsa_user_sgpr_queue_ptr 0
		.amdhsa_user_sgpr_kernarg_segment_ptr 1
		.amdhsa_user_sgpr_dispatch_id 0
		.amdhsa_user_sgpr_private_segment_size 0
		.amdhsa_wavefront_size32 1
		.amdhsa_uses_dynamic_stack 0
		.amdhsa_enable_private_segment 0
		.amdhsa_system_sgpr_workgroup_id_x 1
		.amdhsa_system_sgpr_workgroup_id_y 0
		.amdhsa_system_sgpr_workgroup_id_z 0
		.amdhsa_system_sgpr_workgroup_info 0
		.amdhsa_system_vgpr_workitem_id 0
		.amdhsa_next_free_vgpr 45
		.amdhsa_next_free_sgpr 52
		.amdhsa_reserve_vcc 1
		.amdhsa_float_round_mode_32 0
		.amdhsa_float_round_mode_16_64 0
		.amdhsa_float_denorm_mode_32 3
		.amdhsa_float_denorm_mode_16_64 3
		.amdhsa_dx10_clamp 1
		.amdhsa_ieee_mode 1
		.amdhsa_fp16_overflow 0
		.amdhsa_workgroup_processor_mode 1
		.amdhsa_memory_ordered 1
		.amdhsa_forward_progress 0
		.amdhsa_shared_vgpr_count 0
		.amdhsa_exception_fp_ieee_invalid_op 0
		.amdhsa_exception_fp_denorm_src 0
		.amdhsa_exception_fp_ieee_div_zero 0
		.amdhsa_exception_fp_ieee_overflow 0
		.amdhsa_exception_fp_ieee_underflow 0
		.amdhsa_exception_fp_ieee_inexact 0
		.amdhsa_exception_int_div_zero 0
	.end_amdhsa_kernel
	.section	.text._ZN2at6native12_GLOBAL__N_143distribution_elementwise_grid_stride_kernelIfLi4EZNS0_9templates4cuda21uniform_and_transformIhfPNS_17CUDAGeneratorImplEZZZNS4_16bernoulli_kernelIS7_EEvRNS_18TensorIteratorBaseEdT_ENKUlvE_clEvENKUlvE_clEvEUlfE_EEvSA_T1_T2_EUlP25hiprandStatePhilox4_32_10E_ZNS1_27distribution_nullary_kernelIhf15HIP_vector_typeIdLj2EES7_SJ_SE_EEvSA_SG_RKT3_T4_EUlifE0_EEvlNS_15PhiloxCudaStateESF_SG_,"axG",@progbits,_ZN2at6native12_GLOBAL__N_143distribution_elementwise_grid_stride_kernelIfLi4EZNS0_9templates4cuda21uniform_and_transformIhfPNS_17CUDAGeneratorImplEZZZNS4_16bernoulli_kernelIS7_EEvRNS_18TensorIteratorBaseEdT_ENKUlvE_clEvENKUlvE_clEvEUlfE_EEvSA_T1_T2_EUlP25hiprandStatePhilox4_32_10E_ZNS1_27distribution_nullary_kernelIhf15HIP_vector_typeIdLj2EES7_SJ_SE_EEvSA_SG_RKT3_T4_EUlifE0_EEvlNS_15PhiloxCudaStateESF_SG_,comdat
.Lfunc_end122:
	.size	_ZN2at6native12_GLOBAL__N_143distribution_elementwise_grid_stride_kernelIfLi4EZNS0_9templates4cuda21uniform_and_transformIhfPNS_17CUDAGeneratorImplEZZZNS4_16bernoulli_kernelIS7_EEvRNS_18TensorIteratorBaseEdT_ENKUlvE_clEvENKUlvE_clEvEUlfE_EEvSA_T1_T2_EUlP25hiprandStatePhilox4_32_10E_ZNS1_27distribution_nullary_kernelIhf15HIP_vector_typeIdLj2EES7_SJ_SE_EEvSA_SG_RKT3_T4_EUlifE0_EEvlNS_15PhiloxCudaStateESF_SG_, .Lfunc_end122-_ZN2at6native12_GLOBAL__N_143distribution_elementwise_grid_stride_kernelIfLi4EZNS0_9templates4cuda21uniform_and_transformIhfPNS_17CUDAGeneratorImplEZZZNS4_16bernoulli_kernelIS7_EEvRNS_18TensorIteratorBaseEdT_ENKUlvE_clEvENKUlvE_clEvEUlfE_EEvSA_T1_T2_EUlP25hiprandStatePhilox4_32_10E_ZNS1_27distribution_nullary_kernelIhf15HIP_vector_typeIdLj2EES7_SJ_SE_EEvSA_SG_RKT3_T4_EUlifE0_EEvlNS_15PhiloxCudaStateESF_SG_
                                        ; -- End function
	.section	.AMDGPU.csdata,"",@progbits
; Kernel info:
; codeLenInByte = 3960
; NumSgprs: 54
; NumVgprs: 45
; ScratchSize: 0
; MemoryBound: 0
; FloatMode: 240
; IeeeMode: 1
; LDSByteSize: 0 bytes/workgroup (compile time only)
; SGPRBlocks: 6
; VGPRBlocks: 5
; NumSGPRsForWavesPerEU: 54
; NumVGPRsForWavesPerEU: 45
; Occupancy: 16
; WaveLimiterHint : 1
; COMPUTE_PGM_RSRC2:SCRATCH_EN: 0
; COMPUTE_PGM_RSRC2:USER_SGPR: 15
; COMPUTE_PGM_RSRC2:TRAP_HANDLER: 0
; COMPUTE_PGM_RSRC2:TGID_X_EN: 1
; COMPUTE_PGM_RSRC2:TGID_Y_EN: 0
; COMPUTE_PGM_RSRC2:TGID_Z_EN: 0
; COMPUTE_PGM_RSRC2:TIDIG_COMP_CNT: 0
	.section	.text._ZN2at6native12_GLOBAL__N_143distribution_elementwise_grid_stride_kernelIfLi4EZNS0_9templates4cuda21uniform_and_transformIhfPNS_17CUDAGeneratorImplEZZZNS4_16bernoulli_kernelIS7_EEvRNS_18TensorIteratorBaseEdT_ENKUlvE_clEvENKUlvE_clEvEUlfE_EEvSA_T1_T2_EUlP25hiprandStatePhilox4_32_10E0_ZNS1_27distribution_nullary_kernelIhf15HIP_vector_typeIfLj4EES7_SJ_SE_EEvSA_SG_RKT3_T4_EUlifE_EEvlNS_15PhiloxCudaStateESF_SG_,"axG",@progbits,_ZN2at6native12_GLOBAL__N_143distribution_elementwise_grid_stride_kernelIfLi4EZNS0_9templates4cuda21uniform_and_transformIhfPNS_17CUDAGeneratorImplEZZZNS4_16bernoulli_kernelIS7_EEvRNS_18TensorIteratorBaseEdT_ENKUlvE_clEvENKUlvE_clEvEUlfE_EEvSA_T1_T2_EUlP25hiprandStatePhilox4_32_10E0_ZNS1_27distribution_nullary_kernelIhf15HIP_vector_typeIfLj4EES7_SJ_SE_EEvSA_SG_RKT3_T4_EUlifE_EEvlNS_15PhiloxCudaStateESF_SG_,comdat
	.globl	_ZN2at6native12_GLOBAL__N_143distribution_elementwise_grid_stride_kernelIfLi4EZNS0_9templates4cuda21uniform_and_transformIhfPNS_17CUDAGeneratorImplEZZZNS4_16bernoulli_kernelIS7_EEvRNS_18TensorIteratorBaseEdT_ENKUlvE_clEvENKUlvE_clEvEUlfE_EEvSA_T1_T2_EUlP25hiprandStatePhilox4_32_10E0_ZNS1_27distribution_nullary_kernelIhf15HIP_vector_typeIfLj4EES7_SJ_SE_EEvSA_SG_RKT3_T4_EUlifE_EEvlNS_15PhiloxCudaStateESF_SG_ ; -- Begin function _ZN2at6native12_GLOBAL__N_143distribution_elementwise_grid_stride_kernelIfLi4EZNS0_9templates4cuda21uniform_and_transformIhfPNS_17CUDAGeneratorImplEZZZNS4_16bernoulli_kernelIS7_EEvRNS_18TensorIteratorBaseEdT_ENKUlvE_clEvENKUlvE_clEvEUlfE_EEvSA_T1_T2_EUlP25hiprandStatePhilox4_32_10E0_ZNS1_27distribution_nullary_kernelIhf15HIP_vector_typeIfLj4EES7_SJ_SE_EEvSA_SG_RKT3_T4_EUlifE_EEvlNS_15PhiloxCudaStateESF_SG_
	.p2align	8
	.type	_ZN2at6native12_GLOBAL__N_143distribution_elementwise_grid_stride_kernelIfLi4EZNS0_9templates4cuda21uniform_and_transformIhfPNS_17CUDAGeneratorImplEZZZNS4_16bernoulli_kernelIS7_EEvRNS_18TensorIteratorBaseEdT_ENKUlvE_clEvENKUlvE_clEvEUlfE_EEvSA_T1_T2_EUlP25hiprandStatePhilox4_32_10E0_ZNS1_27distribution_nullary_kernelIhf15HIP_vector_typeIfLj4EES7_SJ_SE_EEvSA_SG_RKT3_T4_EUlifE_EEvlNS_15PhiloxCudaStateESF_SG_,@function
_ZN2at6native12_GLOBAL__N_143distribution_elementwise_grid_stride_kernelIfLi4EZNS0_9templates4cuda21uniform_and_transformIhfPNS_17CUDAGeneratorImplEZZZNS4_16bernoulli_kernelIS7_EEvRNS_18TensorIteratorBaseEdT_ENKUlvE_clEvENKUlvE_clEvEUlfE_EEvSA_T1_T2_EUlP25hiprandStatePhilox4_32_10E0_ZNS1_27distribution_nullary_kernelIhf15HIP_vector_typeIfLj4EES7_SJ_SE_EEvSA_SG_RKT3_T4_EUlifE_EEvlNS_15PhiloxCudaStateESF_SG_: ; @_ZN2at6native12_GLOBAL__N_143distribution_elementwise_grid_stride_kernelIfLi4EZNS0_9templates4cuda21uniform_and_transformIhfPNS_17CUDAGeneratorImplEZZZNS4_16bernoulli_kernelIS7_EEvRNS_18TensorIteratorBaseEdT_ENKUlvE_clEvENKUlvE_clEvEUlfE_EEvSA_T1_T2_EUlP25hiprandStatePhilox4_32_10E0_ZNS1_27distribution_nullary_kernelIhf15HIP_vector_typeIfLj4EES7_SJ_SE_EEvSA_SG_RKT3_T4_EUlifE_EEvlNS_15PhiloxCudaStateESF_SG_
; %bb.0:
	s_clause 0x2
	s_load_b64 s[8:9], s[0:1], 0x10
	s_load_b128 s[4:7], s[0:1], 0x0
	s_load_b32 s2, s[0:1], 0x20
	s_waitcnt lgkmcnt(0)
	v_dual_mov_b32 v2, s8 :: v_dual_mov_b32 v3, s9
	v_dual_mov_b32 v12, s7 :: v_dual_mov_b32 v11, s6
	s_bitcmp0_b32 s2, 0
	s_mov_b32 s2, 0
	s_cbranch_scc1 .LBB123_2
; %bb.1:
	v_dual_mov_b32 v1, s8 :: v_dual_mov_b32 v2, s9
	v_dual_mov_b32 v4, s6 :: v_dual_mov_b32 v5, s7
	s_load_b64 s[6:7], s[0:1], 0x18
	flat_load_b64 v[2:3], v[1:2]
	flat_load_b64 v[11:12], v[4:5]
	s_waitcnt vmcnt(1) lgkmcnt(0)
	v_add_co_u32 v2, vcc_lo, v2, s6
	v_add_co_ci_u32_e32 v3, vcc_lo, s7, v3, vcc_lo
.LBB123_2:
	s_clause 0x1
	s_load_b32 s3, s[0:1], 0x54
	s_load_b32 s11, s[0:1], 0x48
	s_waitcnt lgkmcnt(0)
	s_and_b32 s10, s3, 0xffff
	s_add_u32 s6, s4, -1
	s_mul_i32 s8, s11, s10
	s_addc_u32 s3, s5, -1
	s_lshl_b32 s9, s8, 2
	s_cmp_lg_u64 s[2:3], 0
	s_cbranch_scc0 .LBB123_27
; %bb.3:
	v_cvt_f32_ubyte0_e32 v1, 0
	v_cvt_f32_u32_e32 v4, s9
	s_sub_u32 s12, 0, s9
	s_subb_u32 s13, 0, 0
	s_delay_alu instid0(VALU_DEP_1) | instskip(NEXT) | instid1(VALU_DEP_1)
	v_fmamk_f32 v1, v1, 0x4f800000, v4
	v_rcp_f32_e32 v1, v1
	s_waitcnt_depctr 0xfff
	v_mul_f32_e32 v1, 0x5f7ffffc, v1
	s_delay_alu instid0(VALU_DEP_1) | instskip(NEXT) | instid1(VALU_DEP_1)
	v_mul_f32_e32 v4, 0x2f800000, v1
	v_trunc_f32_e32 v4, v4
	s_delay_alu instid0(VALU_DEP_1) | instskip(SKIP_1) | instid1(VALU_DEP_2)
	v_fmamk_f32 v1, v4, 0xcf800000, v1
	v_cvt_u32_f32_e32 v4, v4
	v_cvt_u32_f32_e32 v1, v1
	s_delay_alu instid0(VALU_DEP_2) | instskip(NEXT) | instid1(VALU_DEP_2)
	v_readfirstlane_b32 s2, v4
	v_readfirstlane_b32 s7, v1
	s_delay_alu instid0(VALU_DEP_2) | instskip(NEXT) | instid1(VALU_DEP_1)
	s_mul_i32 s14, s12, s2
	s_mul_hi_u32 s17, s12, s7
	s_mul_i32 s16, s13, s7
	s_add_i32 s14, s17, s14
	s_mul_i32 s18, s12, s7
	s_add_i32 s14, s14, s16
	s_mul_hi_u32 s17, s7, s18
	s_mul_hi_u32 s19, s2, s18
	s_mul_i32 s16, s2, s18
	s_mul_hi_u32 s18, s7, s14
	s_mul_i32 s7, s7, s14
	s_mul_hi_u32 s20, s2, s14
	s_add_u32 s7, s17, s7
	s_addc_u32 s17, 0, s18
	s_add_u32 s7, s7, s16
	s_mul_i32 s14, s2, s14
	s_addc_u32 s7, s17, s19
	s_addc_u32 s16, s20, 0
	s_add_u32 s7, s7, s14
	s_addc_u32 s14, 0, s16
	v_add_co_u32 v1, s7, v1, s7
	s_delay_alu instid0(VALU_DEP_1) | instskip(SKIP_1) | instid1(VALU_DEP_1)
	s_cmp_lg_u32 s7, 0
	s_addc_u32 s2, s2, s14
	v_readfirstlane_b32 s7, v1
	s_mul_i32 s14, s12, s2
	s_delay_alu instid0(VALU_DEP_1)
	s_mul_hi_u32 s16, s12, s7
	s_mul_i32 s13, s13, s7
	s_add_i32 s14, s16, s14
	s_mul_i32 s12, s12, s7
	s_add_i32 s14, s14, s13
	s_mul_hi_u32 s16, s2, s12
	s_mul_i32 s17, s2, s12
	s_mul_hi_u32 s12, s7, s12
	s_mul_hi_u32 s18, s7, s14
	s_mul_i32 s7, s7, s14
	s_mul_hi_u32 s13, s2, s14
	s_add_u32 s7, s12, s7
	s_addc_u32 s12, 0, s18
	s_add_u32 s7, s7, s17
	s_mul_i32 s14, s2, s14
	s_addc_u32 s7, s12, s16
	s_addc_u32 s12, s13, 0
	s_add_u32 s7, s7, s14
	s_addc_u32 s12, 0, s12
	v_add_co_u32 v1, s7, v1, s7
	s_delay_alu instid0(VALU_DEP_1) | instskip(SKIP_2) | instid1(VALU_DEP_1)
	s_cmp_lg_u32 s7, 0
	s_addc_u32 s7, s2, s12
	s_ashr_i32 s12, s3, 31
	v_readfirstlane_b32 s14, v1
	s_add_u32 s2, s6, s12
	s_mov_b32 s13, s12
	s_addc_u32 s3, s3, s12
	s_delay_alu instid0(SALU_CYCLE_1) | instskip(NEXT) | instid1(SALU_CYCLE_1)
	s_xor_b64 s[2:3], s[2:3], s[12:13]
	s_mul_i32 s17, s2, s7
	s_mul_hi_u32 s18, s2, s14
	s_mul_hi_u32 s16, s2, s7
	s_mul_hi_u32 s20, s3, s14
	s_mul_i32 s14, s3, s14
	s_add_u32 s17, s18, s17
	s_addc_u32 s16, 0, s16
	s_mul_hi_u32 s19, s3, s7
	s_add_u32 s14, s17, s14
	s_mul_i32 s7, s3, s7
	s_addc_u32 s14, s16, s20
	s_addc_u32 s16, s19, 0
	s_add_u32 s7, s14, s7
	s_addc_u32 s14, 0, s16
	s_mul_i32 s17, s9, s7
	s_add_u32 s16, s7, 1
	v_sub_co_u32 v1, s2, s2, s17
	s_mul_hi_u32 s17, s9, s7
	s_addc_u32 s18, s14, 0
	s_mul_i32 s19, s9, s14
	s_delay_alu instid0(VALU_DEP_1)
	v_sub_co_u32 v4, s20, v1, s9
	s_add_u32 s21, s7, 2
	s_addc_u32 s22, s14, 0
	s_add_i32 s17, s17, s19
	s_cmp_lg_u32 s2, 0
	v_readfirstlane_b32 s2, v4
	s_subb_u32 s3, s3, s17
	s_cmp_lg_u32 s20, 0
	s_subb_u32 s17, s3, 0
	s_delay_alu instid0(VALU_DEP_1) | instskip(SKIP_4) | instid1(SALU_CYCLE_1)
	s_cmp_ge_u32 s2, s9
	s_cselect_b32 s2, -1, 0
	s_cmp_eq_u32 s17, 0
	v_readfirstlane_b32 s17, v1
	s_cselect_b32 s2, s2, -1
	s_cmp_lg_u32 s2, 0
	s_cselect_b32 s2, s21, s16
	s_cselect_b32 s16, s22, s18
	s_cmp_ge_u32 s17, s9
	s_cselect_b32 s17, -1, 0
	s_cmp_eq_u32 s3, 0
	s_cselect_b32 s3, s17, -1
	s_delay_alu instid0(SALU_CYCLE_1) | instskip(SKIP_2) | instid1(SALU_CYCLE_1)
	s_cmp_lg_u32 s3, 0
	s_cselect_b32 s3, s16, s14
	s_cselect_b32 s2, s2, s7
	s_xor_b64 s[2:3], s[2:3], s[12:13]
	s_delay_alu instid0(SALU_CYCLE_1)
	s_sub_u32 s2, s2, s12
	s_subb_u32 s3, s3, s12
	s_cbranch_execnz .LBB123_5
.LBB123_4:
	v_cvt_f32_u32_e32 v1, s9
	s_sub_i32 s3, 0, s9
	s_delay_alu instid0(VALU_DEP_1) | instskip(SKIP_2) | instid1(VALU_DEP_1)
	v_rcp_iflag_f32_e32 v1, v1
	s_waitcnt_depctr 0xfff
	v_mul_f32_e32 v1, 0x4f7ffffe, v1
	v_cvt_u32_f32_e32 v1, v1
	s_delay_alu instid0(VALU_DEP_1) | instskip(NEXT) | instid1(VALU_DEP_1)
	v_readfirstlane_b32 s2, v1
	s_mul_i32 s3, s3, s2
	s_delay_alu instid0(SALU_CYCLE_1) | instskip(NEXT) | instid1(SALU_CYCLE_1)
	s_mul_hi_u32 s3, s2, s3
	s_add_i32 s2, s2, s3
	s_delay_alu instid0(SALU_CYCLE_1) | instskip(NEXT) | instid1(SALU_CYCLE_1)
	s_mul_hi_u32 s2, s6, s2
	s_mul_i32 s3, s2, s9
	s_delay_alu instid0(SALU_CYCLE_1)
	s_sub_i32 s3, s6, s3
	s_add_i32 s6, s2, 1
	s_sub_i32 s7, s3, s9
	s_cmp_ge_u32 s3, s9
	s_cselect_b32 s2, s6, s2
	s_cselect_b32 s3, s7, s3
	s_add_i32 s6, s2, 1
	s_cmp_ge_u32 s3, s9
	s_mov_b32 s3, 0
	s_cselect_b32 s2, s6, s2
.LBB123_5:
	v_mov_b32_e32 v1, 0
	s_add_u32 s2, s2, 1
	s_addc_u32 s3, s3, 0
	s_mul_hi_u32 s6, s8, s2
	s_mul_i32 s3, s8, s3
	v_mad_u64_u32 v[13:14], null, s10, s15, v[0:1]
	s_mul_hi_u32 s7, s11, s10
	s_add_i32 s3, s6, s3
	s_mul_i32 s7, s7, s2
	s_mul_i32 s2, s8, s2
	s_add_i32 s3, s3, s7
	s_mov_b32 s6, exec_lo
	s_lshl_b64 s[2:3], s[2:3], 2
	s_delay_alu instid0(SALU_CYCLE_1)
	v_cmpx_gt_i64_e64 s[2:3], v[13:14]
	s_cbranch_execz .LBB123_26
; %bb.6:
	v_alignbit_b32 v17, v3, v2, 2
	v_mad_u64_u32 v[6:7], null, 0xcd9e8d57, v13, 0
	v_lshrrev_b32_e32 v18, 2, v3
	s_waitcnt vmcnt(0)
	v_dual_mov_b32 v15, v12 :: v_dual_add_nc_u32 v28, 0x8ff34781, v11
	v_mad_u64_u32 v[4:5], null, 0xd2511f53, v17, 0
	v_add_co_u32 v20, null, 0x9e3779b9, v11
	v_xor3_b32 v3, v11, v7, v18
	s_delay_alu instid0(VALU_DEP_4) | instskip(SKIP_2) | instid1(VALU_DEP_4)
	v_add_co_u32 v19, null, 0xbb67ae85, v15
	v_add_co_u32 v21, null, 0x3c6ef372, v11
	v_xor_b32_e32 v1, v5, v12
	v_mad_u64_u32 v[7:8], null, 0xd2511f53, v3, 0
	v_add_co_u32 v22, null, 0x76cf5d0a, v15
	s_delay_alu instid0(VALU_DEP_3) | instskip(SKIP_2) | instid1(VALU_DEP_3)
	v_xor_b32_e32 v1, v1, v14
	v_add_co_u32 v23, null, 0x32370b8f, v15
	v_add_co_u32 v24, null, 0xdaa66d2b, v11
	v_mad_u64_u32 v[9:10], null, 0xcd9e8d57, v1, 0
	v_xor3_b32 v1, v19, v8, v4
	v_add_co_u32 v25, null, 0x78dde6e4, v11
	v_add_co_u32 v26, null, 0xed9eba14, v15
	s_delay_alu instid0(VALU_DEP_3) | instskip(SKIP_3) | instid1(VALU_DEP_3)
	v_mad_u64_u32 v[3:4], null, 0xcd9e8d57, v1, 0
	v_xor3_b32 v8, v20, v10, v6
	v_dual_mov_b32 v38, v13 :: v_dual_and_b32 v27, 3, v2
	v_add_co_u32 v29, null, 0xa9066899, v15
	v_mad_u64_u32 v[5:6], null, 0xd2511f53, v8, 0
	v_xor3_b32 v1, v21, v4, v9
	v_add_co_u32 v30, null, 0x1715609d, v11
	s_clause 0x2
	s_load_b64 s[6:7], s[0:1], 0x30
	s_load_b32 s14, s[0:1], 0x38
	s_load_b64 s[12:13], s[0:1], 0x40
	v_add_co_u32 v33, null, 0xb54cda56, v11
	v_xor3_b32 v4, v22, v6, v7
	v_mad_u64_u32 v[6:7], null, 0xd2511f53, v1, 0
	v_add_co_u32 v35, null, 0x646e171e, v15
	s_delay_alu instid0(VALU_DEP_3) | instskip(SKIP_1) | instid1(VALU_DEP_4)
	v_mad_u64_u32 v[8:9], null, 0xcd9e8d57, v4, 0
	v_add_co_u32 v36, null, 0x1fd5c5a3, v15
	v_xor3_b32 v1, v23, v7, v5
	v_add_co_u32 v32, null, 0x5384540f, v11
	v_add_co_u32 v34, null, 0xf1bbcdc8, v11
	v_xor3_b32 v5, v24, v9, v3
	s_delay_alu instid0(VALU_DEP_4)
	v_mad_u64_u32 v[3:4], null, 0xcd9e8d57, v1, 0
	s_waitcnt lgkmcnt(0)
	v_cvt_f32_f64_e32 v37, s[12:13]
	s_mul_i32 s16, s11, 3
	v_mad_u64_u32 v[9:10], null, 0xd2511f53, v5, 0
	s_add_i32 s18, s15, s11
	s_add_i32 s12, s15, s16
	s_delay_alu instid0(VALU_DEP_3) | instskip(SKIP_2) | instid1(VALU_DEP_3)
	v_xor3_b32 v4, v25, v4, v8
	v_add_co_u32 v39, null, 0xdb3d7428, v15
	s_lshl_b32 s17, s11, 1
	v_xor3_b32 v6, v26, v10, v6
	s_delay_alu instid0(VALU_DEP_3) | instskip(SKIP_1) | instid1(VALU_DEP_3)
	v_mad_u64_u32 v[1:2], null, 0xd2511f53, v4, 0
	v_dual_mov_b32 v44, v14 :: v_dual_add_nc_u32 v31, 0x96a522ad, v12
	v_mad_u64_u32 v[4:5], null, 0xcd9e8d57, v6, 0
	s_mul_i32 s11, s11, s14
	s_mov_b32 s0, 0
	s_delay_alu instid0(VALU_DEP_3) | instskip(SKIP_3) | instid1(VALU_DEP_2)
	v_xor3_b32 v6, v29, v2, v9
	s_mul_i32 s11, s11, s10
	s_lshl_b32 s1, s8, 1
	s_lshl_b32 s11, s11, 2
	v_xor3_b32 v7, v30, v5, v3
	v_mad_u64_u32 v[2:3], null, 0xcd9e8d57, v6, 0
	s_delay_alu instid0(VALU_DEP_2) | instskip(NEXT) | instid1(VALU_DEP_2)
	v_mad_u64_u32 v[5:6], null, 0xd2511f53, v7, 0
	v_xor3_b32 v8, v33, v3, v4
	v_mad_u64_u32 v[3:4], null, s15, s10, v[0:1]
	s_add_i32 s15, s15, s17
	s_delay_alu instid0(VALU_DEP_3) | instskip(NEXT) | instid1(VALU_DEP_3)
	v_xor3_b32 v1, v35, v6, v1
	v_mad_u64_u32 v[6:7], null, 0xd2511f53, v8, 0
	s_delay_alu instid0(VALU_DEP_2) | instskip(NEXT) | instid1(VALU_DEP_4)
	v_mad_u64_u32 v[8:9], null, 0xcd9e8d57, v1, 0
	v_mul_lo_u32 v40, s14, v3
	s_delay_alu instid0(VALU_DEP_3) | instskip(NEXT) | instid1(VALU_DEP_3)
	v_xor3_b32 v1, v36, v7, v5
	v_xor3_b32 v2, v32, v9, v2
	s_delay_alu instid0(VALU_DEP_2) | instskip(SKIP_1) | instid1(VALU_DEP_3)
	v_mad_u64_u32 v[4:5], null, 0xcd9e8d57, v1, 0
	v_mad_u64_u32 v[15:16], null, s18, s10, v[0:1]
	;; [unrolled: 1-line block ×4, first 2 shown]
	s_delay_alu instid0(VALU_DEP_4) | instskip(SKIP_1) | instid1(VALU_DEP_4)
	v_xor3_b32 v1, v34, v5, v8
	s_mov_b32 s12, 0
	v_mul_lo_u32 v43, s14, v15
	s_delay_alu instid0(VALU_DEP_4) | instskip(NEXT) | instid1(VALU_DEP_3)
	v_xor3_b32 v8, v39, v10, v6
	v_mad_u64_u32 v[5:6], null, s15, s10, v[0:1]
	v_mad_u64_u32 v[6:7], null, 0xd2511f53, v1, 0
	s_delay_alu instid0(VALU_DEP_3) | instskip(SKIP_2) | instid1(VALU_DEP_4)
	v_mad_u64_u32 v[1:2], null, 0xcd9e8d57, v8, 0
	v_mul_lo_u32 v41, s14, v41
	s_mul_i32 s10, s8, 3
	v_mul_lo_u32 v42, s14, v5
	s_delay_alu instid0(VALU_DEP_4) | instskip(NEXT) | instid1(VALU_DEP_4)
	v_mov_b32_e32 v3, v6
	v_xor3_b32 v0, v2, v4, v28
	v_xor3_b32 v2, v7, v9, v31
	s_branch .LBB123_8
.LBB123_7:                              ;   in Loop: Header=BB123_8 Depth=1
	s_or_b32 exec_lo, exec_lo, s13
	v_add_co_u32 v13, vcc_lo, v13, s9
	v_add_co_ci_u32_e32 v14, vcc_lo, 0, v14, vcc_lo
	v_mov_b32_e32 v7, v15
	v_dual_mov_b32 v0, v4 :: v_dual_mov_b32 v1, v5
	s_delay_alu instid0(VALU_DEP_3) | instskip(NEXT) | instid1(VALU_DEP_3)
	v_cmp_le_i64_e32 vcc_lo, s[2:3], v[13:14]
	v_dual_mov_b32 v2, v6 :: v_dual_mov_b32 v3, v7
	s_add_i32 s12, s12, s11
	s_waitcnt_vscnt null, 0x0
	s_barrier
	s_or_b32 s0, vcc_lo, s0
	buffer_gl0_inv
	s_and_not1_b32 exec_lo, exec_lo, s0
	s_cbranch_execz .LBB123_26
.LBB123_8:                              ; =>This Inner Loop Header: Depth=1
	v_add_co_u32 v17, vcc_lo, v17, 1
	s_delay_alu instid0(VALU_DEP_1) | instskip(SKIP_2) | instid1(VALU_DEP_1)
	v_cndmask_b32_e64 v4, 0, 1, vcc_lo
	v_add_co_ci_u32_e32 v18, vcc_lo, 0, v18, vcc_lo
	s_mov_b32 s13, exec_lo
	v_cmp_eq_u32_e32 vcc_lo, 0, v18
	s_delay_alu instid0(VALU_DEP_3) | instskip(NEXT) | instid1(VALU_DEP_1)
	v_cndmask_b32_e32 v4, 0, v4, vcc_lo
	v_add_nc_u32_e32 v38, v4, v38
	s_delay_alu instid0(VALU_DEP_1) | instskip(SKIP_2) | instid1(VALU_DEP_2)
	v_cmp_eq_u32_e32 vcc_lo, 0, v38
	v_mad_u64_u32 v[6:7], null, 0xcd9e8d57, v38, 0
	v_cndmask_b32_e32 v4, 0, v4, vcc_lo
	v_xor3_b32 v9, v7, v11, v18
	s_delay_alu instid0(VALU_DEP_2) | instskip(SKIP_1) | instid1(VALU_DEP_3)
	v_add_nc_u32_e32 v44, v4, v44
	v_mad_u64_u32 v[4:5], null, 0xd2511f53, v17, 0
	v_mad_u64_u32 v[7:8], null, 0xd2511f53, v9, 0
	s_delay_alu instid0(VALU_DEP_2) | instskip(NEXT) | instid1(VALU_DEP_2)
	v_xor_b32_e32 v5, v5, v12
	v_xor3_b32 v8, v19, v8, v4
	s_delay_alu instid0(VALU_DEP_2) | instskip(NEXT) | instid1(VALU_DEP_1)
	v_xor_b32_e32 v5, v44, v5
	v_mad_u64_u32 v[9:10], null, 0xcd9e8d57, v5, 0
	s_delay_alu instid0(VALU_DEP_3) | instskip(NEXT) | instid1(VALU_DEP_2)
	v_mad_u64_u32 v[4:5], null, 0xcd9e8d57, v8, 0
	v_xor3_b32 v6, v20, v10, v6
	s_delay_alu instid0(VALU_DEP_2) | instskip(NEXT) | instid1(VALU_DEP_2)
	v_xor3_b32 v8, v21, v5, v9
	v_mad_u64_u32 v[15:16], null, 0xd2511f53, v6, 0
	s_delay_alu instid0(VALU_DEP_2) | instskip(NEXT) | instid1(VALU_DEP_2)
	v_mad_u64_u32 v[5:6], null, 0xd2511f53, v8, 0
	v_xor3_b32 v9, v22, v16, v7
	s_delay_alu instid0(VALU_DEP_2) | instskip(NEXT) | instid1(VALU_DEP_2)
	v_xor3_b32 v6, v23, v6, v15
	v_mad_u64_u32 v[7:8], null, 0xcd9e8d57, v9, 0
	s_delay_alu instid0(VALU_DEP_1) | instskip(NEXT) | instid1(VALU_DEP_3)
	v_xor3_b32 v4, v24, v8, v4
	v_mad_u64_u32 v[8:9], null, 0xcd9e8d57, v6, 0
	s_delay_alu instid0(VALU_DEP_2) | instskip(NEXT) | instid1(VALU_DEP_2)
	v_mad_u64_u32 v[15:16], null, 0xd2511f53, v4, 0
	v_xor3_b32 v6, v25, v9, v7
	s_delay_alu instid0(VALU_DEP_2) | instskip(NEXT) | instid1(VALU_DEP_2)
	v_xor3_b32 v9, v26, v16, v5
	v_mad_u64_u32 v[4:5], null, 0xd2511f53, v6, 0
	s_delay_alu instid0(VALU_DEP_2) | instskip(NEXT) | instid1(VALU_DEP_2)
	v_mad_u64_u32 v[6:7], null, 0xcd9e8d57, v9, 0
	v_xor3_b32 v5, v29, v5, v15
	s_delay_alu instid0(VALU_DEP_2) | instskip(NEXT) | instid1(VALU_DEP_2)
	;; [unrolled: 6-line block ×6, first 2 shown]
	v_xor3_b32 v4, v6, v7, v28
	v_mov_b32_e32 v6, v10
	v_cmpx_lt_i32_e32 1, v27
	s_xor_b32 s13, exec_lo, s13
	s_cbranch_execnz .LBB123_18
; %bb.9:                                ;   in Loop: Header=BB123_8 Depth=1
	s_and_not1_saveexec_b32 s13, s13
	s_cbranch_execnz .LBB123_23
.LBB123_10:                             ;   in Loop: Header=BB123_8 Depth=1
	s_or_b32 exec_lo, exec_lo, s13
	s_delay_alu instid0(SALU_CYCLE_1)
	s_mov_b32 s13, exec_lo
	v_cmpx_gt_i64_e64 s[4:5], v[13:14]
	s_cbranch_execz .LBB123_12
.LBB123_11:                             ;   in Loop: Header=BB123_8 Depth=1
	v_add_nc_u32_e32 v7, s12, v40
	v_cvt_f32_u32_e32 v0, v0
	s_delay_alu instid0(VALU_DEP_2) | instskip(NEXT) | instid1(VALU_DEP_2)
	v_ashrrev_i32_e32 v8, 31, v7
	v_fmaak_f32 v0, 0x2f800000, v0, 0x2f800000
	v_add_co_u32 v7, vcc_lo, s6, v7
	s_delay_alu instid0(VALU_DEP_3) | instskip(NEXT) | instid1(VALU_DEP_3)
	v_add_co_ci_u32_e32 v8, vcc_lo, s7, v8, vcc_lo
	v_cmp_lt_f32_e32 vcc_lo, v0, v37
	v_cndmask_b32_e64 v0, 0, 1, vcc_lo
	global_store_b8 v[7:8], v0, off
.LBB123_12:                             ;   in Loop: Header=BB123_8 Depth=1
	s_or_b32 exec_lo, exec_lo, s13
	v_add_co_u32 v7, vcc_lo, s8, v13
	v_add_co_ci_u32_e32 v8, vcc_lo, 0, v14, vcc_lo
	s_mov_b32 s13, exec_lo
	s_delay_alu instid0(VALU_DEP_1)
	v_cmpx_gt_i64_e64 s[4:5], v[7:8]
	s_cbranch_execz .LBB123_14
; %bb.13:                               ;   in Loop: Header=BB123_8 Depth=1
	v_add_nc_u32_e32 v0, s12, v43
	v_cvt_f32_u32_e32 v1, v1
	s_delay_alu instid0(VALU_DEP_2) | instskip(NEXT) | instid1(VALU_DEP_2)
	v_ashrrev_i32_e32 v7, 31, v0
	v_fmaak_f32 v8, 0x2f800000, v1, 0x2f800000
	v_add_co_u32 v0, vcc_lo, s6, v0
	s_delay_alu instid0(VALU_DEP_3) | instskip(NEXT) | instid1(VALU_DEP_3)
	v_add_co_ci_u32_e32 v1, vcc_lo, s7, v7, vcc_lo
	v_cmp_lt_f32_e32 vcc_lo, v8, v37
	v_cndmask_b32_e64 v7, 0, 1, vcc_lo
	global_store_b8 v[0:1], v7, off
.LBB123_14:                             ;   in Loop: Header=BB123_8 Depth=1
	s_or_b32 exec_lo, exec_lo, s13
	v_add_co_u32 v0, vcc_lo, s1, v13
	v_add_co_ci_u32_e32 v1, vcc_lo, 0, v14, vcc_lo
	s_mov_b32 s13, exec_lo
	s_delay_alu instid0(VALU_DEP_1)
	v_cmpx_gt_i64_e64 s[4:5], v[0:1]
	s_cbranch_execz .LBB123_16
; %bb.15:                               ;   in Loop: Header=BB123_8 Depth=1
	v_cvt_f32_u32_e32 v1, v2
	s_delay_alu instid0(VALU_DEP_1) | instskip(NEXT) | instid1(VALU_DEP_1)
	v_dual_fmaak_f32 v7, 0x2f800000, v1, 0x2f800000 :: v_dual_add_nc_u32 v0, s12, v42
	v_ashrrev_i32_e32 v2, 31, v0
	v_add_co_u32 v0, vcc_lo, s6, v0
	s_delay_alu instid0(VALU_DEP_2) | instskip(NEXT) | instid1(VALU_DEP_4)
	v_add_co_ci_u32_e32 v1, vcc_lo, s7, v2, vcc_lo
	v_cmp_lt_f32_e32 vcc_lo, v7, v37
	v_cndmask_b32_e64 v2, 0, 1, vcc_lo
	global_store_b8 v[0:1], v2, off
.LBB123_16:                             ;   in Loop: Header=BB123_8 Depth=1
	s_or_b32 exec_lo, exec_lo, s13
	v_add_co_u32 v0, vcc_lo, s10, v13
	v_add_co_ci_u32_e32 v1, vcc_lo, 0, v14, vcc_lo
	s_mov_b32 s13, exec_lo
	s_delay_alu instid0(VALU_DEP_1)
	v_cmpx_gt_i64_e64 s[4:5], v[0:1]
	s_cbranch_execz .LBB123_7
; %bb.17:                               ;   in Loop: Header=BB123_8 Depth=1
	v_add_nc_u32_e32 v0, s12, v41
	v_cvt_f32_u32_e32 v1, v3
	s_delay_alu instid0(VALU_DEP_2) | instskip(NEXT) | instid1(VALU_DEP_2)
	v_ashrrev_i32_e32 v2, 31, v0
	v_fmaak_f32 v3, 0x2f800000, v1, 0x2f800000
	v_add_co_u32 v0, vcc_lo, s6, v0
	s_delay_alu instid0(VALU_DEP_3) | instskip(NEXT) | instid1(VALU_DEP_3)
	v_add_co_ci_u32_e32 v1, vcc_lo, s7, v2, vcc_lo
	v_cmp_lt_f32_e32 vcc_lo, v3, v37
	v_cndmask_b32_e64 v2, 0, 1, vcc_lo
	global_store_b8 v[0:1], v2, off
	s_branch .LBB123_7
.LBB123_18:                             ;   in Loop: Header=BB123_8 Depth=1
	s_mov_b32 s14, exec_lo
	v_cmpx_lt_i32_e32 2, v27
	s_xor_b32 s14, exec_lo, s14
; %bb.19:                               ;   in Loop: Header=BB123_8 Depth=1
	v_dual_mov_b32 v7, v3 :: v_dual_mov_b32 v8, v4
	v_mov_b32_e32 v9, v5
	s_delay_alu instid0(VALU_DEP_2) | instskip(NEXT) | instid1(VALU_DEP_2)
	v_dual_mov_b32 v0, v7 :: v_dual_mov_b32 v1, v8
	v_dual_mov_b32 v2, v9 :: v_dual_mov_b32 v3, v10
; %bb.20:                               ;   in Loop: Header=BB123_8 Depth=1
	s_and_not1_saveexec_b32 s14, s14
; %bb.21:                               ;   in Loop: Header=BB123_8 Depth=1
	s_delay_alu instid0(VALU_DEP_1)
	v_dual_mov_b32 v0, v2 :: v_dual_mov_b32 v1, v3
	v_dual_mov_b32 v2, v4 :: v_dual_mov_b32 v3, v5
; %bb.22:                               ;   in Loop: Header=BB123_8 Depth=1
	s_or_b32 exec_lo, exec_lo, s14
	s_and_not1_saveexec_b32 s13, s13
	s_cbranch_execz .LBB123_10
.LBB123_23:                             ;   in Loop: Header=BB123_8 Depth=1
	s_mov_b32 s14, exec_lo
	v_cmpx_eq_u32_e32 1, v27
; %bb.24:                               ;   in Loop: Header=BB123_8 Depth=1
	v_dual_mov_b32 v0, v1 :: v_dual_mov_b32 v1, v2
	v_dual_mov_b32 v2, v3 :: v_dual_mov_b32 v3, v4
; %bb.25:                               ;   in Loop: Header=BB123_8 Depth=1
	s_or_b32 exec_lo, exec_lo, s14
	s_delay_alu instid0(SALU_CYCLE_1) | instskip(NEXT) | instid1(SALU_CYCLE_1)
	s_or_b32 exec_lo, exec_lo, s13
	s_mov_b32 s13, exec_lo
	v_cmpx_gt_i64_e64 s[4:5], v[13:14]
	s_cbranch_execnz .LBB123_11
	s_branch .LBB123_12
.LBB123_26:
	s_endpgm
.LBB123_27:
                                        ; implicit-def: $sgpr2_sgpr3
	s_branch .LBB123_4
	.section	.rodata,"a",@progbits
	.p2align	6, 0x0
	.amdhsa_kernel _ZN2at6native12_GLOBAL__N_143distribution_elementwise_grid_stride_kernelIfLi4EZNS0_9templates4cuda21uniform_and_transformIhfPNS_17CUDAGeneratorImplEZZZNS4_16bernoulli_kernelIS7_EEvRNS_18TensorIteratorBaseEdT_ENKUlvE_clEvENKUlvE_clEvEUlfE_EEvSA_T1_T2_EUlP25hiprandStatePhilox4_32_10E0_ZNS1_27distribution_nullary_kernelIhf15HIP_vector_typeIfLj4EES7_SJ_SE_EEvSA_SG_RKT3_T4_EUlifE_EEvlNS_15PhiloxCudaStateESF_SG_
		.amdhsa_group_segment_fixed_size 0
		.amdhsa_private_segment_fixed_size 0
		.amdhsa_kernarg_size 328
		.amdhsa_user_sgpr_count 15
		.amdhsa_user_sgpr_dispatch_ptr 0
		.amdhsa_user_sgpr_queue_ptr 0
		.amdhsa_user_sgpr_kernarg_segment_ptr 1
		.amdhsa_user_sgpr_dispatch_id 0
		.amdhsa_user_sgpr_private_segment_size 0
		.amdhsa_wavefront_size32 1
		.amdhsa_uses_dynamic_stack 0
		.amdhsa_enable_private_segment 0
		.amdhsa_system_sgpr_workgroup_id_x 1
		.amdhsa_system_sgpr_workgroup_id_y 0
		.amdhsa_system_sgpr_workgroup_id_z 0
		.amdhsa_system_sgpr_workgroup_info 0
		.amdhsa_system_vgpr_workitem_id 0
		.amdhsa_next_free_vgpr 45
		.amdhsa_next_free_sgpr 23
		.amdhsa_reserve_vcc 1
		.amdhsa_float_round_mode_32 0
		.amdhsa_float_round_mode_16_64 0
		.amdhsa_float_denorm_mode_32 3
		.amdhsa_float_denorm_mode_16_64 3
		.amdhsa_dx10_clamp 1
		.amdhsa_ieee_mode 1
		.amdhsa_fp16_overflow 0
		.amdhsa_workgroup_processor_mode 1
		.amdhsa_memory_ordered 1
		.amdhsa_forward_progress 0
		.amdhsa_shared_vgpr_count 0
		.amdhsa_exception_fp_ieee_invalid_op 0
		.amdhsa_exception_fp_denorm_src 0
		.amdhsa_exception_fp_ieee_div_zero 0
		.amdhsa_exception_fp_ieee_overflow 0
		.amdhsa_exception_fp_ieee_underflow 0
		.amdhsa_exception_fp_ieee_inexact 0
		.amdhsa_exception_int_div_zero 0
	.end_amdhsa_kernel
	.section	.text._ZN2at6native12_GLOBAL__N_143distribution_elementwise_grid_stride_kernelIfLi4EZNS0_9templates4cuda21uniform_and_transformIhfPNS_17CUDAGeneratorImplEZZZNS4_16bernoulli_kernelIS7_EEvRNS_18TensorIteratorBaseEdT_ENKUlvE_clEvENKUlvE_clEvEUlfE_EEvSA_T1_T2_EUlP25hiprandStatePhilox4_32_10E0_ZNS1_27distribution_nullary_kernelIhf15HIP_vector_typeIfLj4EES7_SJ_SE_EEvSA_SG_RKT3_T4_EUlifE_EEvlNS_15PhiloxCudaStateESF_SG_,"axG",@progbits,_ZN2at6native12_GLOBAL__N_143distribution_elementwise_grid_stride_kernelIfLi4EZNS0_9templates4cuda21uniform_and_transformIhfPNS_17CUDAGeneratorImplEZZZNS4_16bernoulli_kernelIS7_EEvRNS_18TensorIteratorBaseEdT_ENKUlvE_clEvENKUlvE_clEvEUlfE_EEvSA_T1_T2_EUlP25hiprandStatePhilox4_32_10E0_ZNS1_27distribution_nullary_kernelIhf15HIP_vector_typeIfLj4EES7_SJ_SE_EEvSA_SG_RKT3_T4_EUlifE_EEvlNS_15PhiloxCudaStateESF_SG_,comdat
.Lfunc_end123:
	.size	_ZN2at6native12_GLOBAL__N_143distribution_elementwise_grid_stride_kernelIfLi4EZNS0_9templates4cuda21uniform_and_transformIhfPNS_17CUDAGeneratorImplEZZZNS4_16bernoulli_kernelIS7_EEvRNS_18TensorIteratorBaseEdT_ENKUlvE_clEvENKUlvE_clEvEUlfE_EEvSA_T1_T2_EUlP25hiprandStatePhilox4_32_10E0_ZNS1_27distribution_nullary_kernelIhf15HIP_vector_typeIfLj4EES7_SJ_SE_EEvSA_SG_RKT3_T4_EUlifE_EEvlNS_15PhiloxCudaStateESF_SG_, .Lfunc_end123-_ZN2at6native12_GLOBAL__N_143distribution_elementwise_grid_stride_kernelIfLi4EZNS0_9templates4cuda21uniform_and_transformIhfPNS_17CUDAGeneratorImplEZZZNS4_16bernoulli_kernelIS7_EEvRNS_18TensorIteratorBaseEdT_ENKUlvE_clEvENKUlvE_clEvEUlfE_EEvSA_T1_T2_EUlP25hiprandStatePhilox4_32_10E0_ZNS1_27distribution_nullary_kernelIhf15HIP_vector_typeIfLj4EES7_SJ_SE_EEvSA_SG_RKT3_T4_EUlifE_EEvlNS_15PhiloxCudaStateESF_SG_
                                        ; -- End function
	.section	.AMDGPU.csdata,"",@progbits
; Kernel info:
; codeLenInByte = 2928
; NumSgprs: 25
; NumVgprs: 45
; ScratchSize: 0
; MemoryBound: 0
; FloatMode: 240
; IeeeMode: 1
; LDSByteSize: 0 bytes/workgroup (compile time only)
; SGPRBlocks: 3
; VGPRBlocks: 5
; NumSGPRsForWavesPerEU: 25
; NumVGPRsForWavesPerEU: 45
; Occupancy: 16
; WaveLimiterHint : 0
; COMPUTE_PGM_RSRC2:SCRATCH_EN: 0
; COMPUTE_PGM_RSRC2:USER_SGPR: 15
; COMPUTE_PGM_RSRC2:TRAP_HANDLER: 0
; COMPUTE_PGM_RSRC2:TGID_X_EN: 1
; COMPUTE_PGM_RSRC2:TGID_Y_EN: 0
; COMPUTE_PGM_RSRC2:TGID_Z_EN: 0
; COMPUTE_PGM_RSRC2:TIDIG_COMP_CNT: 0
	.section	.text._ZN2at6native12_GLOBAL__N_143distribution_elementwise_grid_stride_kernelIfLi4EZNS0_9templates4cuda21uniform_and_transformIhfPNS_17CUDAGeneratorImplEZZZNS4_16bernoulli_kernelIS7_EEvRNS_18TensorIteratorBaseEdT_ENKUlvE_clEvENKUlvE_clEvEUlfE_EEvSA_T1_T2_EUlP25hiprandStatePhilox4_32_10E0_ZNS1_27distribution_nullary_kernelIhf15HIP_vector_typeIfLj4EES7_SJ_SE_EEvSA_SG_RKT3_T4_EUlifE0_EEvlNS_15PhiloxCudaStateESF_SG_,"axG",@progbits,_ZN2at6native12_GLOBAL__N_143distribution_elementwise_grid_stride_kernelIfLi4EZNS0_9templates4cuda21uniform_and_transformIhfPNS_17CUDAGeneratorImplEZZZNS4_16bernoulli_kernelIS7_EEvRNS_18TensorIteratorBaseEdT_ENKUlvE_clEvENKUlvE_clEvEUlfE_EEvSA_T1_T2_EUlP25hiprandStatePhilox4_32_10E0_ZNS1_27distribution_nullary_kernelIhf15HIP_vector_typeIfLj4EES7_SJ_SE_EEvSA_SG_RKT3_T4_EUlifE0_EEvlNS_15PhiloxCudaStateESF_SG_,comdat
	.globl	_ZN2at6native12_GLOBAL__N_143distribution_elementwise_grid_stride_kernelIfLi4EZNS0_9templates4cuda21uniform_and_transformIhfPNS_17CUDAGeneratorImplEZZZNS4_16bernoulli_kernelIS7_EEvRNS_18TensorIteratorBaseEdT_ENKUlvE_clEvENKUlvE_clEvEUlfE_EEvSA_T1_T2_EUlP25hiprandStatePhilox4_32_10E0_ZNS1_27distribution_nullary_kernelIhf15HIP_vector_typeIfLj4EES7_SJ_SE_EEvSA_SG_RKT3_T4_EUlifE0_EEvlNS_15PhiloxCudaStateESF_SG_ ; -- Begin function _ZN2at6native12_GLOBAL__N_143distribution_elementwise_grid_stride_kernelIfLi4EZNS0_9templates4cuda21uniform_and_transformIhfPNS_17CUDAGeneratorImplEZZZNS4_16bernoulli_kernelIS7_EEvRNS_18TensorIteratorBaseEdT_ENKUlvE_clEvENKUlvE_clEvEUlfE_EEvSA_T1_T2_EUlP25hiprandStatePhilox4_32_10E0_ZNS1_27distribution_nullary_kernelIhf15HIP_vector_typeIfLj4EES7_SJ_SE_EEvSA_SG_RKT3_T4_EUlifE0_EEvlNS_15PhiloxCudaStateESF_SG_
	.p2align	8
	.type	_ZN2at6native12_GLOBAL__N_143distribution_elementwise_grid_stride_kernelIfLi4EZNS0_9templates4cuda21uniform_and_transformIhfPNS_17CUDAGeneratorImplEZZZNS4_16bernoulli_kernelIS7_EEvRNS_18TensorIteratorBaseEdT_ENKUlvE_clEvENKUlvE_clEvEUlfE_EEvSA_T1_T2_EUlP25hiprandStatePhilox4_32_10E0_ZNS1_27distribution_nullary_kernelIhf15HIP_vector_typeIfLj4EES7_SJ_SE_EEvSA_SG_RKT3_T4_EUlifE0_EEvlNS_15PhiloxCudaStateESF_SG_,@function
_ZN2at6native12_GLOBAL__N_143distribution_elementwise_grid_stride_kernelIfLi4EZNS0_9templates4cuda21uniform_and_transformIhfPNS_17CUDAGeneratorImplEZZZNS4_16bernoulli_kernelIS7_EEvRNS_18TensorIteratorBaseEdT_ENKUlvE_clEvENKUlvE_clEvEUlfE_EEvSA_T1_T2_EUlP25hiprandStatePhilox4_32_10E0_ZNS1_27distribution_nullary_kernelIhf15HIP_vector_typeIfLj4EES7_SJ_SE_EEvSA_SG_RKT3_T4_EUlifE0_EEvlNS_15PhiloxCudaStateESF_SG_: ; @_ZN2at6native12_GLOBAL__N_143distribution_elementwise_grid_stride_kernelIfLi4EZNS0_9templates4cuda21uniform_and_transformIhfPNS_17CUDAGeneratorImplEZZZNS4_16bernoulli_kernelIS7_EEvRNS_18TensorIteratorBaseEdT_ENKUlvE_clEvENKUlvE_clEvEUlfE_EEvSA_T1_T2_EUlP25hiprandStatePhilox4_32_10E0_ZNS1_27distribution_nullary_kernelIhf15HIP_vector_typeIfLj4EES7_SJ_SE_EEvSA_SG_RKT3_T4_EUlifE0_EEvlNS_15PhiloxCudaStateESF_SG_
; %bb.0:
	s_clause 0x2
	s_load_b64 s[4:5], s[0:1], 0x10
	s_load_b128 s[16:19], s[0:1], 0x0
	s_load_b32 s2, s[0:1], 0x20
	s_waitcnt lgkmcnt(0)
	v_dual_mov_b32 v2, s4 :: v_dual_mov_b32 v3, s5
	v_dual_mov_b32 v11, s18 :: v_dual_mov_b32 v12, s19
	s_bitcmp0_b32 s2, 0
	s_mov_b32 s2, 0
	s_cbranch_scc1 .LBB124_2
; %bb.1:
	v_dual_mov_b32 v1, s4 :: v_dual_mov_b32 v2, s5
	v_dual_mov_b32 v4, s18 :: v_dual_mov_b32 v5, s19
	s_load_b64 s[4:5], s[0:1], 0x18
	flat_load_b64 v[2:3], v[1:2]
	flat_load_b64 v[11:12], v[4:5]
	s_waitcnt vmcnt(1) lgkmcnt(0)
	v_add_co_u32 v2, vcc_lo, v2, s4
	v_add_co_ci_u32_e32 v3, vcc_lo, s5, v3, vcc_lo
.LBB124_2:
	s_clause 0x1
	s_load_b32 s3, s[0:1], 0x154
	s_load_b32 s4, s[0:1], 0x148
	s_waitcnt lgkmcnt(0)
	s_and_b32 s5, s3, 0xffff
	s_add_u32 s6, s16, -1
	s_mul_i32 s24, s4, s5
	s_addc_u32 s3, s17, -1
	s_lshl_b32 s25, s24, 2
	s_cmp_lg_u64 s[2:3], 0
	s_cbranch_scc0 .LBB124_79
; %bb.3:
	v_cvt_f32_ubyte0_e32 v1, 0
	v_cvt_f32_u32_e32 v4, s25
	s_sub_u32 s8, 0, s25
	s_subb_u32 s9, 0, 0
	s_delay_alu instid0(VALU_DEP_1) | instskip(NEXT) | instid1(VALU_DEP_1)
	v_fmamk_f32 v1, v1, 0x4f800000, v4
	v_rcp_f32_e32 v1, v1
	s_waitcnt_depctr 0xfff
	v_mul_f32_e32 v1, 0x5f7ffffc, v1
	s_delay_alu instid0(VALU_DEP_1) | instskip(NEXT) | instid1(VALU_DEP_1)
	v_mul_f32_e32 v4, 0x2f800000, v1
	v_trunc_f32_e32 v4, v4
	s_delay_alu instid0(VALU_DEP_1) | instskip(SKIP_1) | instid1(VALU_DEP_2)
	v_fmamk_f32 v1, v4, 0xcf800000, v1
	v_cvt_u32_f32_e32 v4, v4
	v_cvt_u32_f32_e32 v1, v1
	s_delay_alu instid0(VALU_DEP_2) | instskip(NEXT) | instid1(VALU_DEP_2)
	v_readfirstlane_b32 s2, v4
	v_readfirstlane_b32 s7, v1
	s_delay_alu instid0(VALU_DEP_2) | instskip(NEXT) | instid1(VALU_DEP_1)
	s_mul_i32 s10, s8, s2
	s_mul_hi_u32 s12, s8, s7
	s_mul_i32 s11, s9, s7
	s_add_i32 s10, s12, s10
	s_mul_i32 s13, s8, s7
	s_add_i32 s10, s10, s11
	s_mul_hi_u32 s12, s7, s13
	s_mul_hi_u32 s14, s2, s13
	s_mul_i32 s11, s2, s13
	s_mul_hi_u32 s13, s7, s10
	s_mul_i32 s7, s7, s10
	s_mul_hi_u32 s18, s2, s10
	s_add_u32 s7, s12, s7
	s_addc_u32 s12, 0, s13
	s_add_u32 s7, s7, s11
	s_mul_i32 s10, s2, s10
	s_addc_u32 s7, s12, s14
	s_addc_u32 s11, s18, 0
	s_add_u32 s7, s7, s10
	s_addc_u32 s10, 0, s11
	v_add_co_u32 v1, s7, v1, s7
	s_delay_alu instid0(VALU_DEP_1) | instskip(SKIP_1) | instid1(VALU_DEP_1)
	s_cmp_lg_u32 s7, 0
	s_addc_u32 s2, s2, s10
	v_readfirstlane_b32 s7, v1
	s_mul_i32 s10, s8, s2
	s_delay_alu instid0(VALU_DEP_1)
	s_mul_hi_u32 s11, s8, s7
	s_mul_i32 s9, s9, s7
	s_add_i32 s10, s11, s10
	s_mul_i32 s8, s8, s7
	s_add_i32 s10, s10, s9
	s_mul_hi_u32 s11, s2, s8
	s_mul_i32 s12, s2, s8
	s_mul_hi_u32 s8, s7, s8
	s_mul_hi_u32 s13, s7, s10
	s_mul_i32 s7, s7, s10
	s_mul_hi_u32 s9, s2, s10
	s_add_u32 s7, s8, s7
	s_addc_u32 s8, 0, s13
	s_add_u32 s7, s7, s12
	s_mul_i32 s10, s2, s10
	s_addc_u32 s7, s8, s11
	s_addc_u32 s8, s9, 0
	s_add_u32 s7, s7, s10
	s_addc_u32 s8, 0, s8
	v_add_co_u32 v1, s7, v1, s7
	s_delay_alu instid0(VALU_DEP_1) | instskip(SKIP_2) | instid1(VALU_DEP_1)
	s_cmp_lg_u32 s7, 0
	s_addc_u32 s7, s2, s8
	s_ashr_i32 s8, s3, 31
	v_readfirstlane_b32 s10, v1
	s_add_u32 s2, s6, s8
	s_mov_b32 s9, s8
	s_addc_u32 s3, s3, s8
	s_delay_alu instid0(SALU_CYCLE_1) | instskip(NEXT) | instid1(SALU_CYCLE_1)
	s_xor_b64 s[2:3], s[2:3], s[8:9]
	s_mul_i32 s12, s2, s7
	s_mul_hi_u32 s13, s2, s10
	s_mul_hi_u32 s11, s2, s7
	;; [unrolled: 1-line block ×3, first 2 shown]
	s_mul_i32 s10, s3, s10
	s_add_u32 s12, s13, s12
	s_addc_u32 s11, 0, s11
	s_mul_hi_u32 s14, s3, s7
	s_add_u32 s10, s12, s10
	s_mul_i32 s7, s3, s7
	s_addc_u32 s10, s11, s18
	s_addc_u32 s11, s14, 0
	s_add_u32 s7, s10, s7
	s_addc_u32 s10, 0, s11
	s_mul_i32 s12, s25, s7
	s_add_u32 s11, s7, 1
	v_sub_co_u32 v1, s2, s2, s12
	s_mul_hi_u32 s12, s25, s7
	s_addc_u32 s13, s10, 0
	s_mul_i32 s14, s25, s10
	s_delay_alu instid0(VALU_DEP_1)
	v_sub_co_u32 v4, s18, v1, s25
	s_add_u32 s19, s7, 2
	s_addc_u32 s20, s10, 0
	s_add_i32 s12, s12, s14
	s_cmp_lg_u32 s2, 0
	v_readfirstlane_b32 s2, v4
	s_subb_u32 s3, s3, s12
	s_cmp_lg_u32 s18, 0
	s_subb_u32 s12, s3, 0
	s_delay_alu instid0(VALU_DEP_1) | instskip(SKIP_4) | instid1(SALU_CYCLE_1)
	s_cmp_ge_u32 s2, s25
	s_cselect_b32 s2, -1, 0
	s_cmp_eq_u32 s12, 0
	v_readfirstlane_b32 s12, v1
	s_cselect_b32 s2, s2, -1
	s_cmp_lg_u32 s2, 0
	s_cselect_b32 s2, s19, s11
	s_cselect_b32 s11, s20, s13
	s_cmp_ge_u32 s12, s25
	s_cselect_b32 s12, -1, 0
	s_cmp_eq_u32 s3, 0
	s_cselect_b32 s3, s12, -1
	s_delay_alu instid0(SALU_CYCLE_1) | instskip(SKIP_2) | instid1(SALU_CYCLE_1)
	s_cmp_lg_u32 s3, 0
	s_cselect_b32 s3, s11, s10
	s_cselect_b32 s2, s2, s7
	s_xor_b64 s[2:3], s[2:3], s[8:9]
	s_delay_alu instid0(SALU_CYCLE_1)
	s_sub_u32 s2, s2, s8
	s_subb_u32 s3, s3, s8
	s_cbranch_execnz .LBB124_5
.LBB124_4:
	v_cvt_f32_u32_e32 v1, s25
	s_sub_i32 s3, 0, s25
	s_delay_alu instid0(VALU_DEP_1) | instskip(SKIP_2) | instid1(VALU_DEP_1)
	v_rcp_iflag_f32_e32 v1, v1
	s_waitcnt_depctr 0xfff
	v_mul_f32_e32 v1, 0x4f7ffffe, v1
	v_cvt_u32_f32_e32 v1, v1
	s_delay_alu instid0(VALU_DEP_1) | instskip(NEXT) | instid1(VALU_DEP_1)
	v_readfirstlane_b32 s2, v1
	s_mul_i32 s3, s3, s2
	s_delay_alu instid0(SALU_CYCLE_1) | instskip(NEXT) | instid1(SALU_CYCLE_1)
	s_mul_hi_u32 s3, s2, s3
	s_add_i32 s2, s2, s3
	s_delay_alu instid0(SALU_CYCLE_1) | instskip(NEXT) | instid1(SALU_CYCLE_1)
	s_mul_hi_u32 s2, s6, s2
	s_mul_i32 s3, s2, s25
	s_delay_alu instid0(SALU_CYCLE_1)
	s_sub_i32 s3, s6, s3
	s_add_i32 s6, s2, 1
	s_sub_i32 s7, s3, s25
	s_cmp_ge_u32 s3, s25
	s_cselect_b32 s2, s6, s2
	s_cselect_b32 s3, s7, s3
	s_add_i32 s6, s2, 1
	s_cmp_ge_u32 s3, s25
	s_mov_b32 s3, 0
	s_cselect_b32 s2, s6, s2
.LBB124_5:
	v_mov_b32_e32 v1, 0
	s_add_u32 s2, s2, 1
	s_addc_u32 s3, s3, 0
	s_mul_hi_u32 s6, s24, s2
	s_mul_i32 s3, s24, s3
	v_mad_u64_u32 v[13:14], null, s5, s15, v[0:1]
	s_mul_hi_u32 s4, s4, s5
	s_add_i32 s3, s6, s3
	s_mul_i32 s4, s4, s2
	s_mul_i32 s2, s24, s2
	s_add_i32 s3, s3, s4
	s_mov_b32 s4, exec_lo
	s_lshl_b64 s[2:3], s[2:3], 2
	s_delay_alu instid0(SALU_CYCLE_1)
	v_cmpx_gt_i64_e64 s[2:3], v[13:14]
	s_cbranch_execz .LBB124_78
; %bb.6:
	v_alignbit_b32 v17, v3, v2, 2
	v_mad_u64_u32 v[4:5], null, 0xcd9e8d57, v13, 0
	v_lshrrev_b32_e32 v18, 2, v3
	s_waitcnt vmcnt(0)
	v_dual_mov_b32 v9, v12 :: v_dual_add_nc_u32 v28, 0x8ff34781, v11
	v_mad_u64_u32 v[0:1], null, 0xd2511f53, v17, 0
	v_add_co_u32 v20, null, 0x9e3779b9, v11
	v_xor3_b32 v3, v11, v5, v18
	s_delay_alu instid0(VALU_DEP_4) | instskip(SKIP_2) | instid1(VALU_DEP_4)
	v_add_co_u32 v19, null, 0xbb67ae85, v9
	v_add_co_u32 v21, null, 0x3c6ef372, v11
	v_xor_b32_e32 v1, v1, v12
	v_mad_u64_u32 v[5:6], null, 0xd2511f53, v3, 0
	v_add_co_u32 v22, null, 0x76cf5d0a, v9
	s_delay_alu instid0(VALU_DEP_3) | instskip(SKIP_2) | instid1(VALU_DEP_3)
	v_xor_b32_e32 v1, v1, v14
	v_add_co_u32 v23, null, 0x32370b8f, v9
	v_add_co_u32 v24, null, 0xdaa66d2b, v11
	v_mad_u64_u32 v[7:8], null, 0xcd9e8d57, v1, 0
	v_xor3_b32 v3, v19, v6, v0
	v_dual_mov_b32 v36, v13 :: v_dual_and_b32 v25, 3, v2
	v_add_co_u32 v26, null, 0x78dde6e4, v11
	s_delay_alu instid0(VALU_DEP_3) | instskip(SKIP_3) | instid1(VALU_DEP_3)
	v_mad_u64_u32 v[0:1], null, 0xcd9e8d57, v3, 0
	v_xor3_b32 v6, v20, v8, v4
	v_add_co_u32 v27, null, 0xed9eba14, v9
	v_add_co_u32 v31, null, 0xa9066899, v9
	v_mad_u64_u32 v[3:4], null, 0xd2511f53, v6, 0
	v_xor3_b32 v1, v21, v1, v7
	v_add_co_u32 v32, null, 0x1715609d, v11
	s_clause 0x1
	s_load_b64 s[20:21], s[0:1], 0xf4
	s_load_b128 s[12:15], s[0:1], 0x138
	v_add_co_u32 v33, null, 0xb54cda56, v11
	s_delay_alu instid0(VALU_DEP_4) | instskip(SKIP_2) | instid1(VALU_DEP_3)
	v_xor3_b32 v8, v22, v4, v5
	v_mad_u64_u32 v[4:5], null, 0xd2511f53, v1, 0
	v_add_co_u32 v34, null, 0x646e171e, v9
	v_mad_u64_u32 v[6:7], null, 0xcd9e8d57, v8, 0
	s_load_b256 s[4:11], s[0:1], 0x30
	v_add_co_u32 v30, null, 0x5384540f, v11
	s_delay_alu instid0(VALU_DEP_4) | instskip(SKIP_1) | instid1(VALU_DEP_4)
	v_xor3_b32 v3, v23, v5, v3
	v_add_co_u32 v37, null, 0x1fd5c5a3, v9
	v_xor3_b32 v5, v24, v7, v0
	v_add_co_u32 v35, null, 0xf1bbcdc8, v11
	s_delay_alu instid0(VALU_DEP_4) | instskip(NEXT) | instid1(VALU_DEP_3)
	v_mad_u64_u32 v[0:1], null, 0xcd9e8d57, v3, 0
	v_mad_u64_u32 v[2:3], null, 0xd2511f53, v5, 0
	s_waitcnt lgkmcnt(0)
	v_cvt_f32_f64_e32 v38, s[14:15]
	v_add_co_u32 v39, null, 0xdb3d7428, v9
	s_add_u32 s18, s0, 48
	s_delay_alu instid0(VALU_DEP_4) | instskip(SKIP_1) | instid1(VALU_DEP_4)
	v_xor3_b32 v1, v26, v1, v6
	s_addc_u32 s19, s1, 0
	v_xor3_b32 v7, v27, v3, v4
	s_add_i32 s22, s4, -1
	v_dual_mov_b32 v40, v14 :: v_dual_add_nc_u32 v29, 0x96a522ad, v12
	v_mad_u64_u32 v[3:4], null, 0xd2511f53, v1, 0
	s_delay_alu instid0(VALU_DEP_3) | instskip(SKIP_4) | instid1(VALU_DEP_2)
	v_mad_u64_u32 v[5:6], null, 0xcd9e8d57, v7, 0
	s_cmp_gt_u32 s22, 1
	s_mov_b32 s26, 0
	s_cselect_b32 s11, -1, 0
	s_cmp_lg_u32 s4, 0
	v_xor3_b32 v2, v31, v4, v2
	s_cselect_b32 s27, -1, 0
	s_delay_alu instid0(VALU_DEP_2) | instskip(SKIP_3) | instid1(VALU_DEP_2)
	v_xor3_b32 v4, v32, v6, v0
	s_add_u32 s0, s0, 0xf4
	s_addc_u32 s1, s1, 0
	v_mad_u64_u32 v[0:1], null, 0xcd9e8d57, v2, 0
	v_mad_u64_u32 v[6:7], null, 0xd2511f53, v4, 0
	s_min_u32 s14, s22, 15
	s_cmp_gt_u32 s4, 1
	s_mul_i32 s33, s24, 3
	s_cselect_b32 s4, -1, 0
	s_delay_alu instid0(VALU_DEP_2) | instskip(SKIP_1) | instid1(VALU_DEP_2)
	v_xor3_b32 v4, v33, v1, v5
	s_add_i32 s14, s14, 1
	v_xor3_b32 v5, v34, v7, v3
	s_lshl_b32 s28, s24, 1
	s_and_b32 s29, s14, 3
	v_mad_u64_u32 v[1:2], null, 0xd2511f53, v4, 0
	s_delay_alu instid0(VALU_DEP_2) | instskip(SKIP_3) | instid1(VALU_DEP_2)
	v_mad_u64_u32 v[3:4], null, 0xcd9e8d57, v5, 0
	s_cmp_lg_u32 s22, 2
	s_cselect_b32 s30, -1, 0
	s_and_b32 s31, s14, 28
	v_xor3_b32 v2, v37, v2, v6
	s_cmp_lg_u32 s29, 0
	s_delay_alu instid0(VALU_DEP_2) | instskip(SKIP_1) | instid1(VALU_DEP_2)
	v_xor3_b32 v0, v30, v4, v0
	s_cselect_b32 s34, -1, 0
	v_mad_u64_u32 v[4:5], null, 0xcd9e8d57, v2, 0
	s_delay_alu instid0(VALU_DEP_2) | instskip(NEXT) | instid1(VALU_DEP_2)
	v_mad_u64_u32 v[6:7], null, 0xd2511f53, v0, 0
	v_xor3_b32 v0, v35, v5, v3
	s_delay_alu instid0(VALU_DEP_2) | instskip(NEXT) | instid1(VALU_DEP_2)
	v_xor3_b32 v3, v39, v7, v1
	v_mad_u64_u32 v[7:8], null, 0xd2511f53, v0, 0
	s_delay_alu instid0(VALU_DEP_2) | instskip(NEXT) | instid1(VALU_DEP_2)
	v_mad_u64_u32 v[1:2], null, 0xcd9e8d57, v3, 0
	v_mov_b32_e32 v3, v7
	s_delay_alu instid0(VALU_DEP_2) | instskip(NEXT) | instid1(VALU_DEP_4)
	v_xor3_b32 v0, v2, v4, v28
	v_xor3_b32 v2, v8, v6, v29
	s_branch .LBB124_9
.LBB124_7:                              ;   in Loop: Header=BB124_9 Depth=1
	v_cvt_f32_u32_e32 v0, v3
	s_delay_alu instid0(VALU_DEP_1) | instskip(NEXT) | instid1(VALU_DEP_1)
	v_fmaak_f32 v0, 0x2f800000, v0, 0x2f800000
	v_cmp_lt_f32_e32 vcc_lo, v0, v38
	v_cndmask_b32_e64 v0, 0, 1, vcc_lo
	global_store_b8 v1, v0, s[12:13]
.LBB124_8:                              ;   in Loop: Header=BB124_9 Depth=1
	s_or_b32 exec_lo, exec_lo, s35
	v_add_co_u32 v13, vcc_lo, v13, s25
	v_add_co_ci_u32_e32 v14, vcc_lo, 0, v14, vcc_lo
	v_mov_b32_e32 v7, v15
	v_dual_mov_b32 v0, v4 :: v_dual_mov_b32 v1, v5
	s_delay_alu instid0(VALU_DEP_3) | instskip(NEXT) | instid1(VALU_DEP_3)
	v_cmp_le_i64_e32 vcc_lo, s[2:3], v[13:14]
	v_dual_mov_b32 v2, v6 :: v_dual_mov_b32 v3, v7
	s_waitcnt_vscnt null, 0x0
	s_barrier
	buffer_gl0_inv
	s_or_b32 s26, vcc_lo, s26
	s_delay_alu instid0(SALU_CYCLE_1)
	s_and_not1_b32 exec_lo, exec_lo, s26
	s_cbranch_execz .LBB124_78
.LBB124_9:                              ; =>This Loop Header: Depth=1
                                        ;     Child Loop BB124_24 Depth 2
                                        ;     Child Loop BB124_29 Depth 2
	;; [unrolled: 1-line block ×8, first 2 shown]
	v_add_co_u32 v17, vcc_lo, v17, 1
	s_delay_alu instid0(VALU_DEP_1) | instskip(SKIP_2) | instid1(VALU_DEP_1)
	v_cndmask_b32_e64 v4, 0, 1, vcc_lo
	v_add_co_ci_u32_e32 v18, vcc_lo, 0, v18, vcc_lo
	s_mov_b32 s14, exec_lo
	v_cmp_eq_u32_e32 vcc_lo, 0, v18
	s_delay_alu instid0(VALU_DEP_3) | instskip(NEXT) | instid1(VALU_DEP_1)
	v_cndmask_b32_e32 v4, 0, v4, vcc_lo
	v_add_nc_u32_e32 v36, v4, v36
	s_delay_alu instid0(VALU_DEP_1) | instskip(SKIP_2) | instid1(VALU_DEP_2)
	v_cmp_eq_u32_e32 vcc_lo, 0, v36
	v_mad_u64_u32 v[6:7], null, 0xcd9e8d57, v36, 0
	v_cndmask_b32_e32 v4, 0, v4, vcc_lo
	v_xor3_b32 v9, v7, v11, v18
	s_delay_alu instid0(VALU_DEP_2) | instskip(SKIP_1) | instid1(VALU_DEP_3)
	v_add_nc_u32_e32 v40, v4, v40
	v_mad_u64_u32 v[4:5], null, 0xd2511f53, v17, 0
	v_mad_u64_u32 v[7:8], null, 0xd2511f53, v9, 0
	s_delay_alu instid0(VALU_DEP_2) | instskip(NEXT) | instid1(VALU_DEP_2)
	v_xor_b32_e32 v5, v5, v12
	v_xor3_b32 v8, v19, v8, v4
	s_delay_alu instid0(VALU_DEP_2) | instskip(NEXT) | instid1(VALU_DEP_1)
	v_xor_b32_e32 v5, v40, v5
	v_mad_u64_u32 v[9:10], null, 0xcd9e8d57, v5, 0
	s_delay_alu instid0(VALU_DEP_3) | instskip(NEXT) | instid1(VALU_DEP_2)
	v_mad_u64_u32 v[4:5], null, 0xcd9e8d57, v8, 0
	v_xor3_b32 v6, v20, v10, v6
	s_delay_alu instid0(VALU_DEP_2) | instskip(NEXT) | instid1(VALU_DEP_2)
	v_xor3_b32 v8, v21, v5, v9
	v_mad_u64_u32 v[15:16], null, 0xd2511f53, v6, 0
	s_delay_alu instid0(VALU_DEP_2) | instskip(NEXT) | instid1(VALU_DEP_2)
	v_mad_u64_u32 v[5:6], null, 0xd2511f53, v8, 0
	v_xor3_b32 v9, v22, v16, v7
	s_delay_alu instid0(VALU_DEP_2) | instskip(NEXT) | instid1(VALU_DEP_2)
	v_xor3_b32 v6, v23, v6, v15
	v_mad_u64_u32 v[7:8], null, 0xcd9e8d57, v9, 0
	s_delay_alu instid0(VALU_DEP_1) | instskip(NEXT) | instid1(VALU_DEP_3)
	v_xor3_b32 v4, v24, v8, v4
	v_mad_u64_u32 v[8:9], null, 0xcd9e8d57, v6, 0
	s_delay_alu instid0(VALU_DEP_2) | instskip(NEXT) | instid1(VALU_DEP_2)
	v_mad_u64_u32 v[15:16], null, 0xd2511f53, v4, 0
	v_xor3_b32 v6, v26, v9, v7
	s_delay_alu instid0(VALU_DEP_2) | instskip(NEXT) | instid1(VALU_DEP_2)
	v_xor3_b32 v9, v27, v16, v5
	v_mad_u64_u32 v[4:5], null, 0xd2511f53, v6, 0
	s_delay_alu instid0(VALU_DEP_2) | instskip(NEXT) | instid1(VALU_DEP_2)
	v_mad_u64_u32 v[6:7], null, 0xcd9e8d57, v9, 0
	v_xor3_b32 v5, v31, v5, v15
	s_delay_alu instid0(VALU_DEP_2) | instskip(NEXT) | instid1(VALU_DEP_2)
	;; [unrolled: 6-line block ×6, first 2 shown]
	v_xor3_b32 v4, v6, v7, v28
	v_mov_b32_e32 v6, v10
	v_cmpx_lt_i32_e32 1, v25
	s_xor_b32 s14, exec_lo, s14
	s_cbranch_execnz .LBB124_12
; %bb.10:                               ;   in Loop: Header=BB124_9 Depth=1
	s_and_not1_saveexec_b32 s14, s14
	s_cbranch_execnz .LBB124_17
.LBB124_11:                             ;   in Loop: Header=BB124_9 Depth=1
	s_or_b32 exec_lo, exec_lo, s14
	s_delay_alu instid0(SALU_CYCLE_1)
	s_mov_b32 s35, exec_lo
	v_cmpx_gt_i64_e64 s[16:17], v[13:14]
	s_cbranch_execnz .LBB124_20
	s_branch .LBB124_34
.LBB124_12:                             ;   in Loop: Header=BB124_9 Depth=1
	s_mov_b32 s15, exec_lo
	v_cmpx_lt_i32_e32 2, v25
	s_xor_b32 s15, exec_lo, s15
; %bb.13:                               ;   in Loop: Header=BB124_9 Depth=1
	v_dual_mov_b32 v7, v3 :: v_dual_mov_b32 v8, v4
	v_mov_b32_e32 v9, v5
	s_delay_alu instid0(VALU_DEP_2) | instskip(NEXT) | instid1(VALU_DEP_2)
	v_dual_mov_b32 v0, v7 :: v_dual_mov_b32 v1, v8
	v_dual_mov_b32 v2, v9 :: v_dual_mov_b32 v3, v10
; %bb.14:                               ;   in Loop: Header=BB124_9 Depth=1
	s_and_not1_saveexec_b32 s15, s15
; %bb.15:                               ;   in Loop: Header=BB124_9 Depth=1
	s_delay_alu instid0(VALU_DEP_1)
	v_dual_mov_b32 v0, v2 :: v_dual_mov_b32 v1, v3
	v_dual_mov_b32 v2, v4 :: v_dual_mov_b32 v3, v5
; %bb.16:                               ;   in Loop: Header=BB124_9 Depth=1
	s_or_b32 exec_lo, exec_lo, s15
	s_and_not1_saveexec_b32 s14, s14
	s_cbranch_execz .LBB124_11
.LBB124_17:                             ;   in Loop: Header=BB124_9 Depth=1
	s_mov_b32 s15, exec_lo
	v_cmpx_eq_u32_e32 1, v25
; %bb.18:                               ;   in Loop: Header=BB124_9 Depth=1
	v_dual_mov_b32 v0, v1 :: v_dual_mov_b32 v1, v2
	v_dual_mov_b32 v2, v3 :: v_dual_mov_b32 v3, v4
; %bb.19:                               ;   in Loop: Header=BB124_9 Depth=1
	s_or_b32 exec_lo, exec_lo, s15
	s_delay_alu instid0(SALU_CYCLE_1) | instskip(NEXT) | instid1(SALU_CYCLE_1)
	s_or_b32 exec_lo, exec_lo, s14
	s_mov_b32 s35, exec_lo
	v_cmpx_gt_i64_e64 s[16:17], v[13:14]
	s_cbranch_execz .LBB124_34
.LBB124_20:                             ;   in Loop: Header=BB124_9 Depth=1
	s_and_not1_b32 vcc_lo, exec_lo, s11
	s_cbranch_vccnz .LBB124_26
; %bb.21:                               ;   in Loop: Header=BB124_9 Depth=1
	v_mov_b32_e32 v7, 0
	s_and_not1_b32 vcc_lo, exec_lo, s27
	s_cbranch_vccnz .LBB124_30
; %bb.22:                               ;   in Loop: Header=BB124_9 Depth=1
	s_and_not1_b32 vcc_lo, exec_lo, s30
	s_mov_b32 s14, 0
	s_cbranch_vccnz .LBB124_27
; %bb.23:                               ;   in Loop: Header=BB124_9 Depth=1
	v_dual_mov_b32 v7, 0 :: v_dual_mov_b32 v8, v13
	s_mov_b32 s36, 0
	s_mov_b64 s[14:15], s[18:19]
	s_mov_b64 s[22:23], s[0:1]
.LBB124_24:                             ;   Parent Loop BB124_9 Depth=1
                                        ; =>  This Inner Loop Header: Depth=2
	s_clause 0x1
	s_load_b256 s[40:47], s[14:15], 0x4
	s_load_b128 s[48:51], s[14:15], 0x24
	s_load_b128 s[52:55], s[22:23], 0x0
	s_add_u32 s14, s14, 48
	s_addc_u32 s15, s15, 0
	s_add_i32 s36, s36, 4
	s_add_u32 s22, s22, 16
	s_addc_u32 s23, s23, 0
	s_cmp_lg_u32 s31, s36
	s_waitcnt lgkmcnt(0)
	v_mul_hi_u32 v9, s41, v8
	s_delay_alu instid0(VALU_DEP_1) | instskip(NEXT) | instid1(VALU_DEP_1)
	v_add_nc_u32_e32 v9, v8, v9
	v_lshrrev_b32_e32 v9, s42, v9
	s_delay_alu instid0(VALU_DEP_1) | instskip(SKIP_1) | instid1(VALU_DEP_2)
	v_mul_hi_u32 v10, s44, v9
	v_mul_lo_u32 v42, v9, s40
	v_add_nc_u32_e32 v10, v9, v10
	s_delay_alu instid0(VALU_DEP_2) | instskip(NEXT) | instid1(VALU_DEP_2)
	v_sub_nc_u32_e32 v42, v8, v42
	v_lshrrev_b32_e32 v10, s45, v10
	s_delay_alu instid0(VALU_DEP_2) | instskip(NEXT) | instid1(VALU_DEP_2)
	v_mul_lo_u32 v42, v42, s52
	v_mul_hi_u32 v16, s47, v10
	v_mul_lo_u32 v43, v10, s43
	s_delay_alu instid0(VALU_DEP_2) | instskip(NEXT) | instid1(VALU_DEP_2)
	v_add_nc_u32_e32 v16, v10, v16
	v_sub_nc_u32_e32 v9, v9, v43
	s_delay_alu instid0(VALU_DEP_2) | instskip(NEXT) | instid1(VALU_DEP_2)
	v_lshrrev_b32_e32 v16, s48, v16
	v_mul_lo_u32 v9, v9, s53
	s_delay_alu instid0(VALU_DEP_2) | instskip(NEXT) | instid1(VALU_DEP_2)
	v_mul_hi_u32 v41, s50, v16
	v_add3_u32 v7, v42, v7, v9
	s_delay_alu instid0(VALU_DEP_2) | instskip(NEXT) | instid1(VALU_DEP_1)
	v_add_nc_u32_e32 v41, v16, v41
	v_lshrrev_b32_e32 v8, s51, v41
	v_mul_lo_u32 v41, v16, s46
	s_delay_alu instid0(VALU_DEP_2) | instskip(NEXT) | instid1(VALU_DEP_2)
	v_mul_lo_u32 v44, v8, s49
	v_sub_nc_u32_e32 v10, v10, v41
	s_delay_alu instid0(VALU_DEP_2) | instskip(NEXT) | instid1(VALU_DEP_2)
	v_sub_nc_u32_e32 v16, v16, v44
	v_mul_lo_u32 v10, v10, s54
	s_delay_alu instid0(VALU_DEP_2) | instskip(NEXT) | instid1(VALU_DEP_1)
	v_mul_lo_u32 v16, v16, s55
	v_add3_u32 v7, v10, v7, v16
	s_cbranch_scc1 .LBB124_24
; %bb.25:                               ;   in Loop: Header=BB124_9 Depth=1
	s_mov_b32 s14, s31
	s_and_not1_b32 vcc_lo, exec_lo, s34
	s_cbranch_vccz .LBB124_28
	s_branch .LBB124_30
.LBB124_26:                             ;   in Loop: Header=BB124_9 Depth=1
                                        ; implicit-def: $vgpr7
	s_branch .LBB124_31
.LBB124_27:                             ;   in Loop: Header=BB124_9 Depth=1
	v_mov_b32_e32 v8, v13
	s_and_not1_b32 vcc_lo, exec_lo, s34
	s_cbranch_vccnz .LBB124_30
.LBB124_28:                             ;   in Loop: Header=BB124_9 Depth=1
	s_lshl_b32 s15, s14, 2
	s_mul_i32 s22, s14, 12
	s_add_u32 s14, s0, s15
	s_addc_u32 s15, s1, 0
	s_add_u32 s22, s18, s22
	s_addc_u32 s23, s19, 0
	s_mov_b32 s36, s29
	.p2align	6
.LBB124_29:                             ;   Parent Loop BB124_9 Depth=1
                                        ; =>  This Inner Loop Header: Depth=2
	s_clause 0x1
	s_load_b64 s[38:39], s[22:23], 0x4
	s_load_b32 s37, s[22:23], 0xc
	s_add_u32 s22, s22, 12
	s_addc_u32 s23, s23, 0
	s_waitcnt lgkmcnt(0)
	v_mul_hi_u32 v9, s39, v8
	s_load_b32 s39, s[14:15], 0x0
	s_add_u32 s14, s14, 4
	s_addc_u32 s15, s15, 0
	s_add_i32 s36, s36, -1
	s_delay_alu instid0(SALU_CYCLE_1) | instskip(NEXT) | instid1(VALU_DEP_1)
	s_cmp_lg_u32 s36, 0
	v_add_nc_u32_e32 v9, v8, v9
	s_delay_alu instid0(VALU_DEP_1) | instskip(NEXT) | instid1(VALU_DEP_1)
	v_lshrrev_b32_e32 v16, s37, v9
	v_mul_lo_u32 v9, v16, s38
	s_delay_alu instid0(VALU_DEP_1) | instskip(SKIP_1) | instid1(VALU_DEP_1)
	v_sub_nc_u32_e32 v8, v8, v9
	s_waitcnt lgkmcnt(0)
	v_mad_u64_u32 v[9:10], null, v8, s39, v[7:8]
	s_delay_alu instid0(VALU_DEP_1)
	v_dual_mov_b32 v8, v16 :: v_dual_mov_b32 v7, v9
	s_cbranch_scc1 .LBB124_29
.LBB124_30:                             ;   in Loop: Header=BB124_9 Depth=1
	s_cbranch_execnz .LBB124_33
.LBB124_31:                             ;   in Loop: Header=BB124_9 Depth=1
	v_mul_hi_u32 v7, v13, s6
	s_and_not1_b32 vcc_lo, exec_lo, s4
	s_delay_alu instid0(VALU_DEP_1) | instskip(NEXT) | instid1(VALU_DEP_1)
	v_add_nc_u32_e32 v7, v7, v13
	v_lshrrev_b32_e32 v8, s7, v7
	s_delay_alu instid0(VALU_DEP_1) | instskip(NEXT) | instid1(VALU_DEP_1)
	v_mul_lo_u32 v7, v8, s5
	v_sub_nc_u32_e32 v7, v13, v7
	s_delay_alu instid0(VALU_DEP_1)
	v_mul_lo_u32 v7, v7, s20
	s_cbranch_vccnz .LBB124_33
; %bb.32:                               ;   in Loop: Header=BB124_9 Depth=1
	v_mul_hi_u32 v9, s9, v8
	s_delay_alu instid0(VALU_DEP_1) | instskip(NEXT) | instid1(VALU_DEP_1)
	v_add_nc_u32_e32 v9, v8, v9
	v_lshrrev_b32_e32 v9, s10, v9
	s_delay_alu instid0(VALU_DEP_1) | instskip(NEXT) | instid1(VALU_DEP_1)
	v_mul_lo_u32 v9, v9, s8
	v_sub_nc_u32_e32 v10, v8, v9
	s_delay_alu instid0(VALU_DEP_1) | instskip(NEXT) | instid1(VALU_DEP_1)
	v_mad_u64_u32 v[8:9], null, v10, s21, v[7:8]
	v_mov_b32_e32 v7, v8
.LBB124_33:                             ;   in Loop: Header=BB124_9 Depth=1
	v_cvt_f32_u32_e32 v0, v0
	s_delay_alu instid0(VALU_DEP_1) | instskip(NEXT) | instid1(VALU_DEP_1)
	v_fmaak_f32 v0, 0x2f800000, v0, 0x2f800000
	v_cmp_lt_f32_e32 vcc_lo, v0, v38
	v_cndmask_b32_e64 v0, 0, 1, vcc_lo
	global_store_b8 v7, v0, s[12:13]
.LBB124_34:                             ;   in Loop: Header=BB124_9 Depth=1
	s_or_b32 exec_lo, exec_lo, s35
	v_add_co_u32 v7, vcc_lo, v13, s24
	v_add_co_ci_u32_e32 v8, vcc_lo, 0, v14, vcc_lo
	s_mov_b32 s35, exec_lo
	s_delay_alu instid0(VALU_DEP_1)
	v_cmpx_gt_i64_e64 s[16:17], v[7:8]
	s_cbranch_execz .LBB124_49
; %bb.35:                               ;   in Loop: Header=BB124_9 Depth=1
	s_and_not1_b32 vcc_lo, exec_lo, s11
	s_cbranch_vccnz .LBB124_41
; %bb.36:                               ;   in Loop: Header=BB124_9 Depth=1
	v_mov_b32_e32 v0, 0
	s_and_not1_b32 vcc_lo, exec_lo, s27
	s_cbranch_vccnz .LBB124_45
; %bb.37:                               ;   in Loop: Header=BB124_9 Depth=1
	s_and_not1_b32 vcc_lo, exec_lo, s30
	s_mov_b32 s14, 0
	s_cbranch_vccnz .LBB124_42
; %bb.38:                               ;   in Loop: Header=BB124_9 Depth=1
	v_mov_b32_e32 v0, 0
	v_mov_b32_e32 v8, v7
	s_mov_b32 s36, 0
	s_mov_b64 s[14:15], s[18:19]
	s_mov_b64 s[22:23], s[0:1]
.LBB124_39:                             ;   Parent Loop BB124_9 Depth=1
                                        ; =>  This Inner Loop Header: Depth=2
	s_clause 0x1
	s_load_b256 s[40:47], s[14:15], 0x4
	s_load_b128 s[48:51], s[14:15], 0x24
	s_load_b128 s[52:55], s[22:23], 0x0
	s_add_u32 s14, s14, 48
	s_addc_u32 s15, s15, 0
	s_add_i32 s36, s36, 4
	s_add_u32 s22, s22, 16
	s_addc_u32 s23, s23, 0
	s_cmp_eq_u32 s31, s36
	s_waitcnt lgkmcnt(0)
	v_mul_hi_u32 v9, s41, v8
	s_delay_alu instid0(VALU_DEP_1) | instskip(NEXT) | instid1(VALU_DEP_1)
	v_add_nc_u32_e32 v9, v8, v9
	v_lshrrev_b32_e32 v9, s42, v9
	s_delay_alu instid0(VALU_DEP_1) | instskip(SKIP_1) | instid1(VALU_DEP_2)
	v_mul_hi_u32 v10, s44, v9
	v_mul_lo_u32 v42, v9, s40
	v_add_nc_u32_e32 v10, v9, v10
	s_delay_alu instid0(VALU_DEP_2) | instskip(NEXT) | instid1(VALU_DEP_2)
	v_sub_nc_u32_e32 v42, v8, v42
	v_lshrrev_b32_e32 v10, s45, v10
	s_delay_alu instid0(VALU_DEP_2) | instskip(NEXT) | instid1(VALU_DEP_2)
	v_mul_lo_u32 v42, v42, s52
	v_mul_hi_u32 v16, s47, v10
	v_mul_lo_u32 v43, v10, s43
	s_delay_alu instid0(VALU_DEP_2) | instskip(NEXT) | instid1(VALU_DEP_2)
	v_add_nc_u32_e32 v16, v10, v16
	v_sub_nc_u32_e32 v9, v9, v43
	s_delay_alu instid0(VALU_DEP_2) | instskip(NEXT) | instid1(VALU_DEP_2)
	v_lshrrev_b32_e32 v16, s48, v16
	v_mul_lo_u32 v9, v9, s53
	s_delay_alu instid0(VALU_DEP_2) | instskip(NEXT) | instid1(VALU_DEP_2)
	v_mul_hi_u32 v41, s50, v16
	v_add3_u32 v0, v42, v0, v9
	s_delay_alu instid0(VALU_DEP_2) | instskip(NEXT) | instid1(VALU_DEP_1)
	v_add_nc_u32_e32 v41, v16, v41
	v_lshrrev_b32_e32 v8, s51, v41
	v_mul_lo_u32 v41, v16, s46
	s_delay_alu instid0(VALU_DEP_2) | instskip(NEXT) | instid1(VALU_DEP_2)
	v_mul_lo_u32 v44, v8, s49
	v_sub_nc_u32_e32 v10, v10, v41
	s_delay_alu instid0(VALU_DEP_2) | instskip(NEXT) | instid1(VALU_DEP_2)
	v_sub_nc_u32_e32 v16, v16, v44
	v_mul_lo_u32 v10, v10, s54
	s_delay_alu instid0(VALU_DEP_2) | instskip(NEXT) | instid1(VALU_DEP_1)
	v_mul_lo_u32 v16, v16, s55
	v_add3_u32 v0, v10, v0, v16
	s_cbranch_scc0 .LBB124_39
; %bb.40:                               ;   in Loop: Header=BB124_9 Depth=1
	s_mov_b32 s14, s31
	s_and_not1_b32 vcc_lo, exec_lo, s34
	s_cbranch_vccz .LBB124_43
	s_branch .LBB124_45
.LBB124_41:                             ;   in Loop: Header=BB124_9 Depth=1
                                        ; implicit-def: $vgpr0
	s_branch .LBB124_46
.LBB124_42:                             ;   in Loop: Header=BB124_9 Depth=1
	v_mov_b32_e32 v8, v7
	s_and_not1_b32 vcc_lo, exec_lo, s34
	s_cbranch_vccnz .LBB124_45
.LBB124_43:                             ;   in Loop: Header=BB124_9 Depth=1
	s_lshl_b32 s15, s14, 2
	s_mul_i32 s22, s14, 12
	s_add_u32 s14, s0, s15
	s_addc_u32 s15, s1, 0
	s_add_u32 s22, s18, s22
	s_addc_u32 s23, s19, 0
	s_mov_b32 s36, s29
	.p2align	6
.LBB124_44:                             ;   Parent Loop BB124_9 Depth=1
                                        ; =>  This Inner Loop Header: Depth=2
	s_clause 0x1
	s_load_b64 s[38:39], s[22:23], 0x4
	s_load_b32 s37, s[22:23], 0xc
	s_add_u32 s22, s22, 12
	s_addc_u32 s23, s23, 0
	s_waitcnt lgkmcnt(0)
	v_mul_hi_u32 v9, s39, v8
	s_load_b32 s39, s[14:15], 0x0
	s_add_u32 s14, s14, 4
	s_addc_u32 s15, s15, 0
	s_add_i32 s36, s36, -1
	s_delay_alu instid0(SALU_CYCLE_1) | instskip(NEXT) | instid1(VALU_DEP_1)
	s_cmp_lg_u32 s36, 0
	v_add_nc_u32_e32 v9, v8, v9
	s_delay_alu instid0(VALU_DEP_1) | instskip(NEXT) | instid1(VALU_DEP_1)
	v_lshrrev_b32_e32 v16, s37, v9
	v_mul_lo_u32 v9, v16, s38
	s_delay_alu instid0(VALU_DEP_1) | instskip(SKIP_1) | instid1(VALU_DEP_1)
	v_sub_nc_u32_e32 v8, v8, v9
	s_waitcnt lgkmcnt(0)
	v_mad_u64_u32 v[9:10], null, v8, s39, v[0:1]
	v_mov_b32_e32 v8, v16
	s_delay_alu instid0(VALU_DEP_2)
	v_mov_b32_e32 v0, v9
	s_cbranch_scc1 .LBB124_44
.LBB124_45:                             ;   in Loop: Header=BB124_9 Depth=1
	s_cbranch_execnz .LBB124_48
.LBB124_46:                             ;   in Loop: Header=BB124_9 Depth=1
	v_mul_hi_u32 v0, v7, s6
	s_and_not1_b32 vcc_lo, exec_lo, s4
	s_delay_alu instid0(VALU_DEP_1) | instskip(NEXT) | instid1(VALU_DEP_1)
	v_add_nc_u32_e32 v0, v0, v7
	v_lshrrev_b32_e32 v8, s7, v0
	s_delay_alu instid0(VALU_DEP_1) | instskip(NEXT) | instid1(VALU_DEP_1)
	v_mul_lo_u32 v0, v8, s5
	v_sub_nc_u32_e32 v0, v7, v0
	s_delay_alu instid0(VALU_DEP_1)
	v_mul_lo_u32 v0, v0, s20
	s_cbranch_vccnz .LBB124_48
; %bb.47:                               ;   in Loop: Header=BB124_9 Depth=1
	v_mul_hi_u32 v7, s9, v8
	s_delay_alu instid0(VALU_DEP_1) | instskip(NEXT) | instid1(VALU_DEP_1)
	v_add_nc_u32_e32 v7, v8, v7
	v_lshrrev_b32_e32 v7, s10, v7
	s_delay_alu instid0(VALU_DEP_1) | instskip(NEXT) | instid1(VALU_DEP_1)
	v_mul_lo_u32 v7, v7, s8
	v_sub_nc_u32_e32 v9, v8, v7
	s_delay_alu instid0(VALU_DEP_1) | instskip(NEXT) | instid1(VALU_DEP_1)
	v_mad_u64_u32 v[7:8], null, v9, s21, v[0:1]
	v_mov_b32_e32 v0, v7
.LBB124_48:                             ;   in Loop: Header=BB124_9 Depth=1
	v_cvt_f32_u32_e32 v1, v1
	s_delay_alu instid0(VALU_DEP_1) | instskip(NEXT) | instid1(VALU_DEP_1)
	v_fmaak_f32 v1, 0x2f800000, v1, 0x2f800000
	v_cmp_lt_f32_e32 vcc_lo, v1, v38
	v_cndmask_b32_e64 v1, 0, 1, vcc_lo
	global_store_b8 v0, v1, s[12:13]
.LBB124_49:                             ;   in Loop: Header=BB124_9 Depth=1
	s_or_b32 exec_lo, exec_lo, s35
	v_add_co_u32 v0, vcc_lo, v13, s28
	v_add_co_ci_u32_e32 v1, vcc_lo, 0, v14, vcc_lo
	s_mov_b32 s35, exec_lo
	s_delay_alu instid0(VALU_DEP_1)
	v_cmpx_gt_i64_e64 s[16:17], v[0:1]
	s_cbranch_execz .LBB124_64
; %bb.50:                               ;   in Loop: Header=BB124_9 Depth=1
	s_and_not1_b32 vcc_lo, exec_lo, s11
	s_cbranch_vccnz .LBB124_56
; %bb.51:                               ;   in Loop: Header=BB124_9 Depth=1
	v_mov_b32_e32 v1, 0
	s_and_not1_b32 vcc_lo, exec_lo, s27
	s_cbranch_vccnz .LBB124_60
; %bb.52:                               ;   in Loop: Header=BB124_9 Depth=1
	s_and_not1_b32 vcc_lo, exec_lo, s30
	s_mov_b32 s14, 0
	s_cbranch_vccnz .LBB124_57
; %bb.53:                               ;   in Loop: Header=BB124_9 Depth=1
	v_mov_b32_e32 v1, 0
	v_mov_b32_e32 v7, v0
	s_mov_b32 s36, 0
	s_mov_b64 s[14:15], s[18:19]
	s_mov_b64 s[22:23], s[0:1]
.LBB124_54:                             ;   Parent Loop BB124_9 Depth=1
                                        ; =>  This Inner Loop Header: Depth=2
	s_clause 0x1
	s_load_b256 s[40:47], s[14:15], 0x4
	s_load_b128 s[48:51], s[14:15], 0x24
	s_load_b128 s[52:55], s[22:23], 0x0
	s_add_u32 s14, s14, 48
	s_addc_u32 s15, s15, 0
	s_add_i32 s36, s36, 4
	s_add_u32 s22, s22, 16
	s_addc_u32 s23, s23, 0
	s_cmp_eq_u32 s31, s36
	s_waitcnt lgkmcnt(0)
	v_mul_hi_u32 v8, s41, v7
	s_delay_alu instid0(VALU_DEP_1) | instskip(NEXT) | instid1(VALU_DEP_1)
	v_add_nc_u32_e32 v8, v7, v8
	v_lshrrev_b32_e32 v8, s42, v8
	s_delay_alu instid0(VALU_DEP_1) | instskip(SKIP_1) | instid1(VALU_DEP_2)
	v_mul_hi_u32 v9, s44, v8
	v_mul_lo_u32 v41, v8, s40
	v_add_nc_u32_e32 v9, v8, v9
	s_delay_alu instid0(VALU_DEP_2) | instskip(NEXT) | instid1(VALU_DEP_2)
	v_sub_nc_u32_e32 v41, v7, v41
	v_lshrrev_b32_e32 v9, s45, v9
	s_delay_alu instid0(VALU_DEP_2) | instskip(NEXT) | instid1(VALU_DEP_2)
	v_mul_lo_u32 v41, v41, s52
	v_mul_hi_u32 v10, s47, v9
	v_mul_lo_u32 v42, v9, s43
	s_delay_alu instid0(VALU_DEP_2) | instskip(NEXT) | instid1(VALU_DEP_2)
	v_add_nc_u32_e32 v10, v9, v10
	v_sub_nc_u32_e32 v8, v8, v42
	s_delay_alu instid0(VALU_DEP_2) | instskip(NEXT) | instid1(VALU_DEP_2)
	v_lshrrev_b32_e32 v10, s48, v10
	v_mul_lo_u32 v8, v8, s53
	s_delay_alu instid0(VALU_DEP_2) | instskip(NEXT) | instid1(VALU_DEP_2)
	v_mul_hi_u32 v16, s50, v10
	v_add3_u32 v1, v41, v1, v8
	s_delay_alu instid0(VALU_DEP_2) | instskip(NEXT) | instid1(VALU_DEP_1)
	v_add_nc_u32_e32 v16, v10, v16
	v_lshrrev_b32_e32 v7, s51, v16
	v_mul_lo_u32 v16, v10, s46
	s_delay_alu instid0(VALU_DEP_2) | instskip(NEXT) | instid1(VALU_DEP_2)
	v_mul_lo_u32 v43, v7, s49
	v_sub_nc_u32_e32 v9, v9, v16
	s_delay_alu instid0(VALU_DEP_2) | instskip(NEXT) | instid1(VALU_DEP_2)
	v_sub_nc_u32_e32 v10, v10, v43
	v_mul_lo_u32 v9, v9, s54
	s_delay_alu instid0(VALU_DEP_2) | instskip(NEXT) | instid1(VALU_DEP_1)
	v_mul_lo_u32 v10, v10, s55
	v_add3_u32 v1, v9, v1, v10
	s_cbranch_scc0 .LBB124_54
; %bb.55:                               ;   in Loop: Header=BB124_9 Depth=1
	s_mov_b32 s14, s31
	s_and_not1_b32 vcc_lo, exec_lo, s34
	s_cbranch_vccz .LBB124_58
	s_branch .LBB124_60
.LBB124_56:                             ;   in Loop: Header=BB124_9 Depth=1
                                        ; implicit-def: $vgpr1
	s_branch .LBB124_61
.LBB124_57:                             ;   in Loop: Header=BB124_9 Depth=1
	v_mov_b32_e32 v7, v0
	s_and_not1_b32 vcc_lo, exec_lo, s34
	s_cbranch_vccnz .LBB124_60
.LBB124_58:                             ;   in Loop: Header=BB124_9 Depth=1
	s_lshl_b32 s15, s14, 2
	s_mul_i32 s22, s14, 12
	s_add_u32 s14, s0, s15
	s_addc_u32 s15, s1, 0
	s_add_u32 s22, s18, s22
	s_addc_u32 s23, s19, 0
	s_mov_b32 s36, s29
	.p2align	6
.LBB124_59:                             ;   Parent Loop BB124_9 Depth=1
                                        ; =>  This Inner Loop Header: Depth=2
	s_clause 0x1
	s_load_b64 s[38:39], s[22:23], 0x4
	s_load_b32 s37, s[22:23], 0xc
	s_add_u32 s22, s22, 12
	s_addc_u32 s23, s23, 0
	s_waitcnt lgkmcnt(0)
	v_mul_hi_u32 v8, s39, v7
	s_load_b32 s39, s[14:15], 0x0
	s_add_u32 s14, s14, 4
	s_addc_u32 s15, s15, 0
	s_add_i32 s36, s36, -1
	s_delay_alu instid0(SALU_CYCLE_1) | instskip(NEXT) | instid1(VALU_DEP_1)
	s_cmp_lg_u32 s36, 0
	v_add_nc_u32_e32 v8, v7, v8
	s_delay_alu instid0(VALU_DEP_1) | instskip(NEXT) | instid1(VALU_DEP_1)
	v_lshrrev_b32_e32 v10, s37, v8
	v_mul_lo_u32 v8, v10, s38
	s_delay_alu instid0(VALU_DEP_1) | instskip(SKIP_1) | instid1(VALU_DEP_1)
	v_sub_nc_u32_e32 v7, v7, v8
	s_waitcnt lgkmcnt(0)
	v_mad_u64_u32 v[8:9], null, v7, s39, v[1:2]
	v_mov_b32_e32 v7, v10
	s_delay_alu instid0(VALU_DEP_2)
	v_mov_b32_e32 v1, v8
	s_cbranch_scc1 .LBB124_59
.LBB124_60:                             ;   in Loop: Header=BB124_9 Depth=1
	s_cbranch_execnz .LBB124_63
.LBB124_61:                             ;   in Loop: Header=BB124_9 Depth=1
	v_mul_hi_u32 v1, v0, s6
	s_and_not1_b32 vcc_lo, exec_lo, s4
	s_delay_alu instid0(VALU_DEP_1) | instskip(NEXT) | instid1(VALU_DEP_1)
	v_add_nc_u32_e32 v1, v1, v0
	v_lshrrev_b32_e32 v7, s7, v1
	s_delay_alu instid0(VALU_DEP_1) | instskip(NEXT) | instid1(VALU_DEP_1)
	v_mul_lo_u32 v1, v7, s5
	v_sub_nc_u32_e32 v0, v0, v1
	s_delay_alu instid0(VALU_DEP_1)
	v_mul_lo_u32 v1, v0, s20
	s_cbranch_vccnz .LBB124_63
; %bb.62:                               ;   in Loop: Header=BB124_9 Depth=1
	v_mul_hi_u32 v0, s9, v7
	s_delay_alu instid0(VALU_DEP_1) | instskip(NEXT) | instid1(VALU_DEP_1)
	v_add_nc_u32_e32 v0, v7, v0
	v_lshrrev_b32_e32 v0, s10, v0
	s_delay_alu instid0(VALU_DEP_1) | instskip(NEXT) | instid1(VALU_DEP_1)
	v_mul_lo_u32 v0, v0, s8
	v_sub_nc_u32_e32 v0, v7, v0
	s_delay_alu instid0(VALU_DEP_1) | instskip(NEXT) | instid1(VALU_DEP_1)
	v_mad_u64_u32 v[7:8], null, v0, s21, v[1:2]
	v_mov_b32_e32 v1, v7
.LBB124_63:                             ;   in Loop: Header=BB124_9 Depth=1
	v_cvt_f32_u32_e32 v0, v2
	s_delay_alu instid0(VALU_DEP_1) | instskip(NEXT) | instid1(VALU_DEP_1)
	v_fmaak_f32 v0, 0x2f800000, v0, 0x2f800000
	v_cmp_lt_f32_e32 vcc_lo, v0, v38
	v_cndmask_b32_e64 v0, 0, 1, vcc_lo
	global_store_b8 v1, v0, s[12:13]
.LBB124_64:                             ;   in Loop: Header=BB124_9 Depth=1
	s_or_b32 exec_lo, exec_lo, s35
	v_add_co_u32 v0, vcc_lo, v13, s33
	v_add_co_ci_u32_e32 v1, vcc_lo, 0, v14, vcc_lo
	s_mov_b32 s35, exec_lo
	s_delay_alu instid0(VALU_DEP_1)
	v_cmpx_gt_i64_e64 s[16:17], v[0:1]
	s_cbranch_execz .LBB124_8
; %bb.65:                               ;   in Loop: Header=BB124_9 Depth=1
	s_and_not1_b32 vcc_lo, exec_lo, s11
	s_cbranch_vccnz .LBB124_71
; %bb.66:                               ;   in Loop: Header=BB124_9 Depth=1
	v_mov_b32_e32 v1, 0
	s_and_not1_b32 vcc_lo, exec_lo, s27
	s_cbranch_vccnz .LBB124_75
; %bb.67:                               ;   in Loop: Header=BB124_9 Depth=1
	s_and_not1_b32 vcc_lo, exec_lo, s30
	s_mov_b32 s14, 0
	s_cbranch_vccnz .LBB124_72
; %bb.68:                               ;   in Loop: Header=BB124_9 Depth=1
	v_dual_mov_b32 v1, 0 :: v_dual_mov_b32 v2, v0
	s_mov_b32 s36, 0
	s_mov_b64 s[14:15], s[18:19]
	s_mov_b64 s[22:23], s[0:1]
.LBB124_69:                             ;   Parent Loop BB124_9 Depth=1
                                        ; =>  This Inner Loop Header: Depth=2
	s_clause 0x1
	s_load_b256 s[40:47], s[14:15], 0x4
	s_load_b128 s[48:51], s[14:15], 0x24
	s_load_b128 s[52:55], s[22:23], 0x0
	s_add_u32 s14, s14, 48
	s_addc_u32 s15, s15, 0
	s_add_i32 s36, s36, 4
	s_add_u32 s22, s22, 16
	s_addc_u32 s23, s23, 0
	s_cmp_eq_u32 s31, s36
	s_waitcnt lgkmcnt(0)
	v_mul_hi_u32 v7, s41, v2
	s_delay_alu instid0(VALU_DEP_1) | instskip(NEXT) | instid1(VALU_DEP_1)
	v_add_nc_u32_e32 v7, v2, v7
	v_lshrrev_b32_e32 v7, s42, v7
	s_delay_alu instid0(VALU_DEP_1) | instskip(SKIP_1) | instid1(VALU_DEP_2)
	v_mul_hi_u32 v8, s44, v7
	v_mul_lo_u32 v16, v7, s40
	v_add_nc_u32_e32 v8, v7, v8
	s_delay_alu instid0(VALU_DEP_2) | instskip(NEXT) | instid1(VALU_DEP_2)
	v_sub_nc_u32_e32 v16, v2, v16
	v_lshrrev_b32_e32 v8, s45, v8
	s_delay_alu instid0(VALU_DEP_2) | instskip(NEXT) | instid1(VALU_DEP_2)
	v_mul_lo_u32 v16, v16, s52
	v_mul_hi_u32 v9, s47, v8
	v_mul_lo_u32 v41, v8, s43
	s_delay_alu instid0(VALU_DEP_2) | instskip(NEXT) | instid1(VALU_DEP_2)
	v_add_nc_u32_e32 v9, v8, v9
	v_sub_nc_u32_e32 v7, v7, v41
	s_delay_alu instid0(VALU_DEP_2) | instskip(NEXT) | instid1(VALU_DEP_2)
	v_lshrrev_b32_e32 v9, s48, v9
	v_mul_lo_u32 v7, v7, s53
	s_delay_alu instid0(VALU_DEP_2) | instskip(NEXT) | instid1(VALU_DEP_2)
	v_mul_hi_u32 v10, s50, v9
	v_add3_u32 v1, v16, v1, v7
	s_delay_alu instid0(VALU_DEP_2) | instskip(NEXT) | instid1(VALU_DEP_1)
	v_add_nc_u32_e32 v10, v9, v10
	v_lshrrev_b32_e32 v2, s51, v10
	v_mul_lo_u32 v10, v9, s46
	s_delay_alu instid0(VALU_DEP_2) | instskip(NEXT) | instid1(VALU_DEP_2)
	v_mul_lo_u32 v42, v2, s49
	v_sub_nc_u32_e32 v8, v8, v10
	s_delay_alu instid0(VALU_DEP_2) | instskip(NEXT) | instid1(VALU_DEP_2)
	v_sub_nc_u32_e32 v9, v9, v42
	v_mul_lo_u32 v8, v8, s54
	s_delay_alu instid0(VALU_DEP_2) | instskip(NEXT) | instid1(VALU_DEP_1)
	v_mul_lo_u32 v9, v9, s55
	v_add3_u32 v1, v8, v1, v9
	s_cbranch_scc0 .LBB124_69
; %bb.70:                               ;   in Loop: Header=BB124_9 Depth=1
	s_mov_b32 s14, s31
	s_and_not1_b32 vcc_lo, exec_lo, s34
	s_cbranch_vccz .LBB124_73
	s_branch .LBB124_75
.LBB124_71:                             ;   in Loop: Header=BB124_9 Depth=1
                                        ; implicit-def: $vgpr1
	s_branch .LBB124_76
.LBB124_72:                             ;   in Loop: Header=BB124_9 Depth=1
	v_mov_b32_e32 v2, v0
	s_and_not1_b32 vcc_lo, exec_lo, s34
	s_cbranch_vccnz .LBB124_75
.LBB124_73:                             ;   in Loop: Header=BB124_9 Depth=1
	s_lshl_b32 s15, s14, 2
	s_mul_i32 s22, s14, 12
	s_add_u32 s14, s0, s15
	s_addc_u32 s15, s1, 0
	s_add_u32 s22, s18, s22
	s_addc_u32 s23, s19, 0
	s_mov_b32 s36, s29
	.p2align	6
.LBB124_74:                             ;   Parent Loop BB124_9 Depth=1
                                        ; =>  This Inner Loop Header: Depth=2
	s_clause 0x1
	s_load_b64 s[38:39], s[22:23], 0x4
	s_load_b32 s37, s[22:23], 0xc
	s_add_u32 s22, s22, 12
	s_addc_u32 s23, s23, 0
	s_waitcnt lgkmcnt(0)
	v_mul_hi_u32 v7, s39, v2
	s_load_b32 s39, s[14:15], 0x0
	s_add_u32 s14, s14, 4
	s_addc_u32 s15, s15, 0
	s_add_i32 s36, s36, -1
	s_delay_alu instid0(SALU_CYCLE_1) | instskip(NEXT) | instid1(VALU_DEP_1)
	s_cmp_lg_u32 s36, 0
	v_add_nc_u32_e32 v7, v2, v7
	s_delay_alu instid0(VALU_DEP_1) | instskip(NEXT) | instid1(VALU_DEP_1)
	v_lshrrev_b32_e32 v9, s37, v7
	v_mul_lo_u32 v7, v9, s38
	s_delay_alu instid0(VALU_DEP_1) | instskip(SKIP_1) | instid1(VALU_DEP_1)
	v_sub_nc_u32_e32 v2, v2, v7
	s_waitcnt lgkmcnt(0)
	v_mad_u64_u32 v[7:8], null, v2, s39, v[1:2]
	s_delay_alu instid0(VALU_DEP_1)
	v_dual_mov_b32 v2, v9 :: v_dual_mov_b32 v1, v7
	s_cbranch_scc1 .LBB124_74
.LBB124_75:                             ;   in Loop: Header=BB124_9 Depth=1
	s_cbranch_execnz .LBB124_7
.LBB124_76:                             ;   in Loop: Header=BB124_9 Depth=1
	v_mul_hi_u32 v1, v0, s6
	s_and_not1_b32 vcc_lo, exec_lo, s4
	s_delay_alu instid0(VALU_DEP_1) | instskip(NEXT) | instid1(VALU_DEP_1)
	v_add_nc_u32_e32 v1, v1, v0
	v_lshrrev_b32_e32 v2, s7, v1
	s_delay_alu instid0(VALU_DEP_1) | instskip(NEXT) | instid1(VALU_DEP_1)
	v_mul_lo_u32 v1, v2, s5
	v_sub_nc_u32_e32 v0, v0, v1
	s_delay_alu instid0(VALU_DEP_1)
	v_mul_lo_u32 v1, v0, s20
	s_cbranch_vccnz .LBB124_7
; %bb.77:                               ;   in Loop: Header=BB124_9 Depth=1
	v_mul_hi_u32 v0, s9, v2
	s_delay_alu instid0(VALU_DEP_1) | instskip(NEXT) | instid1(VALU_DEP_1)
	v_add_nc_u32_e32 v0, v2, v0
	v_lshrrev_b32_e32 v0, s10, v0
	s_delay_alu instid0(VALU_DEP_1) | instskip(NEXT) | instid1(VALU_DEP_1)
	v_mul_lo_u32 v0, v0, s8
	v_sub_nc_u32_e32 v0, v2, v0
	s_delay_alu instid0(VALU_DEP_1) | instskip(NEXT) | instid1(VALU_DEP_1)
	v_mad_u64_u32 v[7:8], null, v0, s21, v[1:2]
	v_mov_b32_e32 v1, v7
	s_branch .LBB124_7
.LBB124_78:
	s_endpgm
.LBB124_79:
                                        ; implicit-def: $sgpr2_sgpr3
	s_branch .LBB124_4
	.section	.rodata,"a",@progbits
	.p2align	6, 0x0
	.amdhsa_kernel _ZN2at6native12_GLOBAL__N_143distribution_elementwise_grid_stride_kernelIfLi4EZNS0_9templates4cuda21uniform_and_transformIhfPNS_17CUDAGeneratorImplEZZZNS4_16bernoulli_kernelIS7_EEvRNS_18TensorIteratorBaseEdT_ENKUlvE_clEvENKUlvE_clEvEUlfE_EEvSA_T1_T2_EUlP25hiprandStatePhilox4_32_10E0_ZNS1_27distribution_nullary_kernelIhf15HIP_vector_typeIfLj4EES7_SJ_SE_EEvSA_SG_RKT3_T4_EUlifE0_EEvlNS_15PhiloxCudaStateESF_SG_
		.amdhsa_group_segment_fixed_size 0
		.amdhsa_private_segment_fixed_size 0
		.amdhsa_kernarg_size 584
		.amdhsa_user_sgpr_count 15
		.amdhsa_user_sgpr_dispatch_ptr 0
		.amdhsa_user_sgpr_queue_ptr 0
		.amdhsa_user_sgpr_kernarg_segment_ptr 1
		.amdhsa_user_sgpr_dispatch_id 0
		.amdhsa_user_sgpr_private_segment_size 0
		.amdhsa_wavefront_size32 1
		.amdhsa_uses_dynamic_stack 0
		.amdhsa_enable_private_segment 0
		.amdhsa_system_sgpr_workgroup_id_x 1
		.amdhsa_system_sgpr_workgroup_id_y 0
		.amdhsa_system_sgpr_workgroup_id_z 0
		.amdhsa_system_sgpr_workgroup_info 0
		.amdhsa_system_vgpr_workitem_id 0
		.amdhsa_next_free_vgpr 45
		.amdhsa_next_free_sgpr 56
		.amdhsa_reserve_vcc 1
		.amdhsa_float_round_mode_32 0
		.amdhsa_float_round_mode_16_64 0
		.amdhsa_float_denorm_mode_32 3
		.amdhsa_float_denorm_mode_16_64 3
		.amdhsa_dx10_clamp 1
		.amdhsa_ieee_mode 1
		.amdhsa_fp16_overflow 0
		.amdhsa_workgroup_processor_mode 1
		.amdhsa_memory_ordered 1
		.amdhsa_forward_progress 0
		.amdhsa_shared_vgpr_count 0
		.amdhsa_exception_fp_ieee_invalid_op 0
		.amdhsa_exception_fp_denorm_src 0
		.amdhsa_exception_fp_ieee_div_zero 0
		.amdhsa_exception_fp_ieee_overflow 0
		.amdhsa_exception_fp_ieee_underflow 0
		.amdhsa_exception_fp_ieee_inexact 0
		.amdhsa_exception_int_div_zero 0
	.end_amdhsa_kernel
	.section	.text._ZN2at6native12_GLOBAL__N_143distribution_elementwise_grid_stride_kernelIfLi4EZNS0_9templates4cuda21uniform_and_transformIhfPNS_17CUDAGeneratorImplEZZZNS4_16bernoulli_kernelIS7_EEvRNS_18TensorIteratorBaseEdT_ENKUlvE_clEvENKUlvE_clEvEUlfE_EEvSA_T1_T2_EUlP25hiprandStatePhilox4_32_10E0_ZNS1_27distribution_nullary_kernelIhf15HIP_vector_typeIfLj4EES7_SJ_SE_EEvSA_SG_RKT3_T4_EUlifE0_EEvlNS_15PhiloxCudaStateESF_SG_,"axG",@progbits,_ZN2at6native12_GLOBAL__N_143distribution_elementwise_grid_stride_kernelIfLi4EZNS0_9templates4cuda21uniform_and_transformIhfPNS_17CUDAGeneratorImplEZZZNS4_16bernoulli_kernelIS7_EEvRNS_18TensorIteratorBaseEdT_ENKUlvE_clEvENKUlvE_clEvEUlfE_EEvSA_T1_T2_EUlP25hiprandStatePhilox4_32_10E0_ZNS1_27distribution_nullary_kernelIhf15HIP_vector_typeIfLj4EES7_SJ_SE_EEvSA_SG_RKT3_T4_EUlifE0_EEvlNS_15PhiloxCudaStateESF_SG_,comdat
.Lfunc_end124:
	.size	_ZN2at6native12_GLOBAL__N_143distribution_elementwise_grid_stride_kernelIfLi4EZNS0_9templates4cuda21uniform_and_transformIhfPNS_17CUDAGeneratorImplEZZZNS4_16bernoulli_kernelIS7_EEvRNS_18TensorIteratorBaseEdT_ENKUlvE_clEvENKUlvE_clEvEUlfE_EEvSA_T1_T2_EUlP25hiprandStatePhilox4_32_10E0_ZNS1_27distribution_nullary_kernelIhf15HIP_vector_typeIfLj4EES7_SJ_SE_EEvSA_SG_RKT3_T4_EUlifE0_EEvlNS_15PhiloxCudaStateESF_SG_, .Lfunc_end124-_ZN2at6native12_GLOBAL__N_143distribution_elementwise_grid_stride_kernelIfLi4EZNS0_9templates4cuda21uniform_and_transformIhfPNS_17CUDAGeneratorImplEZZZNS4_16bernoulli_kernelIS7_EEvRNS_18TensorIteratorBaseEdT_ENKUlvE_clEvENKUlvE_clEvEUlfE_EEvSA_T1_T2_EUlP25hiprandStatePhilox4_32_10E0_ZNS1_27distribution_nullary_kernelIhf15HIP_vector_typeIfLj4EES7_SJ_SE_EEvSA_SG_RKT3_T4_EUlifE0_EEvlNS_15PhiloxCudaStateESF_SG_
                                        ; -- End function
	.section	.AMDGPU.csdata,"",@progbits
; Kernel info:
; codeLenInByte = 5256
; NumSgprs: 58
; NumVgprs: 45
; ScratchSize: 0
; MemoryBound: 0
; FloatMode: 240
; IeeeMode: 1
; LDSByteSize: 0 bytes/workgroup (compile time only)
; SGPRBlocks: 7
; VGPRBlocks: 5
; NumSGPRsForWavesPerEU: 58
; NumVGPRsForWavesPerEU: 45
; Occupancy: 16
; WaveLimiterHint : 1
; COMPUTE_PGM_RSRC2:SCRATCH_EN: 0
; COMPUTE_PGM_RSRC2:USER_SGPR: 15
; COMPUTE_PGM_RSRC2:TRAP_HANDLER: 0
; COMPUTE_PGM_RSRC2:TGID_X_EN: 1
; COMPUTE_PGM_RSRC2:TGID_Y_EN: 0
; COMPUTE_PGM_RSRC2:TGID_Z_EN: 0
; COMPUTE_PGM_RSRC2:TIDIG_COMP_CNT: 0
	.section	.text._ZN2at6native12_GLOBAL__N_143distribution_elementwise_grid_stride_kernelIfLi4EZNS0_9templates4cuda21uniform_and_transformIafPNS_17CUDAGeneratorImplEZZZNS4_16bernoulli_kernelIS7_EEvRNS_18TensorIteratorBaseEdT_ENKUlvE_clEvENKUlvE0_clEvEUlfE_EEvSA_T1_T2_EUlP25hiprandStatePhilox4_32_10E_ZNS1_27distribution_nullary_kernelIaf15HIP_vector_typeIdLj2EES7_SJ_SE_EEvSA_SG_RKT3_T4_EUlifE_EEvlNS_15PhiloxCudaStateESF_SG_,"axG",@progbits,_ZN2at6native12_GLOBAL__N_143distribution_elementwise_grid_stride_kernelIfLi4EZNS0_9templates4cuda21uniform_and_transformIafPNS_17CUDAGeneratorImplEZZZNS4_16bernoulli_kernelIS7_EEvRNS_18TensorIteratorBaseEdT_ENKUlvE_clEvENKUlvE0_clEvEUlfE_EEvSA_T1_T2_EUlP25hiprandStatePhilox4_32_10E_ZNS1_27distribution_nullary_kernelIaf15HIP_vector_typeIdLj2EES7_SJ_SE_EEvSA_SG_RKT3_T4_EUlifE_EEvlNS_15PhiloxCudaStateESF_SG_,comdat
	.globl	_ZN2at6native12_GLOBAL__N_143distribution_elementwise_grid_stride_kernelIfLi4EZNS0_9templates4cuda21uniform_and_transformIafPNS_17CUDAGeneratorImplEZZZNS4_16bernoulli_kernelIS7_EEvRNS_18TensorIteratorBaseEdT_ENKUlvE_clEvENKUlvE0_clEvEUlfE_EEvSA_T1_T2_EUlP25hiprandStatePhilox4_32_10E_ZNS1_27distribution_nullary_kernelIaf15HIP_vector_typeIdLj2EES7_SJ_SE_EEvSA_SG_RKT3_T4_EUlifE_EEvlNS_15PhiloxCudaStateESF_SG_ ; -- Begin function _ZN2at6native12_GLOBAL__N_143distribution_elementwise_grid_stride_kernelIfLi4EZNS0_9templates4cuda21uniform_and_transformIafPNS_17CUDAGeneratorImplEZZZNS4_16bernoulli_kernelIS7_EEvRNS_18TensorIteratorBaseEdT_ENKUlvE_clEvENKUlvE0_clEvEUlfE_EEvSA_T1_T2_EUlP25hiprandStatePhilox4_32_10E_ZNS1_27distribution_nullary_kernelIaf15HIP_vector_typeIdLj2EES7_SJ_SE_EEvSA_SG_RKT3_T4_EUlifE_EEvlNS_15PhiloxCudaStateESF_SG_
	.p2align	8
	.type	_ZN2at6native12_GLOBAL__N_143distribution_elementwise_grid_stride_kernelIfLi4EZNS0_9templates4cuda21uniform_and_transformIafPNS_17CUDAGeneratorImplEZZZNS4_16bernoulli_kernelIS7_EEvRNS_18TensorIteratorBaseEdT_ENKUlvE_clEvENKUlvE0_clEvEUlfE_EEvSA_T1_T2_EUlP25hiprandStatePhilox4_32_10E_ZNS1_27distribution_nullary_kernelIaf15HIP_vector_typeIdLj2EES7_SJ_SE_EEvSA_SG_RKT3_T4_EUlifE_EEvlNS_15PhiloxCudaStateESF_SG_,@function
_ZN2at6native12_GLOBAL__N_143distribution_elementwise_grid_stride_kernelIfLi4EZNS0_9templates4cuda21uniform_and_transformIafPNS_17CUDAGeneratorImplEZZZNS4_16bernoulli_kernelIS7_EEvRNS_18TensorIteratorBaseEdT_ENKUlvE_clEvENKUlvE0_clEvEUlfE_EEvSA_T1_T2_EUlP25hiprandStatePhilox4_32_10E_ZNS1_27distribution_nullary_kernelIaf15HIP_vector_typeIdLj2EES7_SJ_SE_EEvSA_SG_RKT3_T4_EUlifE_EEvlNS_15PhiloxCudaStateESF_SG_: ; @_ZN2at6native12_GLOBAL__N_143distribution_elementwise_grid_stride_kernelIfLi4EZNS0_9templates4cuda21uniform_and_transformIafPNS_17CUDAGeneratorImplEZZZNS4_16bernoulli_kernelIS7_EEvRNS_18TensorIteratorBaseEdT_ENKUlvE_clEvENKUlvE0_clEvEUlfE_EEvSA_T1_T2_EUlP25hiprandStatePhilox4_32_10E_ZNS1_27distribution_nullary_kernelIaf15HIP_vector_typeIdLj2EES7_SJ_SE_EEvSA_SG_RKT3_T4_EUlifE_EEvlNS_15PhiloxCudaStateESF_SG_
; %bb.0:
	s_clause 0x2
	s_load_b64 s[8:9], s[0:1], 0x10
	s_load_b128 s[4:7], s[0:1], 0x0
	s_load_b32 s2, s[0:1], 0x20
	s_waitcnt lgkmcnt(0)
	v_dual_mov_b32 v2, s8 :: v_dual_mov_b32 v3, s9
	v_dual_mov_b32 v12, s7 :: v_dual_mov_b32 v11, s6
	s_bitcmp0_b32 s2, 0
	s_mov_b32 s2, 0
	s_cbranch_scc1 .LBB125_2
; %bb.1:
	v_dual_mov_b32 v1, s8 :: v_dual_mov_b32 v2, s9
	v_dual_mov_b32 v4, s6 :: v_dual_mov_b32 v5, s7
	s_load_b64 s[6:7], s[0:1], 0x18
	flat_load_b64 v[2:3], v[1:2]
	flat_load_b64 v[11:12], v[4:5]
	s_waitcnt vmcnt(1) lgkmcnt(0)
	v_add_co_u32 v2, vcc_lo, v2, s6
	v_add_co_ci_u32_e32 v3, vcc_lo, s7, v3, vcc_lo
.LBB125_2:
	s_clause 0x1
	s_load_b32 s3, s[0:1], 0x54
	s_load_b32 s11, s[0:1], 0x48
	s_waitcnt lgkmcnt(0)
	s_and_b32 s10, s3, 0xffff
	s_add_u32 s6, s4, -1
	s_mul_i32 s8, s11, s10
	s_addc_u32 s3, s5, -1
	s_lshl_b32 s9, s8, 2
	s_cmp_lg_u64 s[2:3], 0
	s_cbranch_scc0 .LBB125_23
; %bb.3:
	v_cvt_f32_ubyte0_e32 v1, 0
	v_cvt_f32_u32_e32 v4, s9
	s_sub_u32 s12, 0, s9
	s_subb_u32 s13, 0, 0
	s_delay_alu instid0(VALU_DEP_1) | instskip(NEXT) | instid1(VALU_DEP_1)
	v_fmamk_f32 v1, v1, 0x4f800000, v4
	v_rcp_f32_e32 v1, v1
	s_waitcnt_depctr 0xfff
	v_mul_f32_e32 v1, 0x5f7ffffc, v1
	s_delay_alu instid0(VALU_DEP_1) | instskip(NEXT) | instid1(VALU_DEP_1)
	v_mul_f32_e32 v4, 0x2f800000, v1
	v_trunc_f32_e32 v4, v4
	s_delay_alu instid0(VALU_DEP_1) | instskip(SKIP_1) | instid1(VALU_DEP_2)
	v_fmamk_f32 v1, v4, 0xcf800000, v1
	v_cvt_u32_f32_e32 v4, v4
	v_cvt_u32_f32_e32 v1, v1
	s_delay_alu instid0(VALU_DEP_2) | instskip(NEXT) | instid1(VALU_DEP_2)
	v_readfirstlane_b32 s2, v4
	v_readfirstlane_b32 s7, v1
	s_delay_alu instid0(VALU_DEP_2) | instskip(NEXT) | instid1(VALU_DEP_1)
	s_mul_i32 s14, s12, s2
	s_mul_hi_u32 s17, s12, s7
	s_mul_i32 s16, s13, s7
	s_add_i32 s14, s17, s14
	s_mul_i32 s18, s12, s7
	s_add_i32 s14, s14, s16
	s_mul_hi_u32 s17, s7, s18
	s_mul_hi_u32 s19, s2, s18
	s_mul_i32 s16, s2, s18
	s_mul_hi_u32 s18, s7, s14
	s_mul_i32 s7, s7, s14
	s_mul_hi_u32 s20, s2, s14
	s_add_u32 s7, s17, s7
	s_addc_u32 s17, 0, s18
	s_add_u32 s7, s7, s16
	s_mul_i32 s14, s2, s14
	s_addc_u32 s7, s17, s19
	s_addc_u32 s16, s20, 0
	s_add_u32 s7, s7, s14
	s_addc_u32 s14, 0, s16
	v_add_co_u32 v1, s7, v1, s7
	s_delay_alu instid0(VALU_DEP_1) | instskip(SKIP_1) | instid1(VALU_DEP_1)
	s_cmp_lg_u32 s7, 0
	s_addc_u32 s2, s2, s14
	v_readfirstlane_b32 s7, v1
	s_mul_i32 s14, s12, s2
	s_delay_alu instid0(VALU_DEP_1)
	s_mul_hi_u32 s16, s12, s7
	s_mul_i32 s13, s13, s7
	s_add_i32 s14, s16, s14
	s_mul_i32 s12, s12, s7
	s_add_i32 s14, s14, s13
	s_mul_hi_u32 s16, s2, s12
	s_mul_i32 s17, s2, s12
	s_mul_hi_u32 s12, s7, s12
	s_mul_hi_u32 s18, s7, s14
	s_mul_i32 s7, s7, s14
	s_mul_hi_u32 s13, s2, s14
	s_add_u32 s7, s12, s7
	s_addc_u32 s12, 0, s18
	s_add_u32 s7, s7, s17
	s_mul_i32 s14, s2, s14
	s_addc_u32 s7, s12, s16
	s_addc_u32 s12, s13, 0
	s_add_u32 s7, s7, s14
	s_addc_u32 s12, 0, s12
	v_add_co_u32 v1, s7, v1, s7
	s_delay_alu instid0(VALU_DEP_1) | instskip(SKIP_2) | instid1(VALU_DEP_1)
	s_cmp_lg_u32 s7, 0
	s_addc_u32 s7, s2, s12
	s_ashr_i32 s12, s3, 31
	v_readfirstlane_b32 s14, v1
	s_add_u32 s2, s6, s12
	s_mov_b32 s13, s12
	s_addc_u32 s3, s3, s12
	s_delay_alu instid0(SALU_CYCLE_1) | instskip(NEXT) | instid1(SALU_CYCLE_1)
	s_xor_b64 s[2:3], s[2:3], s[12:13]
	s_mul_i32 s17, s2, s7
	s_mul_hi_u32 s18, s2, s14
	s_mul_hi_u32 s16, s2, s7
	s_mul_hi_u32 s20, s3, s14
	s_mul_i32 s14, s3, s14
	s_add_u32 s17, s18, s17
	s_addc_u32 s16, 0, s16
	s_mul_hi_u32 s19, s3, s7
	s_add_u32 s14, s17, s14
	s_mul_i32 s7, s3, s7
	s_addc_u32 s14, s16, s20
	s_addc_u32 s16, s19, 0
	s_add_u32 s7, s14, s7
	s_addc_u32 s14, 0, s16
	s_mul_i32 s17, s9, s7
	s_add_u32 s16, s7, 1
	v_sub_co_u32 v1, s2, s2, s17
	s_mul_hi_u32 s17, s9, s7
	s_addc_u32 s18, s14, 0
	s_mul_i32 s19, s9, s14
	s_delay_alu instid0(VALU_DEP_1)
	v_sub_co_u32 v4, s20, v1, s9
	s_add_u32 s21, s7, 2
	s_addc_u32 s22, s14, 0
	s_add_i32 s17, s17, s19
	s_cmp_lg_u32 s2, 0
	v_readfirstlane_b32 s2, v4
	s_subb_u32 s3, s3, s17
	s_cmp_lg_u32 s20, 0
	s_subb_u32 s17, s3, 0
	s_delay_alu instid0(VALU_DEP_1) | instskip(SKIP_4) | instid1(SALU_CYCLE_1)
	s_cmp_ge_u32 s2, s9
	s_cselect_b32 s2, -1, 0
	s_cmp_eq_u32 s17, 0
	v_readfirstlane_b32 s17, v1
	s_cselect_b32 s2, s2, -1
	s_cmp_lg_u32 s2, 0
	s_cselect_b32 s2, s21, s16
	s_cselect_b32 s16, s22, s18
	s_cmp_ge_u32 s17, s9
	s_cselect_b32 s17, -1, 0
	s_cmp_eq_u32 s3, 0
	s_cselect_b32 s3, s17, -1
	s_delay_alu instid0(SALU_CYCLE_1) | instskip(SKIP_2) | instid1(SALU_CYCLE_1)
	s_cmp_lg_u32 s3, 0
	s_cselect_b32 s3, s16, s14
	s_cselect_b32 s2, s2, s7
	s_xor_b64 s[2:3], s[2:3], s[12:13]
	s_delay_alu instid0(SALU_CYCLE_1)
	s_sub_u32 s2, s2, s12
	s_subb_u32 s3, s3, s12
	s_cbranch_execnz .LBB125_5
.LBB125_4:
	v_cvt_f32_u32_e32 v1, s9
	s_sub_i32 s3, 0, s9
	s_delay_alu instid0(VALU_DEP_1) | instskip(SKIP_2) | instid1(VALU_DEP_1)
	v_rcp_iflag_f32_e32 v1, v1
	s_waitcnt_depctr 0xfff
	v_mul_f32_e32 v1, 0x4f7ffffe, v1
	v_cvt_u32_f32_e32 v1, v1
	s_delay_alu instid0(VALU_DEP_1) | instskip(NEXT) | instid1(VALU_DEP_1)
	v_readfirstlane_b32 s2, v1
	s_mul_i32 s3, s3, s2
	s_delay_alu instid0(SALU_CYCLE_1) | instskip(NEXT) | instid1(SALU_CYCLE_1)
	s_mul_hi_u32 s3, s2, s3
	s_add_i32 s2, s2, s3
	s_delay_alu instid0(SALU_CYCLE_1) | instskip(NEXT) | instid1(SALU_CYCLE_1)
	s_mul_hi_u32 s2, s6, s2
	s_mul_i32 s3, s2, s9
	s_delay_alu instid0(SALU_CYCLE_1)
	s_sub_i32 s3, s6, s3
	s_add_i32 s6, s2, 1
	s_sub_i32 s7, s3, s9
	s_cmp_ge_u32 s3, s9
	s_cselect_b32 s2, s6, s2
	s_cselect_b32 s3, s7, s3
	s_add_i32 s6, s2, 1
	s_cmp_ge_u32 s3, s9
	s_mov_b32 s3, 0
	s_cselect_b32 s2, s6, s2
.LBB125_5:
	v_mov_b32_e32 v1, 0
	s_add_u32 s2, s2, 1
	s_addc_u32 s3, s3, 0
	s_mul_hi_u32 s6, s8, s2
	s_mul_i32 s3, s8, s3
	v_mad_u64_u32 v[13:14], null, s10, s15, v[0:1]
	s_mul_hi_u32 s7, s11, s10
	s_add_i32 s3, s6, s3
	s_mul_i32 s7, s7, s2
	s_mul_i32 s2, s8, s2
	s_add_i32 s3, s3, s7
	s_mov_b32 s6, exec_lo
	s_lshl_b64 s[2:3], s[2:3], 2
	s_delay_alu instid0(SALU_CYCLE_1)
	v_cmpx_gt_i64_e64 s[2:3], v[13:14]
	s_cbranch_execz .LBB125_22
; %bb.6:
	v_alignbit_b32 v17, v3, v2, 2
	v_mad_u64_u32 v[6:7], null, 0xcd9e8d57, v13, 0
	v_lshrrev_b32_e32 v18, 2, v3
	s_waitcnt vmcnt(0)
	v_dual_mov_b32 v15, v12 :: v_dual_and_b32 v34, 3, v2
	v_mad_u64_u32 v[4:5], null, 0xd2511f53, v17, 0
	v_add_co_u32 v20, null, 0x9e3779b9, v11
	v_xor3_b32 v3, v11, v7, v18
	s_delay_alu instid0(VALU_DEP_4) | instskip(SKIP_2) | instid1(VALU_DEP_4)
	v_add_co_u32 v19, null, 0xbb67ae85, v15
	v_add_co_u32 v21, null, 0x3c6ef372, v11
	v_xor_b32_e32 v1, v5, v12
	v_mad_u64_u32 v[7:8], null, 0xd2511f53, v3, 0
	v_add_co_u32 v22, null, 0x76cf5d0a, v15
	s_delay_alu instid0(VALU_DEP_3) | instskip(SKIP_2) | instid1(VALU_DEP_3)
	v_xor_b32_e32 v1, v1, v14
	v_add_co_u32 v23, null, 0x32370b8f, v15
	v_add_co_u32 v24, null, 0xdaa66d2b, v11
	v_mad_u64_u32 v[9:10], null, 0xcd9e8d57, v1, 0
	v_xor3_b32 v1, v19, v8, v4
	v_add_co_u32 v25, null, 0x78dde6e4, v11
	v_add_co_u32 v26, null, 0xed9eba14, v15
	s_delay_alu instid0(VALU_DEP_3) | instskip(SKIP_3) | instid1(VALU_DEP_3)
	v_mad_u64_u32 v[3:4], null, 0xcd9e8d57, v1, 0
	v_xor3_b32 v8, v20, v10, v6
	v_add_co_u32 v27, null, 0xa9066899, v15
	v_add_co_u32 v28, null, 0x1715609d, v11
	v_mad_u64_u32 v[5:6], null, 0xd2511f53, v8, 0
	v_xor3_b32 v1, v21, v4, v9
	s_load_b64 s[12:13], s[0:1], 0x40
	v_add_co_u32 v29, null, 0xb54cda56, v11
	v_add_co_u32 v30, null, 0x646e171e, v15
	s_delay_alu instid0(VALU_DEP_4) | instskip(SKIP_2) | instid1(VALU_DEP_3)
	v_xor3_b32 v4, v22, v6, v7
	v_mad_u64_u32 v[6:7], null, 0xd2511f53, v1, 0
	v_add_co_u32 v31, null, 0x1fd5c5a3, v15
	v_mad_u64_u32 v[8:9], null, 0xcd9e8d57, v4, 0
	v_add_co_u32 v32, null, 0x5384540f, v11
	s_delay_alu instid0(VALU_DEP_4) | instskip(SKIP_4) | instid1(VALU_DEP_4)
	v_xor3_b32 v1, v23, v7, v5
	s_clause 0x1
	s_load_b64 s[6:7], s[0:1], 0x30
	s_load_b32 s0, s[0:1], 0x38
	v_add_co_u32 v36, null, 0xf1bbcdc8, v11
	v_xor3_b32 v5, v24, v9, v3
	v_mad_u64_u32 v[3:4], null, 0xcd9e8d57, v1, 0
	s_waitcnt lgkmcnt(0)
	v_cvt_f32_f64_e32 v33, s[12:13]
	v_add_co_u32 v37, null, 0xdb3d7428, v15
	v_mad_u64_u32 v[9:10], null, 0xd2511f53, v5, 0
	v_dual_mov_b32 v42, v14 :: v_dual_add_nc_u32 v35, 0x8ff34781, v11
	v_xor3_b32 v1, v25, v4, v8
	v_dual_mov_b32 v39, v13 :: v_dual_add_nc_u32 v38, 0x96a522ad, v12
	s_delay_alu instid0(VALU_DEP_4) | instskip(NEXT) | instid1(VALU_DEP_3)
	v_xor3_b32 v8, v26, v10, v6
	v_mad_u64_u32 v[4:5], null, 0xd2511f53, v1, 0
	s_mul_i32 s1, s11, s0
	s_delay_alu instid0(VALU_DEP_2) | instskip(SKIP_1) | instid1(VALU_DEP_2)
	v_mad_u64_u32 v[6:7], null, 0xcd9e8d57, v8, 0
	s_mul_i32 s1, s1, s10
	v_xor3_b32 v1, v27, v5, v9
	s_lshl_b32 s1, s1, 2
	s_delay_alu instid0(VALU_DEP_2) | instskip(NEXT) | instid1(VALU_DEP_2)
	v_xor3_b32 v3, v28, v7, v3
	v_mad_u64_u32 v[7:8], null, 0xcd9e8d57, v1, 0
	s_delay_alu instid0(VALU_DEP_2) | instskip(NEXT) | instid1(VALU_DEP_2)
	v_mad_u64_u32 v[9:10], null, 0xd2511f53, v3, 0
	v_xor3_b32 v1, v29, v8, v6
	s_delay_alu instid0(VALU_DEP_2) | instskip(NEXT) | instid1(VALU_DEP_2)
	v_xor3_b32 v8, v30, v10, v4
	v_mad_u64_u32 v[3:4], null, 0xd2511f53, v1, 0
	s_delay_alu instid0(VALU_DEP_2) | instskip(NEXT) | instid1(VALU_DEP_2)
	v_mad_u64_u32 v[5:6], null, 0xcd9e8d57, v8, 0
	v_xor3_b32 v1, v31, v4, v9
	s_delay_alu instid0(VALU_DEP_2) | instskip(NEXT) | instid1(VALU_DEP_2)
	v_xor3_b32 v2, v32, v6, v7
	v_mad_u64_u32 v[6:7], null, 0xcd9e8d57, v1, 0
	v_mad_u64_u32 v[15:16], null, s15, s10, v[0:1]
	s_delay_alu instid0(VALU_DEP_3) | instskip(SKIP_1) | instid1(VALU_DEP_3)
	v_mad_u64_u32 v[8:9], null, 0xd2511f53, v2, 0
	s_add_i32 s15, s15, s11
	v_xor3_b32 v1, v36, v7, v5
	s_delay_alu instid0(VALU_DEP_3) | instskip(NEXT) | instid1(VALU_DEP_3)
	v_mul_lo_u32 v40, s0, v15
	v_xor3_b32 v7, v37, v9, v3
	s_delay_alu instid0(VALU_DEP_3) | instskip(SKIP_1) | instid1(VALU_DEP_3)
	v_mad_u64_u32 v[3:4], null, s15, s10, v[0:1]
	v_mad_u64_u32 v[4:5], null, 0xd2511f53, v1, 0
	;; [unrolled: 1-line block ×3, first 2 shown]
	s_mov_b32 s10, 0
	s_delay_alu instid0(VALU_DEP_3) | instskip(SKIP_1) | instid1(VALU_DEP_3)
	v_mul_lo_u32 v41, s0, v3
	s_mov_b32 s0, 0
	v_mov_b32_e32 v3, v4
	s_delay_alu instid0(VALU_DEP_3)
	v_xor3_b32 v0, v2, v6, v35
	v_xor3_b32 v2, v5, v8, v38
	s_branch .LBB125_8
.LBB125_7:                              ;   in Loop: Header=BB125_8 Depth=1
	s_or_b32 exec_lo, exec_lo, s11
	v_add_co_u32 v13, vcc_lo, v13, s9
	v_add_co_ci_u32_e32 v14, vcc_lo, 0, v14, vcc_lo
	v_mov_b32_e32 v7, v15
	v_dual_mov_b32 v0, v4 :: v_dual_mov_b32 v1, v5
	s_delay_alu instid0(VALU_DEP_3) | instskip(NEXT) | instid1(VALU_DEP_3)
	v_cmp_le_i64_e32 vcc_lo, s[2:3], v[13:14]
	v_dual_mov_b32 v2, v6 :: v_dual_mov_b32 v3, v7
	s_add_i32 s10, s10, s1
	s_waitcnt_vscnt null, 0x0
	s_barrier
	s_or_b32 s0, vcc_lo, s0
	buffer_gl0_inv
	s_and_not1_b32 exec_lo, exec_lo, s0
	s_cbranch_execz .LBB125_22
.LBB125_8:                              ; =>This Inner Loop Header: Depth=1
	v_add_co_u32 v17, vcc_lo, v17, 1
	s_delay_alu instid0(VALU_DEP_1) | instskip(SKIP_2) | instid1(VALU_DEP_1)
	v_cndmask_b32_e64 v4, 0, 1, vcc_lo
	v_add_co_ci_u32_e32 v18, vcc_lo, 0, v18, vcc_lo
	s_mov_b32 s11, exec_lo
	v_cmp_eq_u32_e32 vcc_lo, 0, v18
	s_delay_alu instid0(VALU_DEP_3) | instskip(NEXT) | instid1(VALU_DEP_1)
	v_cndmask_b32_e32 v4, 0, v4, vcc_lo
	v_add_nc_u32_e32 v39, v4, v39
	s_delay_alu instid0(VALU_DEP_1) | instskip(SKIP_2) | instid1(VALU_DEP_2)
	v_cmp_eq_u32_e32 vcc_lo, 0, v39
	v_cndmask_b32_e32 v4, 0, v4, vcc_lo
	v_mad_u64_u32 v[6:7], null, 0xcd9e8d57, v39, 0
	v_add_nc_u32_e32 v42, v4, v42
	v_mad_u64_u32 v[4:5], null, 0xd2511f53, v17, 0
	s_delay_alu instid0(VALU_DEP_3) | instskip(NEXT) | instid1(VALU_DEP_2)
	v_xor3_b32 v9, v7, v11, v18
	v_xor_b32_e32 v5, v5, v12
	s_delay_alu instid0(VALU_DEP_2) | instskip(NEXT) | instid1(VALU_DEP_2)
	v_mad_u64_u32 v[7:8], null, 0xd2511f53, v9, 0
	v_xor_b32_e32 v5, v42, v5
	s_delay_alu instid0(VALU_DEP_2) | instskip(NEXT) | instid1(VALU_DEP_2)
	v_xor3_b32 v8, v19, v8, v4
	v_mad_u64_u32 v[9:10], null, 0xcd9e8d57, v5, 0
	s_delay_alu instid0(VALU_DEP_2) | instskip(NEXT) | instid1(VALU_DEP_2)
	v_mad_u64_u32 v[4:5], null, 0xcd9e8d57, v8, 0
	v_xor3_b32 v6, v20, v10, v6
	s_delay_alu instid0(VALU_DEP_2) | instskip(NEXT) | instid1(VALU_DEP_2)
	v_xor3_b32 v8, v21, v5, v9
	v_mad_u64_u32 v[15:16], null, 0xd2511f53, v6, 0
	s_delay_alu instid0(VALU_DEP_2) | instskip(NEXT) | instid1(VALU_DEP_2)
	v_mad_u64_u32 v[5:6], null, 0xd2511f53, v8, 0
	v_xor3_b32 v9, v22, v16, v7
	s_delay_alu instid0(VALU_DEP_2) | instskip(NEXT) | instid1(VALU_DEP_2)
	v_xor3_b32 v6, v23, v6, v15
	v_mad_u64_u32 v[7:8], null, 0xcd9e8d57, v9, 0
	s_delay_alu instid0(VALU_DEP_1) | instskip(NEXT) | instid1(VALU_DEP_3)
	v_xor3_b32 v4, v24, v8, v4
	v_mad_u64_u32 v[8:9], null, 0xcd9e8d57, v6, 0
	s_delay_alu instid0(VALU_DEP_2) | instskip(NEXT) | instid1(VALU_DEP_2)
	v_mad_u64_u32 v[15:16], null, 0xd2511f53, v4, 0
	v_xor3_b32 v6, v25, v9, v7
	s_delay_alu instid0(VALU_DEP_2) | instskip(NEXT) | instid1(VALU_DEP_2)
	v_xor3_b32 v9, v26, v16, v5
	v_mad_u64_u32 v[4:5], null, 0xd2511f53, v6, 0
	s_delay_alu instid0(VALU_DEP_2) | instskip(NEXT) | instid1(VALU_DEP_2)
	v_mad_u64_u32 v[6:7], null, 0xcd9e8d57, v9, 0
	v_xor3_b32 v5, v27, v5, v15
	s_delay_alu instid0(VALU_DEP_2) | instskip(NEXT) | instid1(VALU_DEP_2)
	;; [unrolled: 6-line block ×6, first 2 shown]
	v_xor3_b32 v4, v6, v7, v35
	v_mov_b32_e32 v6, v10
	v_cmpx_lt_i32_e32 1, v34
	s_xor_b32 s11, exec_lo, s11
	s_cbranch_execnz .LBB125_14
; %bb.9:                                ;   in Loop: Header=BB125_8 Depth=1
	s_and_not1_saveexec_b32 s11, s11
	s_cbranch_execnz .LBB125_19
.LBB125_10:                             ;   in Loop: Header=BB125_8 Depth=1
	s_or_b32 exec_lo, exec_lo, s11
	s_delay_alu instid0(SALU_CYCLE_1)
	s_mov_b32 s11, exec_lo
	v_cmpx_gt_i64_e64 s[4:5], v[13:14]
	s_cbranch_execz .LBB125_12
.LBB125_11:                             ;   in Loop: Header=BB125_8 Depth=1
	v_lshrrev_b32_e32 v1, 11, v1
	s_delay_alu instid0(VALU_DEP_1) | instskip(SKIP_1) | instid1(VALU_DEP_2)
	v_cvt_f64_u32_e32 v[7:8], v1
	v_cvt_f64_u32_e32 v[0:1], v0
	v_ldexp_f64 v[7:8], v[7:8], 32
	s_delay_alu instid0(VALU_DEP_1) | instskip(NEXT) | instid1(VALU_DEP_1)
	v_add_f64 v[0:1], v[7:8], v[0:1]
	v_fma_f64 v[0:1], 0x3ca00000, v[0:1], 0x3ca00000
	s_delay_alu instid0(VALU_DEP_1) | instskip(SKIP_1) | instid1(VALU_DEP_1)
	v_cvt_f32_f64_e32 v7, v[0:1]
	v_add_nc_u32_e32 v0, s10, v40
	v_ashrrev_i32_e32 v1, 31, v0
	v_add_co_u32 v0, vcc_lo, s6, v0
	s_delay_alu instid0(VALU_DEP_2)
	v_add_co_ci_u32_e32 v1, vcc_lo, s7, v1, vcc_lo
	v_cmp_gt_f32_e32 vcc_lo, v33, v7
	v_cndmask_b32_e64 v7, 0, 1, vcc_lo
	global_store_b8 v[0:1], v7, off
.LBB125_12:                             ;   in Loop: Header=BB125_8 Depth=1
	s_or_b32 exec_lo, exec_lo, s11
	v_add_co_u32 v0, vcc_lo, s8, v13
	v_add_co_ci_u32_e32 v1, vcc_lo, 0, v14, vcc_lo
	s_mov_b32 s11, exec_lo
	s_delay_alu instid0(VALU_DEP_1)
	v_cmpx_gt_i64_e64 s[4:5], v[0:1]
	s_cbranch_execz .LBB125_7
; %bb.13:                               ;   in Loop: Header=BB125_8 Depth=1
	v_lshrrev_b32_e32 v0, 11, v3
	v_cvt_f64_u32_e32 v[2:3], v2
	s_delay_alu instid0(VALU_DEP_2) | instskip(NEXT) | instid1(VALU_DEP_1)
	v_cvt_f64_u32_e32 v[0:1], v0
	v_ldexp_f64 v[0:1], v[0:1], 32
	s_delay_alu instid0(VALU_DEP_1) | instskip(NEXT) | instid1(VALU_DEP_1)
	v_add_f64 v[0:1], v[0:1], v[2:3]
	v_fma_f64 v[0:1], 0x3ca00000, v[0:1], 0x3ca00000
	s_delay_alu instid0(VALU_DEP_1) | instskip(SKIP_1) | instid1(VALU_DEP_1)
	v_cvt_f32_f64_e32 v2, v[0:1]
	v_add_nc_u32_e32 v0, s10, v41
	v_ashrrev_i32_e32 v1, 31, v0
	v_add_co_u32 v0, vcc_lo, s6, v0
	s_delay_alu instid0(VALU_DEP_2)
	v_add_co_ci_u32_e32 v1, vcc_lo, s7, v1, vcc_lo
	v_cmp_gt_f32_e32 vcc_lo, v33, v2
	v_cndmask_b32_e64 v2, 0, 1, vcc_lo
	global_store_b8 v[0:1], v2, off
	s_branch .LBB125_7
.LBB125_14:                             ;   in Loop: Header=BB125_8 Depth=1
	s_mov_b32 s12, exec_lo
	v_cmpx_lt_i32_e32 2, v34
	s_xor_b32 s12, exec_lo, s12
; %bb.15:                               ;   in Loop: Header=BB125_8 Depth=1
	v_dual_mov_b32 v7, v3 :: v_dual_mov_b32 v8, v4
	v_mov_b32_e32 v9, v5
	s_delay_alu instid0(VALU_DEP_2) | instskip(NEXT) | instid1(VALU_DEP_2)
	v_dual_mov_b32 v0, v7 :: v_dual_mov_b32 v1, v8
	v_dual_mov_b32 v2, v9 :: v_dual_mov_b32 v3, v10
; %bb.16:                               ;   in Loop: Header=BB125_8 Depth=1
	s_and_not1_saveexec_b32 s12, s12
; %bb.17:                               ;   in Loop: Header=BB125_8 Depth=1
	s_delay_alu instid0(VALU_DEP_1)
	v_dual_mov_b32 v0, v2 :: v_dual_mov_b32 v1, v3
	v_dual_mov_b32 v2, v4 :: v_dual_mov_b32 v3, v5
; %bb.18:                               ;   in Loop: Header=BB125_8 Depth=1
	s_or_b32 exec_lo, exec_lo, s12
	s_and_not1_saveexec_b32 s11, s11
	s_cbranch_execz .LBB125_10
.LBB125_19:                             ;   in Loop: Header=BB125_8 Depth=1
	s_mov_b32 s12, exec_lo
	v_cmpx_eq_u32_e32 1, v34
; %bb.20:                               ;   in Loop: Header=BB125_8 Depth=1
	v_dual_mov_b32 v0, v1 :: v_dual_mov_b32 v1, v2
	v_dual_mov_b32 v2, v3 :: v_dual_mov_b32 v3, v4
; %bb.21:                               ;   in Loop: Header=BB125_8 Depth=1
	s_or_b32 exec_lo, exec_lo, s12
	s_delay_alu instid0(SALU_CYCLE_1) | instskip(NEXT) | instid1(SALU_CYCLE_1)
	s_or_b32 exec_lo, exec_lo, s11
	s_mov_b32 s11, exec_lo
	v_cmpx_gt_i64_e64 s[4:5], v[13:14]
	s_cbranch_execnz .LBB125_11
	s_branch .LBB125_12
.LBB125_22:
	s_endpgm
.LBB125_23:
                                        ; implicit-def: $sgpr2_sgpr3
	s_branch .LBB125_4
	.section	.rodata,"a",@progbits
	.p2align	6, 0x0
	.amdhsa_kernel _ZN2at6native12_GLOBAL__N_143distribution_elementwise_grid_stride_kernelIfLi4EZNS0_9templates4cuda21uniform_and_transformIafPNS_17CUDAGeneratorImplEZZZNS4_16bernoulli_kernelIS7_EEvRNS_18TensorIteratorBaseEdT_ENKUlvE_clEvENKUlvE0_clEvEUlfE_EEvSA_T1_T2_EUlP25hiprandStatePhilox4_32_10E_ZNS1_27distribution_nullary_kernelIaf15HIP_vector_typeIdLj2EES7_SJ_SE_EEvSA_SG_RKT3_T4_EUlifE_EEvlNS_15PhiloxCudaStateESF_SG_
		.amdhsa_group_segment_fixed_size 0
		.amdhsa_private_segment_fixed_size 0
		.amdhsa_kernarg_size 328
		.amdhsa_user_sgpr_count 15
		.amdhsa_user_sgpr_dispatch_ptr 0
		.amdhsa_user_sgpr_queue_ptr 0
		.amdhsa_user_sgpr_kernarg_segment_ptr 1
		.amdhsa_user_sgpr_dispatch_id 0
		.amdhsa_user_sgpr_private_segment_size 0
		.amdhsa_wavefront_size32 1
		.amdhsa_uses_dynamic_stack 0
		.amdhsa_enable_private_segment 0
		.amdhsa_system_sgpr_workgroup_id_x 1
		.amdhsa_system_sgpr_workgroup_id_y 0
		.amdhsa_system_sgpr_workgroup_id_z 0
		.amdhsa_system_sgpr_workgroup_info 0
		.amdhsa_system_vgpr_workitem_id 0
		.amdhsa_next_free_vgpr 43
		.amdhsa_next_free_sgpr 23
		.amdhsa_reserve_vcc 1
		.amdhsa_float_round_mode_32 0
		.amdhsa_float_round_mode_16_64 0
		.amdhsa_float_denorm_mode_32 3
		.amdhsa_float_denorm_mode_16_64 3
		.amdhsa_dx10_clamp 1
		.amdhsa_ieee_mode 1
		.amdhsa_fp16_overflow 0
		.amdhsa_workgroup_processor_mode 1
		.amdhsa_memory_ordered 1
		.amdhsa_forward_progress 0
		.amdhsa_shared_vgpr_count 0
		.amdhsa_exception_fp_ieee_invalid_op 0
		.amdhsa_exception_fp_denorm_src 0
		.amdhsa_exception_fp_ieee_div_zero 0
		.amdhsa_exception_fp_ieee_overflow 0
		.amdhsa_exception_fp_ieee_underflow 0
		.amdhsa_exception_fp_ieee_inexact 0
		.amdhsa_exception_int_div_zero 0
	.end_amdhsa_kernel
	.section	.text._ZN2at6native12_GLOBAL__N_143distribution_elementwise_grid_stride_kernelIfLi4EZNS0_9templates4cuda21uniform_and_transformIafPNS_17CUDAGeneratorImplEZZZNS4_16bernoulli_kernelIS7_EEvRNS_18TensorIteratorBaseEdT_ENKUlvE_clEvENKUlvE0_clEvEUlfE_EEvSA_T1_T2_EUlP25hiprandStatePhilox4_32_10E_ZNS1_27distribution_nullary_kernelIaf15HIP_vector_typeIdLj2EES7_SJ_SE_EEvSA_SG_RKT3_T4_EUlifE_EEvlNS_15PhiloxCudaStateESF_SG_,"axG",@progbits,_ZN2at6native12_GLOBAL__N_143distribution_elementwise_grid_stride_kernelIfLi4EZNS0_9templates4cuda21uniform_and_transformIafPNS_17CUDAGeneratorImplEZZZNS4_16bernoulli_kernelIS7_EEvRNS_18TensorIteratorBaseEdT_ENKUlvE_clEvENKUlvE0_clEvEUlfE_EEvSA_T1_T2_EUlP25hiprandStatePhilox4_32_10E_ZNS1_27distribution_nullary_kernelIaf15HIP_vector_typeIdLj2EES7_SJ_SE_EEvSA_SG_RKT3_T4_EUlifE_EEvlNS_15PhiloxCudaStateESF_SG_,comdat
.Lfunc_end125:
	.size	_ZN2at6native12_GLOBAL__N_143distribution_elementwise_grid_stride_kernelIfLi4EZNS0_9templates4cuda21uniform_and_transformIafPNS_17CUDAGeneratorImplEZZZNS4_16bernoulli_kernelIS7_EEvRNS_18TensorIteratorBaseEdT_ENKUlvE_clEvENKUlvE0_clEvEUlfE_EEvSA_T1_T2_EUlP25hiprandStatePhilox4_32_10E_ZNS1_27distribution_nullary_kernelIaf15HIP_vector_typeIdLj2EES7_SJ_SE_EEvSA_SG_RKT3_T4_EUlifE_EEvlNS_15PhiloxCudaStateESF_SG_, .Lfunc_end125-_ZN2at6native12_GLOBAL__N_143distribution_elementwise_grid_stride_kernelIfLi4EZNS0_9templates4cuda21uniform_and_transformIafPNS_17CUDAGeneratorImplEZZZNS4_16bernoulli_kernelIS7_EEvRNS_18TensorIteratorBaseEdT_ENKUlvE_clEvENKUlvE0_clEvEUlfE_EEvSA_T1_T2_EUlP25hiprandStatePhilox4_32_10E_ZNS1_27distribution_nullary_kernelIaf15HIP_vector_typeIdLj2EES7_SJ_SE_EEvSA_SG_RKT3_T4_EUlifE_EEvlNS_15PhiloxCudaStateESF_SG_
                                        ; -- End function
	.section	.AMDGPU.csdata,"",@progbits
; Kernel info:
; codeLenInByte = 2760
; NumSgprs: 25
; NumVgprs: 43
; ScratchSize: 0
; MemoryBound: 0
; FloatMode: 240
; IeeeMode: 1
; LDSByteSize: 0 bytes/workgroup (compile time only)
; SGPRBlocks: 3
; VGPRBlocks: 5
; NumSGPRsForWavesPerEU: 25
; NumVGPRsForWavesPerEU: 43
; Occupancy: 16
; WaveLimiterHint : 0
; COMPUTE_PGM_RSRC2:SCRATCH_EN: 0
; COMPUTE_PGM_RSRC2:USER_SGPR: 15
; COMPUTE_PGM_RSRC2:TRAP_HANDLER: 0
; COMPUTE_PGM_RSRC2:TGID_X_EN: 1
; COMPUTE_PGM_RSRC2:TGID_Y_EN: 0
; COMPUTE_PGM_RSRC2:TGID_Z_EN: 0
; COMPUTE_PGM_RSRC2:TIDIG_COMP_CNT: 0
	.section	.text._ZN2at6native12_GLOBAL__N_143distribution_elementwise_grid_stride_kernelIfLi4EZNS0_9templates4cuda21uniform_and_transformIafPNS_17CUDAGeneratorImplEZZZNS4_16bernoulli_kernelIS7_EEvRNS_18TensorIteratorBaseEdT_ENKUlvE_clEvENKUlvE0_clEvEUlfE_EEvSA_T1_T2_EUlP25hiprandStatePhilox4_32_10E_ZNS1_27distribution_nullary_kernelIaf15HIP_vector_typeIdLj2EES7_SJ_SE_EEvSA_SG_RKT3_T4_EUlifE0_EEvlNS_15PhiloxCudaStateESF_SG_,"axG",@progbits,_ZN2at6native12_GLOBAL__N_143distribution_elementwise_grid_stride_kernelIfLi4EZNS0_9templates4cuda21uniform_and_transformIafPNS_17CUDAGeneratorImplEZZZNS4_16bernoulli_kernelIS7_EEvRNS_18TensorIteratorBaseEdT_ENKUlvE_clEvENKUlvE0_clEvEUlfE_EEvSA_T1_T2_EUlP25hiprandStatePhilox4_32_10E_ZNS1_27distribution_nullary_kernelIaf15HIP_vector_typeIdLj2EES7_SJ_SE_EEvSA_SG_RKT3_T4_EUlifE0_EEvlNS_15PhiloxCudaStateESF_SG_,comdat
	.globl	_ZN2at6native12_GLOBAL__N_143distribution_elementwise_grid_stride_kernelIfLi4EZNS0_9templates4cuda21uniform_and_transformIafPNS_17CUDAGeneratorImplEZZZNS4_16bernoulli_kernelIS7_EEvRNS_18TensorIteratorBaseEdT_ENKUlvE_clEvENKUlvE0_clEvEUlfE_EEvSA_T1_T2_EUlP25hiprandStatePhilox4_32_10E_ZNS1_27distribution_nullary_kernelIaf15HIP_vector_typeIdLj2EES7_SJ_SE_EEvSA_SG_RKT3_T4_EUlifE0_EEvlNS_15PhiloxCudaStateESF_SG_ ; -- Begin function _ZN2at6native12_GLOBAL__N_143distribution_elementwise_grid_stride_kernelIfLi4EZNS0_9templates4cuda21uniform_and_transformIafPNS_17CUDAGeneratorImplEZZZNS4_16bernoulli_kernelIS7_EEvRNS_18TensorIteratorBaseEdT_ENKUlvE_clEvENKUlvE0_clEvEUlfE_EEvSA_T1_T2_EUlP25hiprandStatePhilox4_32_10E_ZNS1_27distribution_nullary_kernelIaf15HIP_vector_typeIdLj2EES7_SJ_SE_EEvSA_SG_RKT3_T4_EUlifE0_EEvlNS_15PhiloxCudaStateESF_SG_
	.p2align	8
	.type	_ZN2at6native12_GLOBAL__N_143distribution_elementwise_grid_stride_kernelIfLi4EZNS0_9templates4cuda21uniform_and_transformIafPNS_17CUDAGeneratorImplEZZZNS4_16bernoulli_kernelIS7_EEvRNS_18TensorIteratorBaseEdT_ENKUlvE_clEvENKUlvE0_clEvEUlfE_EEvSA_T1_T2_EUlP25hiprandStatePhilox4_32_10E_ZNS1_27distribution_nullary_kernelIaf15HIP_vector_typeIdLj2EES7_SJ_SE_EEvSA_SG_RKT3_T4_EUlifE0_EEvlNS_15PhiloxCudaStateESF_SG_,@function
_ZN2at6native12_GLOBAL__N_143distribution_elementwise_grid_stride_kernelIfLi4EZNS0_9templates4cuda21uniform_and_transformIafPNS_17CUDAGeneratorImplEZZZNS4_16bernoulli_kernelIS7_EEvRNS_18TensorIteratorBaseEdT_ENKUlvE_clEvENKUlvE0_clEvEUlfE_EEvSA_T1_T2_EUlP25hiprandStatePhilox4_32_10E_ZNS1_27distribution_nullary_kernelIaf15HIP_vector_typeIdLj2EES7_SJ_SE_EEvSA_SG_RKT3_T4_EUlifE0_EEvlNS_15PhiloxCudaStateESF_SG_: ; @_ZN2at6native12_GLOBAL__N_143distribution_elementwise_grid_stride_kernelIfLi4EZNS0_9templates4cuda21uniform_and_transformIafPNS_17CUDAGeneratorImplEZZZNS4_16bernoulli_kernelIS7_EEvRNS_18TensorIteratorBaseEdT_ENKUlvE_clEvENKUlvE0_clEvEUlfE_EEvSA_T1_T2_EUlP25hiprandStatePhilox4_32_10E_ZNS1_27distribution_nullary_kernelIaf15HIP_vector_typeIdLj2EES7_SJ_SE_EEvSA_SG_RKT3_T4_EUlifE0_EEvlNS_15PhiloxCudaStateESF_SG_
; %bb.0:
	s_clause 0x2
	s_load_b64 s[4:5], s[0:1], 0x10
	s_load_b128 s[16:19], s[0:1], 0x0
	s_load_b32 s2, s[0:1], 0x20
	s_waitcnt lgkmcnt(0)
	v_dual_mov_b32 v2, s4 :: v_dual_mov_b32 v3, s5
	v_dual_mov_b32 v11, s18 :: v_dual_mov_b32 v12, s19
	s_bitcmp0_b32 s2, 0
	s_mov_b32 s2, 0
	s_cbranch_scc1 .LBB126_2
; %bb.1:
	v_dual_mov_b32 v1, s4 :: v_dual_mov_b32 v2, s5
	v_dual_mov_b32 v4, s18 :: v_dual_mov_b32 v5, s19
	s_load_b64 s[4:5], s[0:1], 0x18
	flat_load_b64 v[2:3], v[1:2]
	flat_load_b64 v[11:12], v[4:5]
	s_waitcnt vmcnt(1) lgkmcnt(0)
	v_add_co_u32 v2, vcc_lo, v2, s4
	v_add_co_ci_u32_e32 v3, vcc_lo, s5, v3, vcc_lo
.LBB126_2:
	s_clause 0x1
	s_load_b32 s3, s[0:1], 0x154
	s_load_b32 s4, s[0:1], 0x148
	s_waitcnt lgkmcnt(0)
	s_and_b32 s5, s3, 0xffff
	s_add_u32 s6, s16, -1
	s_mul_i32 s24, s4, s5
	s_addc_u32 s3, s17, -1
	s_lshl_b32 s25, s24, 2
	s_cmp_lg_u64 s[2:3], 0
	s_cbranch_scc0 .LBB126_49
; %bb.3:
	v_cvt_f32_ubyte0_e32 v1, 0
	v_cvt_f32_u32_e32 v4, s25
	s_sub_u32 s8, 0, s25
	s_subb_u32 s9, 0, 0
	s_delay_alu instid0(VALU_DEP_1) | instskip(NEXT) | instid1(VALU_DEP_1)
	v_fmamk_f32 v1, v1, 0x4f800000, v4
	v_rcp_f32_e32 v1, v1
	s_waitcnt_depctr 0xfff
	v_mul_f32_e32 v1, 0x5f7ffffc, v1
	s_delay_alu instid0(VALU_DEP_1) | instskip(NEXT) | instid1(VALU_DEP_1)
	v_mul_f32_e32 v4, 0x2f800000, v1
	v_trunc_f32_e32 v4, v4
	s_delay_alu instid0(VALU_DEP_1) | instskip(SKIP_1) | instid1(VALU_DEP_2)
	v_fmamk_f32 v1, v4, 0xcf800000, v1
	v_cvt_u32_f32_e32 v4, v4
	v_cvt_u32_f32_e32 v1, v1
	s_delay_alu instid0(VALU_DEP_2) | instskip(NEXT) | instid1(VALU_DEP_2)
	v_readfirstlane_b32 s2, v4
	v_readfirstlane_b32 s7, v1
	s_delay_alu instid0(VALU_DEP_2) | instskip(NEXT) | instid1(VALU_DEP_1)
	s_mul_i32 s10, s8, s2
	s_mul_hi_u32 s12, s8, s7
	s_mul_i32 s11, s9, s7
	s_add_i32 s10, s12, s10
	s_mul_i32 s13, s8, s7
	s_add_i32 s10, s10, s11
	s_mul_hi_u32 s12, s7, s13
	s_mul_hi_u32 s14, s2, s13
	s_mul_i32 s11, s2, s13
	s_mul_hi_u32 s13, s7, s10
	s_mul_i32 s7, s7, s10
	s_mul_hi_u32 s18, s2, s10
	s_add_u32 s7, s12, s7
	s_addc_u32 s12, 0, s13
	s_add_u32 s7, s7, s11
	s_mul_i32 s10, s2, s10
	s_addc_u32 s7, s12, s14
	s_addc_u32 s11, s18, 0
	s_add_u32 s7, s7, s10
	s_addc_u32 s10, 0, s11
	v_add_co_u32 v1, s7, v1, s7
	s_delay_alu instid0(VALU_DEP_1) | instskip(SKIP_1) | instid1(VALU_DEP_1)
	s_cmp_lg_u32 s7, 0
	s_addc_u32 s2, s2, s10
	v_readfirstlane_b32 s7, v1
	s_mul_i32 s10, s8, s2
	s_delay_alu instid0(VALU_DEP_1)
	s_mul_hi_u32 s11, s8, s7
	s_mul_i32 s9, s9, s7
	s_add_i32 s10, s11, s10
	s_mul_i32 s8, s8, s7
	s_add_i32 s10, s10, s9
	s_mul_hi_u32 s11, s2, s8
	s_mul_i32 s12, s2, s8
	s_mul_hi_u32 s8, s7, s8
	s_mul_hi_u32 s13, s7, s10
	s_mul_i32 s7, s7, s10
	s_mul_hi_u32 s9, s2, s10
	s_add_u32 s7, s8, s7
	s_addc_u32 s8, 0, s13
	s_add_u32 s7, s7, s12
	s_mul_i32 s10, s2, s10
	s_addc_u32 s7, s8, s11
	s_addc_u32 s8, s9, 0
	s_add_u32 s7, s7, s10
	s_addc_u32 s8, 0, s8
	v_add_co_u32 v1, s7, v1, s7
	s_delay_alu instid0(VALU_DEP_1) | instskip(SKIP_2) | instid1(VALU_DEP_1)
	s_cmp_lg_u32 s7, 0
	s_addc_u32 s7, s2, s8
	s_ashr_i32 s8, s3, 31
	v_readfirstlane_b32 s10, v1
	s_add_u32 s2, s6, s8
	s_mov_b32 s9, s8
	s_addc_u32 s3, s3, s8
	s_delay_alu instid0(SALU_CYCLE_1) | instskip(NEXT) | instid1(SALU_CYCLE_1)
	s_xor_b64 s[2:3], s[2:3], s[8:9]
	s_mul_i32 s12, s2, s7
	s_mul_hi_u32 s13, s2, s10
	s_mul_hi_u32 s11, s2, s7
	;; [unrolled: 1-line block ×3, first 2 shown]
	s_mul_i32 s10, s3, s10
	s_add_u32 s12, s13, s12
	s_addc_u32 s11, 0, s11
	s_mul_hi_u32 s14, s3, s7
	s_add_u32 s10, s12, s10
	s_mul_i32 s7, s3, s7
	s_addc_u32 s10, s11, s18
	s_addc_u32 s11, s14, 0
	s_add_u32 s7, s10, s7
	s_addc_u32 s10, 0, s11
	s_mul_i32 s12, s25, s7
	s_add_u32 s11, s7, 1
	v_sub_co_u32 v1, s2, s2, s12
	s_mul_hi_u32 s12, s25, s7
	s_addc_u32 s13, s10, 0
	s_mul_i32 s14, s25, s10
	s_delay_alu instid0(VALU_DEP_1)
	v_sub_co_u32 v4, s18, v1, s25
	s_add_u32 s19, s7, 2
	s_addc_u32 s20, s10, 0
	s_add_i32 s12, s12, s14
	s_cmp_lg_u32 s2, 0
	v_readfirstlane_b32 s2, v4
	s_subb_u32 s3, s3, s12
	s_cmp_lg_u32 s18, 0
	s_subb_u32 s12, s3, 0
	s_delay_alu instid0(VALU_DEP_1) | instskip(SKIP_4) | instid1(SALU_CYCLE_1)
	s_cmp_ge_u32 s2, s25
	s_cselect_b32 s2, -1, 0
	s_cmp_eq_u32 s12, 0
	v_readfirstlane_b32 s12, v1
	s_cselect_b32 s2, s2, -1
	s_cmp_lg_u32 s2, 0
	s_cselect_b32 s2, s19, s11
	s_cselect_b32 s11, s20, s13
	s_cmp_ge_u32 s12, s25
	s_cselect_b32 s12, -1, 0
	s_cmp_eq_u32 s3, 0
	s_cselect_b32 s3, s12, -1
	s_delay_alu instid0(SALU_CYCLE_1) | instskip(SKIP_2) | instid1(SALU_CYCLE_1)
	s_cmp_lg_u32 s3, 0
	s_cselect_b32 s3, s11, s10
	s_cselect_b32 s2, s2, s7
	s_xor_b64 s[2:3], s[2:3], s[8:9]
	s_delay_alu instid0(SALU_CYCLE_1)
	s_sub_u32 s2, s2, s8
	s_subb_u32 s3, s3, s8
	s_cbranch_execnz .LBB126_5
.LBB126_4:
	v_cvt_f32_u32_e32 v1, s25
	s_sub_i32 s3, 0, s25
	s_delay_alu instid0(VALU_DEP_1) | instskip(SKIP_2) | instid1(VALU_DEP_1)
	v_rcp_iflag_f32_e32 v1, v1
	s_waitcnt_depctr 0xfff
	v_mul_f32_e32 v1, 0x4f7ffffe, v1
	v_cvt_u32_f32_e32 v1, v1
	s_delay_alu instid0(VALU_DEP_1) | instskip(NEXT) | instid1(VALU_DEP_1)
	v_readfirstlane_b32 s2, v1
	s_mul_i32 s3, s3, s2
	s_delay_alu instid0(SALU_CYCLE_1) | instskip(NEXT) | instid1(SALU_CYCLE_1)
	s_mul_hi_u32 s3, s2, s3
	s_add_i32 s2, s2, s3
	s_delay_alu instid0(SALU_CYCLE_1) | instskip(NEXT) | instid1(SALU_CYCLE_1)
	s_mul_hi_u32 s2, s6, s2
	s_mul_i32 s3, s2, s25
	s_delay_alu instid0(SALU_CYCLE_1)
	s_sub_i32 s3, s6, s3
	s_add_i32 s6, s2, 1
	s_sub_i32 s7, s3, s25
	s_cmp_ge_u32 s3, s25
	s_cselect_b32 s2, s6, s2
	s_cselect_b32 s3, s7, s3
	s_add_i32 s6, s2, 1
	s_cmp_ge_u32 s3, s25
	s_mov_b32 s3, 0
	s_cselect_b32 s2, s6, s2
.LBB126_5:
	v_mov_b32_e32 v1, 0
	s_add_u32 s2, s2, 1
	s_addc_u32 s3, s3, 0
	s_mul_hi_u32 s6, s24, s2
	s_mul_i32 s3, s24, s3
	v_mad_u64_u32 v[13:14], null, s5, s15, v[0:1]
	s_mul_hi_u32 s4, s4, s5
	s_add_i32 s3, s6, s3
	s_mul_i32 s4, s4, s2
	s_mul_i32 s2, s24, s2
	s_add_i32 s3, s3, s4
	s_mov_b32 s4, exec_lo
	s_lshl_b64 s[2:3], s[2:3], 2
	s_delay_alu instid0(SALU_CYCLE_1)
	v_cmpx_gt_i64_e64 s[2:3], v[13:14]
	s_cbranch_execz .LBB126_48
; %bb.6:
	v_alignbit_b32 v17, v3, v2, 2
	v_mad_u64_u32 v[4:5], null, 0xcd9e8d57, v13, 0
	v_lshrrev_b32_e32 v18, 2, v3
	s_waitcnt vmcnt(0)
	v_dual_mov_b32 v9, v12 :: v_dual_add_nc_u32 v28, 0x8ff34781, v11
	v_mad_u64_u32 v[0:1], null, 0xd2511f53, v17, 0
	v_add_co_u32 v20, null, 0x9e3779b9, v11
	v_xor3_b32 v3, v11, v5, v18
	s_delay_alu instid0(VALU_DEP_4) | instskip(SKIP_2) | instid1(VALU_DEP_4)
	v_add_co_u32 v19, null, 0xbb67ae85, v9
	v_add_co_u32 v21, null, 0x3c6ef372, v11
	v_xor_b32_e32 v1, v1, v12
	v_mad_u64_u32 v[5:6], null, 0xd2511f53, v3, 0
	v_add_co_u32 v22, null, 0x76cf5d0a, v9
	s_delay_alu instid0(VALU_DEP_3) | instskip(SKIP_2) | instid1(VALU_DEP_3)
	v_xor_b32_e32 v1, v1, v14
	v_add_co_u32 v23, null, 0x32370b8f, v9
	v_add_co_u32 v24, null, 0xdaa66d2b, v11
	v_mad_u64_u32 v[7:8], null, 0xcd9e8d57, v1, 0
	v_xor3_b32 v3, v19, v6, v0
	v_add_co_u32 v25, null, 0x78dde6e4, v11
	v_add_co_u32 v26, null, 0xed9eba14, v9
	s_delay_alu instid0(VALU_DEP_3) | instskip(SKIP_3) | instid1(VALU_DEP_3)
	v_mad_u64_u32 v[0:1], null, 0xcd9e8d57, v3, 0
	v_xor3_b32 v6, v20, v8, v4
	v_dual_mov_b32 v40, v14 :: v_dual_and_b32 v27, 3, v2
	v_add_co_u32 v29, null, 0xa9066899, v9
	v_mad_u64_u32 v[3:4], null, 0xd2511f53, v6, 0
	v_xor3_b32 v1, v21, v1, v7
	v_add_co_u32 v30, null, 0x1715609d, v11
	s_clause 0x1
	s_load_b64 s[20:21], s[0:1], 0xf4
	s_load_b128 s[12:15], s[0:1], 0x138
	v_add_co_u32 v32, null, 0xb54cda56, v11
	s_delay_alu instid0(VALU_DEP_4) | instskip(SKIP_2) | instid1(VALU_DEP_3)
	v_xor3_b32 v8, v22, v4, v5
	v_mad_u64_u32 v[4:5], null, 0xd2511f53, v1, 0
	v_add_co_u32 v33, null, 0x646e171e, v9
	v_mad_u64_u32 v[6:7], null, 0xcd9e8d57, v8, 0
	s_load_b256 s[4:11], s[0:1], 0x30
	v_add_co_u32 v31, null, 0x5384540f, v11
	s_delay_alu instid0(VALU_DEP_4) | instskip(SKIP_1) | instid1(VALU_DEP_4)
	v_xor3_b32 v3, v23, v5, v3
	v_add_co_u32 v35, null, 0x1fd5c5a3, v9
	v_xor3_b32 v5, v24, v7, v0
	v_add_co_u32 v34, null, 0xf1bbcdc8, v11
	s_delay_alu instid0(VALU_DEP_4) | instskip(NEXT) | instid1(VALU_DEP_3)
	v_mad_u64_u32 v[0:1], null, 0xcd9e8d57, v3, 0
	v_mad_u64_u32 v[7:8], null, 0xd2511f53, v5, 0
	s_waitcnt lgkmcnt(0)
	v_cvt_f32_f64_e32 v36, s[14:15]
	v_add_co_u32 v37, null, 0xdb3d7428, v9
	s_add_u32 s18, s0, 48
	s_delay_alu instid0(VALU_DEP_4) | instskip(SKIP_1) | instid1(VALU_DEP_4)
	v_xor3_b32 v3, v25, v1, v6
	s_addc_u32 s19, s1, 0
	v_xor3_b32 v5, v26, v8, v4
	s_add_i32 s22, s4, -1
	v_dual_mov_b32 v39, v13 :: v_dual_add_nc_u32 v38, 0x96a522ad, v12
	v_mad_u64_u32 v[1:2], null, 0xd2511f53, v3, 0
	s_delay_alu instid0(VALU_DEP_3) | instskip(SKIP_4) | instid1(VALU_DEP_2)
	v_mad_u64_u32 v[3:4], null, 0xcd9e8d57, v5, 0
	s_cmp_gt_u32 s22, 1
	s_mov_b32 s26, 0
	s_cselect_b32 s11, -1, 0
	s_cmp_lg_u32 s4, 0
	v_xor3_b32 v2, v29, v2, v7
	s_cselect_b32 s27, -1, 0
	s_delay_alu instid0(VALU_DEP_2) | instskip(SKIP_3) | instid1(VALU_DEP_2)
	v_xor3_b32 v0, v30, v4, v0
	s_add_u32 s0, s0, 0xf4
	s_addc_u32 s1, s1, 0
	v_mad_u64_u32 v[4:5], null, 0xcd9e8d57, v2, 0
	v_mad_u64_u32 v[6:7], null, 0xd2511f53, v0, 0
	s_min_u32 s14, s22, 15
	s_cmp_gt_u32 s4, 1
	s_cselect_b32 s4, -1, 0
	s_delay_alu instid0(VALU_DEP_2) | instskip(SKIP_1) | instid1(VALU_DEP_2)
	v_xor3_b32 v2, v32, v5, v3
	s_add_i32 s14, s14, 1
	v_xor3_b32 v5, v33, v7, v1
	s_and_b32 s28, s14, 3
	s_cmp_lg_u32 s22, 2
	v_mad_u64_u32 v[0:1], null, 0xd2511f53, v2, 0
	s_delay_alu instid0(VALU_DEP_2) | instskip(SKIP_3) | instid1(VALU_DEP_2)
	v_mad_u64_u32 v[2:3], null, 0xcd9e8d57, v5, 0
	s_cselect_b32 s29, -1, 0
	s_and_b32 s30, s14, 28
	s_cmp_lg_u32 s28, 0
	v_xor3_b32 v1, v35, v1, v6
	s_cselect_b32 s31, -1, 0
	s_delay_alu instid0(VALU_DEP_2) | instskip(NEXT) | instid1(VALU_DEP_2)
	v_xor3_b32 v3, v31, v3, v4
	v_mad_u64_u32 v[4:5], null, 0xcd9e8d57, v1, 0
	s_delay_alu instid0(VALU_DEP_2) | instskip(NEXT) | instid1(VALU_DEP_2)
	v_mad_u64_u32 v[6:7], null, 0xd2511f53, v3, 0
	v_xor3_b32 v1, v34, v5, v2
	s_delay_alu instid0(VALU_DEP_2) | instskip(NEXT) | instid1(VALU_DEP_2)
	v_xor3_b32 v0, v37, v7, v0
	v_mad_u64_u32 v[7:8], null, 0xd2511f53, v1, 0
	s_delay_alu instid0(VALU_DEP_2) | instskip(NEXT) | instid1(VALU_DEP_2)
	v_mad_u64_u32 v[1:2], null, 0xcd9e8d57, v0, 0
	v_mov_b32_e32 v3, v7
	s_delay_alu instid0(VALU_DEP_2) | instskip(NEXT) | instid1(VALU_DEP_4)
	v_xor3_b32 v0, v2, v4, v28
	v_xor3_b32 v2, v8, v6, v38
	s_branch .LBB126_9
.LBB126_7:                              ;   in Loop: Header=BB126_9 Depth=1
	v_lshrrev_b32_e32 v0, 11, v3
	v_cvt_f64_u32_e32 v[2:3], v2
	s_delay_alu instid0(VALU_DEP_2) | instskip(NEXT) | instid1(VALU_DEP_1)
	v_cvt_f64_u32_e32 v[7:8], v0
	v_ldexp_f64 v[7:8], v[7:8], 32
	s_delay_alu instid0(VALU_DEP_1) | instskip(NEXT) | instid1(VALU_DEP_1)
	v_add_f64 v[2:3], v[7:8], v[2:3]
	v_fma_f64 v[2:3], 0x3ca00000, v[2:3], 0x3ca00000
	s_delay_alu instid0(VALU_DEP_1) | instskip(NEXT) | instid1(VALU_DEP_1)
	v_cvt_f32_f64_e32 v0, v[2:3]
	v_cmp_gt_f32_e32 vcc_lo, v36, v0
	v_cndmask_b32_e64 v0, 0, 1, vcc_lo
	global_store_b8 v1, v0, s[12:13]
.LBB126_8:                              ;   in Loop: Header=BB126_9 Depth=1
	s_or_b32 exec_lo, exec_lo, s33
	v_add_co_u32 v13, vcc_lo, v13, s25
	v_add_co_ci_u32_e32 v14, vcc_lo, 0, v14, vcc_lo
	v_mov_b32_e32 v7, v15
	v_dual_mov_b32 v0, v4 :: v_dual_mov_b32 v1, v5
	s_delay_alu instid0(VALU_DEP_3) | instskip(NEXT) | instid1(VALU_DEP_3)
	v_cmp_le_i64_e32 vcc_lo, s[2:3], v[13:14]
	v_dual_mov_b32 v2, v6 :: v_dual_mov_b32 v3, v7
	s_waitcnt_vscnt null, 0x0
	s_barrier
	buffer_gl0_inv
	s_or_b32 s26, vcc_lo, s26
	s_delay_alu instid0(SALU_CYCLE_1)
	s_and_not1_b32 exec_lo, exec_lo, s26
	s_cbranch_execz .LBB126_48
.LBB126_9:                              ; =>This Loop Header: Depth=1
                                        ;     Child Loop BB126_24 Depth 2
                                        ;     Child Loop BB126_29 Depth 2
                                        ;     Child Loop BB126_39 Depth 2
                                        ;     Child Loop BB126_44 Depth 2
	v_add_co_u32 v17, vcc_lo, v17, 1
	s_delay_alu instid0(VALU_DEP_1) | instskip(SKIP_2) | instid1(VALU_DEP_1)
	v_cndmask_b32_e64 v4, 0, 1, vcc_lo
	v_add_co_ci_u32_e32 v18, vcc_lo, 0, v18, vcc_lo
	s_mov_b32 s14, exec_lo
	v_cmp_eq_u32_e32 vcc_lo, 0, v18
	s_delay_alu instid0(VALU_DEP_3) | instskip(NEXT) | instid1(VALU_DEP_1)
	v_cndmask_b32_e32 v4, 0, v4, vcc_lo
	v_add_nc_u32_e32 v39, v4, v39
	s_delay_alu instid0(VALU_DEP_1) | instskip(SKIP_2) | instid1(VALU_DEP_2)
	v_cmp_eq_u32_e32 vcc_lo, 0, v39
	v_cndmask_b32_e32 v4, 0, v4, vcc_lo
	v_mad_u64_u32 v[6:7], null, 0xcd9e8d57, v39, 0
	v_add_nc_u32_e32 v40, v4, v40
	v_mad_u64_u32 v[4:5], null, 0xd2511f53, v17, 0
	s_delay_alu instid0(VALU_DEP_3) | instskip(NEXT) | instid1(VALU_DEP_2)
	v_xor3_b32 v9, v7, v11, v18
	v_xor_b32_e32 v5, v5, v12
	s_delay_alu instid0(VALU_DEP_2) | instskip(NEXT) | instid1(VALU_DEP_2)
	v_mad_u64_u32 v[7:8], null, 0xd2511f53, v9, 0
	v_xor_b32_e32 v5, v40, v5
	s_delay_alu instid0(VALU_DEP_2) | instskip(NEXT) | instid1(VALU_DEP_2)
	v_xor3_b32 v8, v19, v8, v4
	v_mad_u64_u32 v[9:10], null, 0xcd9e8d57, v5, 0
	s_delay_alu instid0(VALU_DEP_2) | instskip(NEXT) | instid1(VALU_DEP_2)
	v_mad_u64_u32 v[4:5], null, 0xcd9e8d57, v8, 0
	v_xor3_b32 v6, v20, v10, v6
	s_delay_alu instid0(VALU_DEP_2) | instskip(NEXT) | instid1(VALU_DEP_2)
	v_xor3_b32 v8, v21, v5, v9
	v_mad_u64_u32 v[15:16], null, 0xd2511f53, v6, 0
	s_delay_alu instid0(VALU_DEP_2) | instskip(NEXT) | instid1(VALU_DEP_2)
	v_mad_u64_u32 v[5:6], null, 0xd2511f53, v8, 0
	v_xor3_b32 v9, v22, v16, v7
	s_delay_alu instid0(VALU_DEP_2) | instskip(NEXT) | instid1(VALU_DEP_2)
	v_xor3_b32 v6, v23, v6, v15
	v_mad_u64_u32 v[7:8], null, 0xcd9e8d57, v9, 0
	s_delay_alu instid0(VALU_DEP_1) | instskip(NEXT) | instid1(VALU_DEP_3)
	v_xor3_b32 v4, v24, v8, v4
	v_mad_u64_u32 v[8:9], null, 0xcd9e8d57, v6, 0
	s_delay_alu instid0(VALU_DEP_2) | instskip(NEXT) | instid1(VALU_DEP_2)
	v_mad_u64_u32 v[15:16], null, 0xd2511f53, v4, 0
	v_xor3_b32 v6, v25, v9, v7
	s_delay_alu instid0(VALU_DEP_2) | instskip(NEXT) | instid1(VALU_DEP_2)
	v_xor3_b32 v9, v26, v16, v5
	v_mad_u64_u32 v[4:5], null, 0xd2511f53, v6, 0
	s_delay_alu instid0(VALU_DEP_2) | instskip(NEXT) | instid1(VALU_DEP_2)
	v_mad_u64_u32 v[6:7], null, 0xcd9e8d57, v9, 0
	v_xor3_b32 v5, v29, v5, v15
	s_delay_alu instid0(VALU_DEP_2) | instskip(NEXT) | instid1(VALU_DEP_2)
	;; [unrolled: 6-line block ×6, first 2 shown]
	v_xor3_b32 v4, v6, v7, v28
	v_mov_b32_e32 v6, v10
	v_cmpx_lt_i32_e32 1, v27
	s_xor_b32 s14, exec_lo, s14
	s_cbranch_execnz .LBB126_12
; %bb.10:                               ;   in Loop: Header=BB126_9 Depth=1
	s_and_not1_saveexec_b32 s14, s14
	s_cbranch_execnz .LBB126_17
.LBB126_11:                             ;   in Loop: Header=BB126_9 Depth=1
	s_or_b32 exec_lo, exec_lo, s14
	s_delay_alu instid0(SALU_CYCLE_1)
	s_mov_b32 s33, exec_lo
	v_cmpx_gt_i64_e64 s[16:17], v[13:14]
	s_cbranch_execnz .LBB126_20
	s_branch .LBB126_34
.LBB126_12:                             ;   in Loop: Header=BB126_9 Depth=1
	s_mov_b32 s15, exec_lo
	v_cmpx_lt_i32_e32 2, v27
	s_xor_b32 s15, exec_lo, s15
; %bb.13:                               ;   in Loop: Header=BB126_9 Depth=1
	v_dual_mov_b32 v7, v3 :: v_dual_mov_b32 v8, v4
	v_mov_b32_e32 v9, v5
	s_delay_alu instid0(VALU_DEP_2) | instskip(NEXT) | instid1(VALU_DEP_2)
	v_dual_mov_b32 v0, v7 :: v_dual_mov_b32 v1, v8
	v_dual_mov_b32 v2, v9 :: v_dual_mov_b32 v3, v10
; %bb.14:                               ;   in Loop: Header=BB126_9 Depth=1
	s_and_not1_saveexec_b32 s15, s15
; %bb.15:                               ;   in Loop: Header=BB126_9 Depth=1
	s_delay_alu instid0(VALU_DEP_1)
	v_dual_mov_b32 v0, v2 :: v_dual_mov_b32 v1, v3
	v_dual_mov_b32 v2, v4 :: v_dual_mov_b32 v3, v5
; %bb.16:                               ;   in Loop: Header=BB126_9 Depth=1
	s_or_b32 exec_lo, exec_lo, s15
	s_and_not1_saveexec_b32 s14, s14
	s_cbranch_execz .LBB126_11
.LBB126_17:                             ;   in Loop: Header=BB126_9 Depth=1
	s_mov_b32 s15, exec_lo
	v_cmpx_eq_u32_e32 1, v27
; %bb.18:                               ;   in Loop: Header=BB126_9 Depth=1
	v_dual_mov_b32 v0, v1 :: v_dual_mov_b32 v1, v2
	v_dual_mov_b32 v2, v3 :: v_dual_mov_b32 v3, v4
; %bb.19:                               ;   in Loop: Header=BB126_9 Depth=1
	s_or_b32 exec_lo, exec_lo, s15
	s_delay_alu instid0(SALU_CYCLE_1) | instskip(NEXT) | instid1(SALU_CYCLE_1)
	s_or_b32 exec_lo, exec_lo, s14
	s_mov_b32 s33, exec_lo
	v_cmpx_gt_i64_e64 s[16:17], v[13:14]
	s_cbranch_execz .LBB126_34
.LBB126_20:                             ;   in Loop: Header=BB126_9 Depth=1
	s_and_not1_b32 vcc_lo, exec_lo, s11
	s_cbranch_vccnz .LBB126_26
; %bb.21:                               ;   in Loop: Header=BB126_9 Depth=1
	v_mov_b32_e32 v7, 0
	s_and_not1_b32 vcc_lo, exec_lo, s27
	s_cbranch_vccnz .LBB126_30
; %bb.22:                               ;   in Loop: Header=BB126_9 Depth=1
	s_and_not1_b32 vcc_lo, exec_lo, s29
	s_mov_b32 s14, 0
	s_cbranch_vccnz .LBB126_27
; %bb.23:                               ;   in Loop: Header=BB126_9 Depth=1
	v_dual_mov_b32 v7, 0 :: v_dual_mov_b32 v8, v13
	s_mov_b32 s34, 0
	s_mov_b64 s[14:15], s[18:19]
	s_mov_b64 s[22:23], s[0:1]
.LBB126_24:                             ;   Parent Loop BB126_9 Depth=1
                                        ; =>  This Inner Loop Header: Depth=2
	s_clause 0x1
	s_load_b256 s[36:43], s[14:15], 0x4
	s_load_b128 s[44:47], s[14:15], 0x24
	s_load_b128 s[48:51], s[22:23], 0x0
	s_add_u32 s14, s14, 48
	s_addc_u32 s15, s15, 0
	s_add_i32 s34, s34, 4
	s_add_u32 s22, s22, 16
	s_addc_u32 s23, s23, 0
	s_cmp_lg_u32 s30, s34
	s_waitcnt lgkmcnt(0)
	v_mul_hi_u32 v9, s37, v8
	s_delay_alu instid0(VALU_DEP_1) | instskip(NEXT) | instid1(VALU_DEP_1)
	v_add_nc_u32_e32 v9, v8, v9
	v_lshrrev_b32_e32 v9, s38, v9
	s_delay_alu instid0(VALU_DEP_1) | instskip(SKIP_1) | instid1(VALU_DEP_2)
	v_mul_hi_u32 v10, s40, v9
	v_mul_lo_u32 v42, v9, s36
	v_add_nc_u32_e32 v10, v9, v10
	s_delay_alu instid0(VALU_DEP_2) | instskip(NEXT) | instid1(VALU_DEP_2)
	v_sub_nc_u32_e32 v42, v8, v42
	v_lshrrev_b32_e32 v10, s41, v10
	s_delay_alu instid0(VALU_DEP_2) | instskip(NEXT) | instid1(VALU_DEP_2)
	v_mul_lo_u32 v42, v42, s48
	v_mul_hi_u32 v16, s43, v10
	v_mul_lo_u32 v43, v10, s39
	s_delay_alu instid0(VALU_DEP_2) | instskip(NEXT) | instid1(VALU_DEP_2)
	v_add_nc_u32_e32 v16, v10, v16
	v_sub_nc_u32_e32 v9, v9, v43
	s_delay_alu instid0(VALU_DEP_2) | instskip(NEXT) | instid1(VALU_DEP_2)
	v_lshrrev_b32_e32 v16, s44, v16
	v_mul_lo_u32 v9, v9, s49
	s_delay_alu instid0(VALU_DEP_2) | instskip(NEXT) | instid1(VALU_DEP_2)
	v_mul_hi_u32 v41, s46, v16
	v_add3_u32 v7, v42, v7, v9
	s_delay_alu instid0(VALU_DEP_2) | instskip(NEXT) | instid1(VALU_DEP_1)
	v_add_nc_u32_e32 v41, v16, v41
	v_lshrrev_b32_e32 v8, s47, v41
	v_mul_lo_u32 v41, v16, s42
	s_delay_alu instid0(VALU_DEP_2) | instskip(NEXT) | instid1(VALU_DEP_2)
	v_mul_lo_u32 v44, v8, s45
	v_sub_nc_u32_e32 v10, v10, v41
	s_delay_alu instid0(VALU_DEP_2) | instskip(NEXT) | instid1(VALU_DEP_2)
	v_sub_nc_u32_e32 v16, v16, v44
	v_mul_lo_u32 v10, v10, s50
	s_delay_alu instid0(VALU_DEP_2) | instskip(NEXT) | instid1(VALU_DEP_1)
	v_mul_lo_u32 v16, v16, s51
	v_add3_u32 v7, v10, v7, v16
	s_cbranch_scc1 .LBB126_24
; %bb.25:                               ;   in Loop: Header=BB126_9 Depth=1
	s_mov_b32 s14, s30
	s_and_not1_b32 vcc_lo, exec_lo, s31
	s_cbranch_vccz .LBB126_28
	s_branch .LBB126_30
.LBB126_26:                             ;   in Loop: Header=BB126_9 Depth=1
                                        ; implicit-def: $vgpr7
	s_branch .LBB126_31
.LBB126_27:                             ;   in Loop: Header=BB126_9 Depth=1
	v_mov_b32_e32 v8, v13
	s_and_not1_b32 vcc_lo, exec_lo, s31
	s_cbranch_vccnz .LBB126_30
.LBB126_28:                             ;   in Loop: Header=BB126_9 Depth=1
	s_lshl_b32 s15, s14, 2
	s_mul_i32 s22, s14, 12
	s_add_u32 s14, s0, s15
	s_addc_u32 s15, s1, 0
	s_add_u32 s22, s18, s22
	s_addc_u32 s23, s19, 0
	s_mov_b32 s34, s28
	.p2align	6
.LBB126_29:                             ;   Parent Loop BB126_9 Depth=1
                                        ; =>  This Inner Loop Header: Depth=2
	s_clause 0x1
	s_load_b64 s[36:37], s[22:23], 0x4
	s_load_b32 s35, s[22:23], 0xc
	s_add_u32 s22, s22, 12
	s_addc_u32 s23, s23, 0
	s_waitcnt lgkmcnt(0)
	v_mul_hi_u32 v9, s37, v8
	s_load_b32 s37, s[14:15], 0x0
	s_add_u32 s14, s14, 4
	s_addc_u32 s15, s15, 0
	s_add_i32 s34, s34, -1
	s_delay_alu instid0(SALU_CYCLE_1) | instskip(NEXT) | instid1(VALU_DEP_1)
	s_cmp_lg_u32 s34, 0
	v_add_nc_u32_e32 v9, v8, v9
	s_delay_alu instid0(VALU_DEP_1) | instskip(NEXT) | instid1(VALU_DEP_1)
	v_lshrrev_b32_e32 v16, s35, v9
	v_mul_lo_u32 v9, v16, s36
	s_delay_alu instid0(VALU_DEP_1) | instskip(SKIP_1) | instid1(VALU_DEP_1)
	v_sub_nc_u32_e32 v8, v8, v9
	s_waitcnt lgkmcnt(0)
	v_mad_u64_u32 v[9:10], null, v8, s37, v[7:8]
	s_delay_alu instid0(VALU_DEP_1)
	v_dual_mov_b32 v8, v16 :: v_dual_mov_b32 v7, v9
	s_cbranch_scc1 .LBB126_29
.LBB126_30:                             ;   in Loop: Header=BB126_9 Depth=1
	s_cbranch_execnz .LBB126_33
.LBB126_31:                             ;   in Loop: Header=BB126_9 Depth=1
	v_mul_hi_u32 v7, v13, s6
	s_and_not1_b32 vcc_lo, exec_lo, s4
	s_delay_alu instid0(VALU_DEP_1) | instskip(NEXT) | instid1(VALU_DEP_1)
	v_add_nc_u32_e32 v7, v7, v13
	v_lshrrev_b32_e32 v8, s7, v7
	s_delay_alu instid0(VALU_DEP_1) | instskip(NEXT) | instid1(VALU_DEP_1)
	v_mul_lo_u32 v7, v8, s5
	v_sub_nc_u32_e32 v7, v13, v7
	s_delay_alu instid0(VALU_DEP_1)
	v_mul_lo_u32 v7, v7, s20
	s_cbranch_vccnz .LBB126_33
; %bb.32:                               ;   in Loop: Header=BB126_9 Depth=1
	v_mul_hi_u32 v9, s9, v8
	s_delay_alu instid0(VALU_DEP_1) | instskip(NEXT) | instid1(VALU_DEP_1)
	v_add_nc_u32_e32 v9, v8, v9
	v_lshrrev_b32_e32 v9, s10, v9
	s_delay_alu instid0(VALU_DEP_1) | instskip(NEXT) | instid1(VALU_DEP_1)
	v_mul_lo_u32 v9, v9, s8
	v_sub_nc_u32_e32 v10, v8, v9
	s_delay_alu instid0(VALU_DEP_1) | instskip(NEXT) | instid1(VALU_DEP_1)
	v_mad_u64_u32 v[8:9], null, v10, s21, v[7:8]
	v_mov_b32_e32 v7, v8
.LBB126_33:                             ;   in Loop: Header=BB126_9 Depth=1
	v_lshrrev_b32_e32 v1, 11, v1
	s_delay_alu instid0(VALU_DEP_1) | instskip(SKIP_1) | instid1(VALU_DEP_2)
	v_cvt_f64_u32_e32 v[8:9], v1
	v_cvt_f64_u32_e32 v[0:1], v0
	v_ldexp_f64 v[8:9], v[8:9], 32
	s_delay_alu instid0(VALU_DEP_1) | instskip(NEXT) | instid1(VALU_DEP_1)
	v_add_f64 v[0:1], v[8:9], v[0:1]
	v_fma_f64 v[0:1], 0x3ca00000, v[0:1], 0x3ca00000
	s_delay_alu instid0(VALU_DEP_1) | instskip(NEXT) | instid1(VALU_DEP_1)
	v_cvt_f32_f64_e32 v0, v[0:1]
	v_cmp_gt_f32_e32 vcc_lo, v36, v0
	v_cndmask_b32_e64 v0, 0, 1, vcc_lo
	global_store_b8 v7, v0, s[12:13]
.LBB126_34:                             ;   in Loop: Header=BB126_9 Depth=1
	s_or_b32 exec_lo, exec_lo, s33
	v_add_co_u32 v0, vcc_lo, v13, s24
	v_add_co_ci_u32_e32 v1, vcc_lo, 0, v14, vcc_lo
	s_mov_b32 s33, exec_lo
	s_delay_alu instid0(VALU_DEP_1)
	v_cmpx_gt_i64_e64 s[16:17], v[0:1]
	s_cbranch_execz .LBB126_8
; %bb.35:                               ;   in Loop: Header=BB126_9 Depth=1
	s_and_not1_b32 vcc_lo, exec_lo, s11
	s_cbranch_vccnz .LBB126_41
; %bb.36:                               ;   in Loop: Header=BB126_9 Depth=1
	v_mov_b32_e32 v1, 0
	s_and_not1_b32 vcc_lo, exec_lo, s27
	s_cbranch_vccnz .LBB126_45
; %bb.37:                               ;   in Loop: Header=BB126_9 Depth=1
	s_and_not1_b32 vcc_lo, exec_lo, s29
	s_mov_b32 s14, 0
	s_cbranch_vccnz .LBB126_42
; %bb.38:                               ;   in Loop: Header=BB126_9 Depth=1
	v_mov_b32_e32 v1, 0
	v_mov_b32_e32 v7, v0
	s_mov_b32 s34, 0
	s_mov_b64 s[14:15], s[18:19]
	s_mov_b64 s[22:23], s[0:1]
.LBB126_39:                             ;   Parent Loop BB126_9 Depth=1
                                        ; =>  This Inner Loop Header: Depth=2
	s_clause 0x1
	s_load_b256 s[36:43], s[14:15], 0x4
	s_load_b128 s[44:47], s[14:15], 0x24
	s_load_b128 s[48:51], s[22:23], 0x0
	s_add_u32 s14, s14, 48
	s_addc_u32 s15, s15, 0
	s_add_i32 s34, s34, 4
	s_add_u32 s22, s22, 16
	s_addc_u32 s23, s23, 0
	s_cmp_eq_u32 s30, s34
	s_waitcnt lgkmcnt(0)
	v_mul_hi_u32 v8, s37, v7
	s_delay_alu instid0(VALU_DEP_1) | instskip(NEXT) | instid1(VALU_DEP_1)
	v_add_nc_u32_e32 v8, v7, v8
	v_lshrrev_b32_e32 v8, s38, v8
	s_delay_alu instid0(VALU_DEP_1) | instskip(SKIP_1) | instid1(VALU_DEP_2)
	v_mul_hi_u32 v9, s40, v8
	v_mul_lo_u32 v41, v8, s36
	v_add_nc_u32_e32 v9, v8, v9
	s_delay_alu instid0(VALU_DEP_2) | instskip(NEXT) | instid1(VALU_DEP_2)
	v_sub_nc_u32_e32 v41, v7, v41
	v_lshrrev_b32_e32 v9, s41, v9
	s_delay_alu instid0(VALU_DEP_2) | instskip(NEXT) | instid1(VALU_DEP_2)
	v_mul_lo_u32 v41, v41, s48
	v_mul_hi_u32 v10, s43, v9
	v_mul_lo_u32 v42, v9, s39
	s_delay_alu instid0(VALU_DEP_2) | instskip(NEXT) | instid1(VALU_DEP_2)
	v_add_nc_u32_e32 v10, v9, v10
	v_sub_nc_u32_e32 v8, v8, v42
	s_delay_alu instid0(VALU_DEP_2) | instskip(NEXT) | instid1(VALU_DEP_2)
	v_lshrrev_b32_e32 v10, s44, v10
	v_mul_lo_u32 v8, v8, s49
	s_delay_alu instid0(VALU_DEP_2) | instskip(NEXT) | instid1(VALU_DEP_2)
	v_mul_hi_u32 v16, s46, v10
	v_add3_u32 v1, v41, v1, v8
	s_delay_alu instid0(VALU_DEP_2) | instskip(NEXT) | instid1(VALU_DEP_1)
	v_add_nc_u32_e32 v16, v10, v16
	v_lshrrev_b32_e32 v7, s47, v16
	v_mul_lo_u32 v16, v10, s42
	s_delay_alu instid0(VALU_DEP_2) | instskip(NEXT) | instid1(VALU_DEP_2)
	v_mul_lo_u32 v43, v7, s45
	v_sub_nc_u32_e32 v9, v9, v16
	s_delay_alu instid0(VALU_DEP_2) | instskip(NEXT) | instid1(VALU_DEP_2)
	v_sub_nc_u32_e32 v10, v10, v43
	v_mul_lo_u32 v9, v9, s50
	s_delay_alu instid0(VALU_DEP_2) | instskip(NEXT) | instid1(VALU_DEP_1)
	v_mul_lo_u32 v10, v10, s51
	v_add3_u32 v1, v9, v1, v10
	s_cbranch_scc0 .LBB126_39
; %bb.40:                               ;   in Loop: Header=BB126_9 Depth=1
	s_mov_b32 s14, s30
	s_and_not1_b32 vcc_lo, exec_lo, s31
	s_cbranch_vccz .LBB126_43
	s_branch .LBB126_45
.LBB126_41:                             ;   in Loop: Header=BB126_9 Depth=1
                                        ; implicit-def: $vgpr1
	s_branch .LBB126_46
.LBB126_42:                             ;   in Loop: Header=BB126_9 Depth=1
	v_mov_b32_e32 v7, v0
	s_and_not1_b32 vcc_lo, exec_lo, s31
	s_cbranch_vccnz .LBB126_45
.LBB126_43:                             ;   in Loop: Header=BB126_9 Depth=1
	s_lshl_b32 s15, s14, 2
	s_mul_i32 s22, s14, 12
	s_add_u32 s14, s0, s15
	s_addc_u32 s15, s1, 0
	s_add_u32 s22, s18, s22
	s_addc_u32 s23, s19, 0
	s_mov_b32 s34, s28
	.p2align	6
.LBB126_44:                             ;   Parent Loop BB126_9 Depth=1
                                        ; =>  This Inner Loop Header: Depth=2
	s_clause 0x1
	s_load_b64 s[36:37], s[22:23], 0x4
	s_load_b32 s35, s[22:23], 0xc
	s_add_u32 s22, s22, 12
	s_addc_u32 s23, s23, 0
	s_waitcnt lgkmcnt(0)
	v_mul_hi_u32 v8, s37, v7
	s_load_b32 s37, s[14:15], 0x0
	s_add_u32 s14, s14, 4
	s_addc_u32 s15, s15, 0
	s_add_i32 s34, s34, -1
	s_delay_alu instid0(SALU_CYCLE_1) | instskip(NEXT) | instid1(VALU_DEP_1)
	s_cmp_lg_u32 s34, 0
	v_add_nc_u32_e32 v8, v7, v8
	s_delay_alu instid0(VALU_DEP_1) | instskip(NEXT) | instid1(VALU_DEP_1)
	v_lshrrev_b32_e32 v10, s35, v8
	v_mul_lo_u32 v8, v10, s36
	s_delay_alu instid0(VALU_DEP_1) | instskip(SKIP_1) | instid1(VALU_DEP_1)
	v_sub_nc_u32_e32 v7, v7, v8
	s_waitcnt lgkmcnt(0)
	v_mad_u64_u32 v[8:9], null, v7, s37, v[1:2]
	v_mov_b32_e32 v7, v10
	s_delay_alu instid0(VALU_DEP_2)
	v_mov_b32_e32 v1, v8
	s_cbranch_scc1 .LBB126_44
.LBB126_45:                             ;   in Loop: Header=BB126_9 Depth=1
	s_cbranch_execnz .LBB126_7
.LBB126_46:                             ;   in Loop: Header=BB126_9 Depth=1
	v_mul_hi_u32 v1, v0, s6
	s_and_not1_b32 vcc_lo, exec_lo, s4
	s_delay_alu instid0(VALU_DEP_1) | instskip(NEXT) | instid1(VALU_DEP_1)
	v_add_nc_u32_e32 v1, v1, v0
	v_lshrrev_b32_e32 v7, s7, v1
	s_delay_alu instid0(VALU_DEP_1) | instskip(NEXT) | instid1(VALU_DEP_1)
	v_mul_lo_u32 v1, v7, s5
	v_sub_nc_u32_e32 v0, v0, v1
	s_delay_alu instid0(VALU_DEP_1)
	v_mul_lo_u32 v1, v0, s20
	s_cbranch_vccnz .LBB126_7
; %bb.47:                               ;   in Loop: Header=BB126_9 Depth=1
	v_mul_hi_u32 v0, s9, v7
	s_delay_alu instid0(VALU_DEP_1) | instskip(NEXT) | instid1(VALU_DEP_1)
	v_add_nc_u32_e32 v0, v7, v0
	v_lshrrev_b32_e32 v0, s10, v0
	s_delay_alu instid0(VALU_DEP_1) | instskip(NEXT) | instid1(VALU_DEP_1)
	v_mul_lo_u32 v0, v0, s8
	v_sub_nc_u32_e32 v0, v7, v0
	s_delay_alu instid0(VALU_DEP_1) | instskip(NEXT) | instid1(VALU_DEP_1)
	v_mad_u64_u32 v[7:8], null, v0, s21, v[1:2]
	v_mov_b32_e32 v1, v7
	s_branch .LBB126_7
.LBB126_48:
	s_endpgm
.LBB126_49:
                                        ; implicit-def: $sgpr2_sgpr3
	s_branch .LBB126_4
	.section	.rodata,"a",@progbits
	.p2align	6, 0x0
	.amdhsa_kernel _ZN2at6native12_GLOBAL__N_143distribution_elementwise_grid_stride_kernelIfLi4EZNS0_9templates4cuda21uniform_and_transformIafPNS_17CUDAGeneratorImplEZZZNS4_16bernoulli_kernelIS7_EEvRNS_18TensorIteratorBaseEdT_ENKUlvE_clEvENKUlvE0_clEvEUlfE_EEvSA_T1_T2_EUlP25hiprandStatePhilox4_32_10E_ZNS1_27distribution_nullary_kernelIaf15HIP_vector_typeIdLj2EES7_SJ_SE_EEvSA_SG_RKT3_T4_EUlifE0_EEvlNS_15PhiloxCudaStateESF_SG_
		.amdhsa_group_segment_fixed_size 0
		.amdhsa_private_segment_fixed_size 0
		.amdhsa_kernarg_size 584
		.amdhsa_user_sgpr_count 15
		.amdhsa_user_sgpr_dispatch_ptr 0
		.amdhsa_user_sgpr_queue_ptr 0
		.amdhsa_user_sgpr_kernarg_segment_ptr 1
		.amdhsa_user_sgpr_dispatch_id 0
		.amdhsa_user_sgpr_private_segment_size 0
		.amdhsa_wavefront_size32 1
		.amdhsa_uses_dynamic_stack 0
		.amdhsa_enable_private_segment 0
		.amdhsa_system_sgpr_workgroup_id_x 1
		.amdhsa_system_sgpr_workgroup_id_y 0
		.amdhsa_system_sgpr_workgroup_id_z 0
		.amdhsa_system_sgpr_workgroup_info 0
		.amdhsa_system_vgpr_workitem_id 0
		.amdhsa_next_free_vgpr 45
		.amdhsa_next_free_sgpr 52
		.amdhsa_reserve_vcc 1
		.amdhsa_float_round_mode_32 0
		.amdhsa_float_round_mode_16_64 0
		.amdhsa_float_denorm_mode_32 3
		.amdhsa_float_denorm_mode_16_64 3
		.amdhsa_dx10_clamp 1
		.amdhsa_ieee_mode 1
		.amdhsa_fp16_overflow 0
		.amdhsa_workgroup_processor_mode 1
		.amdhsa_memory_ordered 1
		.amdhsa_forward_progress 0
		.amdhsa_shared_vgpr_count 0
		.amdhsa_exception_fp_ieee_invalid_op 0
		.amdhsa_exception_fp_denorm_src 0
		.amdhsa_exception_fp_ieee_div_zero 0
		.amdhsa_exception_fp_ieee_overflow 0
		.amdhsa_exception_fp_ieee_underflow 0
		.amdhsa_exception_fp_ieee_inexact 0
		.amdhsa_exception_int_div_zero 0
	.end_amdhsa_kernel
	.section	.text._ZN2at6native12_GLOBAL__N_143distribution_elementwise_grid_stride_kernelIfLi4EZNS0_9templates4cuda21uniform_and_transformIafPNS_17CUDAGeneratorImplEZZZNS4_16bernoulli_kernelIS7_EEvRNS_18TensorIteratorBaseEdT_ENKUlvE_clEvENKUlvE0_clEvEUlfE_EEvSA_T1_T2_EUlP25hiprandStatePhilox4_32_10E_ZNS1_27distribution_nullary_kernelIaf15HIP_vector_typeIdLj2EES7_SJ_SE_EEvSA_SG_RKT3_T4_EUlifE0_EEvlNS_15PhiloxCudaStateESF_SG_,"axG",@progbits,_ZN2at6native12_GLOBAL__N_143distribution_elementwise_grid_stride_kernelIfLi4EZNS0_9templates4cuda21uniform_and_transformIafPNS_17CUDAGeneratorImplEZZZNS4_16bernoulli_kernelIS7_EEvRNS_18TensorIteratorBaseEdT_ENKUlvE_clEvENKUlvE0_clEvEUlfE_EEvSA_T1_T2_EUlP25hiprandStatePhilox4_32_10E_ZNS1_27distribution_nullary_kernelIaf15HIP_vector_typeIdLj2EES7_SJ_SE_EEvSA_SG_RKT3_T4_EUlifE0_EEvlNS_15PhiloxCudaStateESF_SG_,comdat
.Lfunc_end126:
	.size	_ZN2at6native12_GLOBAL__N_143distribution_elementwise_grid_stride_kernelIfLi4EZNS0_9templates4cuda21uniform_and_transformIafPNS_17CUDAGeneratorImplEZZZNS4_16bernoulli_kernelIS7_EEvRNS_18TensorIteratorBaseEdT_ENKUlvE_clEvENKUlvE0_clEvEUlfE_EEvSA_T1_T2_EUlP25hiprandStatePhilox4_32_10E_ZNS1_27distribution_nullary_kernelIaf15HIP_vector_typeIdLj2EES7_SJ_SE_EEvSA_SG_RKT3_T4_EUlifE0_EEvlNS_15PhiloxCudaStateESF_SG_, .Lfunc_end126-_ZN2at6native12_GLOBAL__N_143distribution_elementwise_grid_stride_kernelIfLi4EZNS0_9templates4cuda21uniform_and_transformIafPNS_17CUDAGeneratorImplEZZZNS4_16bernoulli_kernelIS7_EEvRNS_18TensorIteratorBaseEdT_ENKUlvE_clEvENKUlvE0_clEvEUlfE_EEvSA_T1_T2_EUlP25hiprandStatePhilox4_32_10E_ZNS1_27distribution_nullary_kernelIaf15HIP_vector_typeIdLj2EES7_SJ_SE_EEvSA_SG_RKT3_T4_EUlifE0_EEvlNS_15PhiloxCudaStateESF_SG_
                                        ; -- End function
	.section	.AMDGPU.csdata,"",@progbits
; Kernel info:
; codeLenInByte = 3960
; NumSgprs: 54
; NumVgprs: 45
; ScratchSize: 0
; MemoryBound: 0
; FloatMode: 240
; IeeeMode: 1
; LDSByteSize: 0 bytes/workgroup (compile time only)
; SGPRBlocks: 6
; VGPRBlocks: 5
; NumSGPRsForWavesPerEU: 54
; NumVGPRsForWavesPerEU: 45
; Occupancy: 16
; WaveLimiterHint : 1
; COMPUTE_PGM_RSRC2:SCRATCH_EN: 0
; COMPUTE_PGM_RSRC2:USER_SGPR: 15
; COMPUTE_PGM_RSRC2:TRAP_HANDLER: 0
; COMPUTE_PGM_RSRC2:TGID_X_EN: 1
; COMPUTE_PGM_RSRC2:TGID_Y_EN: 0
; COMPUTE_PGM_RSRC2:TGID_Z_EN: 0
; COMPUTE_PGM_RSRC2:TIDIG_COMP_CNT: 0
	.section	.text._ZN2at6native12_GLOBAL__N_143distribution_elementwise_grid_stride_kernelIfLi4EZNS0_9templates4cuda21uniform_and_transformIafPNS_17CUDAGeneratorImplEZZZNS4_16bernoulli_kernelIS7_EEvRNS_18TensorIteratorBaseEdT_ENKUlvE_clEvENKUlvE0_clEvEUlfE_EEvSA_T1_T2_EUlP25hiprandStatePhilox4_32_10E0_ZNS1_27distribution_nullary_kernelIaf15HIP_vector_typeIfLj4EES7_SJ_SE_EEvSA_SG_RKT3_T4_EUlifE_EEvlNS_15PhiloxCudaStateESF_SG_,"axG",@progbits,_ZN2at6native12_GLOBAL__N_143distribution_elementwise_grid_stride_kernelIfLi4EZNS0_9templates4cuda21uniform_and_transformIafPNS_17CUDAGeneratorImplEZZZNS4_16bernoulli_kernelIS7_EEvRNS_18TensorIteratorBaseEdT_ENKUlvE_clEvENKUlvE0_clEvEUlfE_EEvSA_T1_T2_EUlP25hiprandStatePhilox4_32_10E0_ZNS1_27distribution_nullary_kernelIaf15HIP_vector_typeIfLj4EES7_SJ_SE_EEvSA_SG_RKT3_T4_EUlifE_EEvlNS_15PhiloxCudaStateESF_SG_,comdat
	.globl	_ZN2at6native12_GLOBAL__N_143distribution_elementwise_grid_stride_kernelIfLi4EZNS0_9templates4cuda21uniform_and_transformIafPNS_17CUDAGeneratorImplEZZZNS4_16bernoulli_kernelIS7_EEvRNS_18TensorIteratorBaseEdT_ENKUlvE_clEvENKUlvE0_clEvEUlfE_EEvSA_T1_T2_EUlP25hiprandStatePhilox4_32_10E0_ZNS1_27distribution_nullary_kernelIaf15HIP_vector_typeIfLj4EES7_SJ_SE_EEvSA_SG_RKT3_T4_EUlifE_EEvlNS_15PhiloxCudaStateESF_SG_ ; -- Begin function _ZN2at6native12_GLOBAL__N_143distribution_elementwise_grid_stride_kernelIfLi4EZNS0_9templates4cuda21uniform_and_transformIafPNS_17CUDAGeneratorImplEZZZNS4_16bernoulli_kernelIS7_EEvRNS_18TensorIteratorBaseEdT_ENKUlvE_clEvENKUlvE0_clEvEUlfE_EEvSA_T1_T2_EUlP25hiprandStatePhilox4_32_10E0_ZNS1_27distribution_nullary_kernelIaf15HIP_vector_typeIfLj4EES7_SJ_SE_EEvSA_SG_RKT3_T4_EUlifE_EEvlNS_15PhiloxCudaStateESF_SG_
	.p2align	8
	.type	_ZN2at6native12_GLOBAL__N_143distribution_elementwise_grid_stride_kernelIfLi4EZNS0_9templates4cuda21uniform_and_transformIafPNS_17CUDAGeneratorImplEZZZNS4_16bernoulli_kernelIS7_EEvRNS_18TensorIteratorBaseEdT_ENKUlvE_clEvENKUlvE0_clEvEUlfE_EEvSA_T1_T2_EUlP25hiprandStatePhilox4_32_10E0_ZNS1_27distribution_nullary_kernelIaf15HIP_vector_typeIfLj4EES7_SJ_SE_EEvSA_SG_RKT3_T4_EUlifE_EEvlNS_15PhiloxCudaStateESF_SG_,@function
_ZN2at6native12_GLOBAL__N_143distribution_elementwise_grid_stride_kernelIfLi4EZNS0_9templates4cuda21uniform_and_transformIafPNS_17CUDAGeneratorImplEZZZNS4_16bernoulli_kernelIS7_EEvRNS_18TensorIteratorBaseEdT_ENKUlvE_clEvENKUlvE0_clEvEUlfE_EEvSA_T1_T2_EUlP25hiprandStatePhilox4_32_10E0_ZNS1_27distribution_nullary_kernelIaf15HIP_vector_typeIfLj4EES7_SJ_SE_EEvSA_SG_RKT3_T4_EUlifE_EEvlNS_15PhiloxCudaStateESF_SG_: ; @_ZN2at6native12_GLOBAL__N_143distribution_elementwise_grid_stride_kernelIfLi4EZNS0_9templates4cuda21uniform_and_transformIafPNS_17CUDAGeneratorImplEZZZNS4_16bernoulli_kernelIS7_EEvRNS_18TensorIteratorBaseEdT_ENKUlvE_clEvENKUlvE0_clEvEUlfE_EEvSA_T1_T2_EUlP25hiprandStatePhilox4_32_10E0_ZNS1_27distribution_nullary_kernelIaf15HIP_vector_typeIfLj4EES7_SJ_SE_EEvSA_SG_RKT3_T4_EUlifE_EEvlNS_15PhiloxCudaStateESF_SG_
; %bb.0:
	s_clause 0x2
	s_load_b64 s[8:9], s[0:1], 0x10
	s_load_b128 s[4:7], s[0:1], 0x0
	s_load_b32 s2, s[0:1], 0x20
	s_waitcnt lgkmcnt(0)
	v_dual_mov_b32 v2, s8 :: v_dual_mov_b32 v3, s9
	v_dual_mov_b32 v12, s7 :: v_dual_mov_b32 v11, s6
	s_bitcmp0_b32 s2, 0
	s_mov_b32 s2, 0
	s_cbranch_scc1 .LBB127_2
; %bb.1:
	v_dual_mov_b32 v1, s8 :: v_dual_mov_b32 v2, s9
	v_dual_mov_b32 v4, s6 :: v_dual_mov_b32 v5, s7
	s_load_b64 s[6:7], s[0:1], 0x18
	flat_load_b64 v[2:3], v[1:2]
	flat_load_b64 v[11:12], v[4:5]
	s_waitcnt vmcnt(1) lgkmcnt(0)
	v_add_co_u32 v2, vcc_lo, v2, s6
	v_add_co_ci_u32_e32 v3, vcc_lo, s7, v3, vcc_lo
.LBB127_2:
	s_clause 0x1
	s_load_b32 s3, s[0:1], 0x54
	s_load_b32 s11, s[0:1], 0x48
	s_waitcnt lgkmcnt(0)
	s_and_b32 s10, s3, 0xffff
	s_add_u32 s6, s4, -1
	s_mul_i32 s8, s11, s10
	s_addc_u32 s3, s5, -1
	s_lshl_b32 s9, s8, 2
	s_cmp_lg_u64 s[2:3], 0
	s_cbranch_scc0 .LBB127_27
; %bb.3:
	v_cvt_f32_ubyte0_e32 v1, 0
	v_cvt_f32_u32_e32 v4, s9
	s_sub_u32 s12, 0, s9
	s_subb_u32 s13, 0, 0
	s_delay_alu instid0(VALU_DEP_1) | instskip(NEXT) | instid1(VALU_DEP_1)
	v_fmamk_f32 v1, v1, 0x4f800000, v4
	v_rcp_f32_e32 v1, v1
	s_waitcnt_depctr 0xfff
	v_mul_f32_e32 v1, 0x5f7ffffc, v1
	s_delay_alu instid0(VALU_DEP_1) | instskip(NEXT) | instid1(VALU_DEP_1)
	v_mul_f32_e32 v4, 0x2f800000, v1
	v_trunc_f32_e32 v4, v4
	s_delay_alu instid0(VALU_DEP_1) | instskip(SKIP_1) | instid1(VALU_DEP_2)
	v_fmamk_f32 v1, v4, 0xcf800000, v1
	v_cvt_u32_f32_e32 v4, v4
	v_cvt_u32_f32_e32 v1, v1
	s_delay_alu instid0(VALU_DEP_2) | instskip(NEXT) | instid1(VALU_DEP_2)
	v_readfirstlane_b32 s2, v4
	v_readfirstlane_b32 s7, v1
	s_delay_alu instid0(VALU_DEP_2) | instskip(NEXT) | instid1(VALU_DEP_1)
	s_mul_i32 s14, s12, s2
	s_mul_hi_u32 s17, s12, s7
	s_mul_i32 s16, s13, s7
	s_add_i32 s14, s17, s14
	s_mul_i32 s18, s12, s7
	s_add_i32 s14, s14, s16
	s_mul_hi_u32 s17, s7, s18
	s_mul_hi_u32 s19, s2, s18
	s_mul_i32 s16, s2, s18
	s_mul_hi_u32 s18, s7, s14
	s_mul_i32 s7, s7, s14
	s_mul_hi_u32 s20, s2, s14
	s_add_u32 s7, s17, s7
	s_addc_u32 s17, 0, s18
	s_add_u32 s7, s7, s16
	s_mul_i32 s14, s2, s14
	s_addc_u32 s7, s17, s19
	s_addc_u32 s16, s20, 0
	s_add_u32 s7, s7, s14
	s_addc_u32 s14, 0, s16
	v_add_co_u32 v1, s7, v1, s7
	s_delay_alu instid0(VALU_DEP_1) | instskip(SKIP_1) | instid1(VALU_DEP_1)
	s_cmp_lg_u32 s7, 0
	s_addc_u32 s2, s2, s14
	v_readfirstlane_b32 s7, v1
	s_mul_i32 s14, s12, s2
	s_delay_alu instid0(VALU_DEP_1)
	s_mul_hi_u32 s16, s12, s7
	s_mul_i32 s13, s13, s7
	s_add_i32 s14, s16, s14
	s_mul_i32 s12, s12, s7
	s_add_i32 s14, s14, s13
	s_mul_hi_u32 s16, s2, s12
	s_mul_i32 s17, s2, s12
	s_mul_hi_u32 s12, s7, s12
	s_mul_hi_u32 s18, s7, s14
	s_mul_i32 s7, s7, s14
	s_mul_hi_u32 s13, s2, s14
	s_add_u32 s7, s12, s7
	s_addc_u32 s12, 0, s18
	s_add_u32 s7, s7, s17
	s_mul_i32 s14, s2, s14
	s_addc_u32 s7, s12, s16
	s_addc_u32 s12, s13, 0
	s_add_u32 s7, s7, s14
	s_addc_u32 s12, 0, s12
	v_add_co_u32 v1, s7, v1, s7
	s_delay_alu instid0(VALU_DEP_1) | instskip(SKIP_2) | instid1(VALU_DEP_1)
	s_cmp_lg_u32 s7, 0
	s_addc_u32 s7, s2, s12
	s_ashr_i32 s12, s3, 31
	v_readfirstlane_b32 s14, v1
	s_add_u32 s2, s6, s12
	s_mov_b32 s13, s12
	s_addc_u32 s3, s3, s12
	s_delay_alu instid0(SALU_CYCLE_1) | instskip(NEXT) | instid1(SALU_CYCLE_1)
	s_xor_b64 s[2:3], s[2:3], s[12:13]
	s_mul_i32 s17, s2, s7
	s_mul_hi_u32 s18, s2, s14
	s_mul_hi_u32 s16, s2, s7
	;; [unrolled: 1-line block ×3, first 2 shown]
	s_mul_i32 s14, s3, s14
	s_add_u32 s17, s18, s17
	s_addc_u32 s16, 0, s16
	s_mul_hi_u32 s19, s3, s7
	s_add_u32 s14, s17, s14
	s_mul_i32 s7, s3, s7
	s_addc_u32 s14, s16, s20
	s_addc_u32 s16, s19, 0
	s_add_u32 s7, s14, s7
	s_addc_u32 s14, 0, s16
	s_mul_i32 s17, s9, s7
	s_add_u32 s16, s7, 1
	v_sub_co_u32 v1, s2, s2, s17
	s_mul_hi_u32 s17, s9, s7
	s_addc_u32 s18, s14, 0
	s_mul_i32 s19, s9, s14
	s_delay_alu instid0(VALU_DEP_1)
	v_sub_co_u32 v4, s20, v1, s9
	s_add_u32 s21, s7, 2
	s_addc_u32 s22, s14, 0
	s_add_i32 s17, s17, s19
	s_cmp_lg_u32 s2, 0
	v_readfirstlane_b32 s2, v4
	s_subb_u32 s3, s3, s17
	s_cmp_lg_u32 s20, 0
	s_subb_u32 s17, s3, 0
	s_delay_alu instid0(VALU_DEP_1) | instskip(SKIP_4) | instid1(SALU_CYCLE_1)
	s_cmp_ge_u32 s2, s9
	s_cselect_b32 s2, -1, 0
	s_cmp_eq_u32 s17, 0
	v_readfirstlane_b32 s17, v1
	s_cselect_b32 s2, s2, -1
	s_cmp_lg_u32 s2, 0
	s_cselect_b32 s2, s21, s16
	s_cselect_b32 s16, s22, s18
	s_cmp_ge_u32 s17, s9
	s_cselect_b32 s17, -1, 0
	s_cmp_eq_u32 s3, 0
	s_cselect_b32 s3, s17, -1
	s_delay_alu instid0(SALU_CYCLE_1) | instskip(SKIP_2) | instid1(SALU_CYCLE_1)
	s_cmp_lg_u32 s3, 0
	s_cselect_b32 s3, s16, s14
	s_cselect_b32 s2, s2, s7
	s_xor_b64 s[2:3], s[2:3], s[12:13]
	s_delay_alu instid0(SALU_CYCLE_1)
	s_sub_u32 s2, s2, s12
	s_subb_u32 s3, s3, s12
	s_cbranch_execnz .LBB127_5
.LBB127_4:
	v_cvt_f32_u32_e32 v1, s9
	s_sub_i32 s3, 0, s9
	s_delay_alu instid0(VALU_DEP_1) | instskip(SKIP_2) | instid1(VALU_DEP_1)
	v_rcp_iflag_f32_e32 v1, v1
	s_waitcnt_depctr 0xfff
	v_mul_f32_e32 v1, 0x4f7ffffe, v1
	v_cvt_u32_f32_e32 v1, v1
	s_delay_alu instid0(VALU_DEP_1) | instskip(NEXT) | instid1(VALU_DEP_1)
	v_readfirstlane_b32 s2, v1
	s_mul_i32 s3, s3, s2
	s_delay_alu instid0(SALU_CYCLE_1) | instskip(NEXT) | instid1(SALU_CYCLE_1)
	s_mul_hi_u32 s3, s2, s3
	s_add_i32 s2, s2, s3
	s_delay_alu instid0(SALU_CYCLE_1) | instskip(NEXT) | instid1(SALU_CYCLE_1)
	s_mul_hi_u32 s2, s6, s2
	s_mul_i32 s3, s2, s9
	s_delay_alu instid0(SALU_CYCLE_1)
	s_sub_i32 s3, s6, s3
	s_add_i32 s6, s2, 1
	s_sub_i32 s7, s3, s9
	s_cmp_ge_u32 s3, s9
	s_cselect_b32 s2, s6, s2
	s_cselect_b32 s3, s7, s3
	s_add_i32 s6, s2, 1
	s_cmp_ge_u32 s3, s9
	s_mov_b32 s3, 0
	s_cselect_b32 s2, s6, s2
.LBB127_5:
	v_mov_b32_e32 v1, 0
	s_add_u32 s2, s2, 1
	s_addc_u32 s3, s3, 0
	s_mul_hi_u32 s6, s8, s2
	s_mul_i32 s3, s8, s3
	v_mad_u64_u32 v[13:14], null, s10, s15, v[0:1]
	s_mul_hi_u32 s7, s11, s10
	s_add_i32 s3, s6, s3
	s_mul_i32 s7, s7, s2
	s_mul_i32 s2, s8, s2
	s_add_i32 s3, s3, s7
	s_mov_b32 s6, exec_lo
	s_lshl_b64 s[2:3], s[2:3], 2
	s_delay_alu instid0(SALU_CYCLE_1)
	v_cmpx_gt_i64_e64 s[2:3], v[13:14]
	s_cbranch_execz .LBB127_26
; %bb.6:
	v_alignbit_b32 v17, v3, v2, 2
	v_mad_u64_u32 v[6:7], null, 0xcd9e8d57, v13, 0
	v_lshrrev_b32_e32 v18, 2, v3
	s_waitcnt vmcnt(0)
	v_dual_mov_b32 v15, v12 :: v_dual_add_nc_u32 v28, 0x8ff34781, v11
	v_mad_u64_u32 v[4:5], null, 0xd2511f53, v17, 0
	v_add_co_u32 v20, null, 0x9e3779b9, v11
	v_xor3_b32 v3, v11, v7, v18
	s_delay_alu instid0(VALU_DEP_4) | instskip(SKIP_2) | instid1(VALU_DEP_4)
	v_add_co_u32 v19, null, 0xbb67ae85, v15
	v_add_co_u32 v21, null, 0x3c6ef372, v11
	v_xor_b32_e32 v1, v5, v12
	v_mad_u64_u32 v[7:8], null, 0xd2511f53, v3, 0
	v_add_co_u32 v22, null, 0x76cf5d0a, v15
	s_delay_alu instid0(VALU_DEP_3) | instskip(SKIP_2) | instid1(VALU_DEP_3)
	v_xor_b32_e32 v1, v1, v14
	v_add_co_u32 v23, null, 0x32370b8f, v15
	v_add_co_u32 v24, null, 0xdaa66d2b, v11
	v_mad_u64_u32 v[9:10], null, 0xcd9e8d57, v1, 0
	v_xor3_b32 v1, v19, v8, v4
	v_add_co_u32 v25, null, 0x78dde6e4, v11
	v_add_co_u32 v26, null, 0xed9eba14, v15
	s_delay_alu instid0(VALU_DEP_3) | instskip(SKIP_3) | instid1(VALU_DEP_3)
	v_mad_u64_u32 v[3:4], null, 0xcd9e8d57, v1, 0
	v_xor3_b32 v8, v20, v10, v6
	v_dual_mov_b32 v38, v13 :: v_dual_and_b32 v27, 3, v2
	v_add_co_u32 v29, null, 0xa9066899, v15
	v_mad_u64_u32 v[5:6], null, 0xd2511f53, v8, 0
	v_xor3_b32 v1, v21, v4, v9
	v_add_co_u32 v30, null, 0x1715609d, v11
	s_clause 0x2
	s_load_b64 s[6:7], s[0:1], 0x30
	s_load_b32 s14, s[0:1], 0x38
	s_load_b64 s[12:13], s[0:1], 0x40
	v_add_co_u32 v33, null, 0xb54cda56, v11
	v_xor3_b32 v4, v22, v6, v7
	v_mad_u64_u32 v[6:7], null, 0xd2511f53, v1, 0
	v_add_co_u32 v35, null, 0x646e171e, v15
	s_delay_alu instid0(VALU_DEP_3) | instskip(SKIP_1) | instid1(VALU_DEP_4)
	v_mad_u64_u32 v[8:9], null, 0xcd9e8d57, v4, 0
	v_add_co_u32 v36, null, 0x1fd5c5a3, v15
	v_xor3_b32 v1, v23, v7, v5
	v_add_co_u32 v32, null, 0x5384540f, v11
	v_add_co_u32 v34, null, 0xf1bbcdc8, v11
	v_xor3_b32 v5, v24, v9, v3
	s_delay_alu instid0(VALU_DEP_4)
	v_mad_u64_u32 v[3:4], null, 0xcd9e8d57, v1, 0
	s_waitcnt lgkmcnt(0)
	v_cvt_f32_f64_e32 v37, s[12:13]
	s_mul_i32 s16, s11, 3
	v_mad_u64_u32 v[9:10], null, 0xd2511f53, v5, 0
	s_add_i32 s18, s15, s11
	s_add_i32 s12, s15, s16
	s_delay_alu instid0(VALU_DEP_3) | instskip(SKIP_2) | instid1(VALU_DEP_3)
	v_xor3_b32 v4, v25, v4, v8
	v_add_co_u32 v39, null, 0xdb3d7428, v15
	s_lshl_b32 s17, s11, 1
	v_xor3_b32 v6, v26, v10, v6
	s_delay_alu instid0(VALU_DEP_3) | instskip(SKIP_1) | instid1(VALU_DEP_3)
	v_mad_u64_u32 v[1:2], null, 0xd2511f53, v4, 0
	v_dual_mov_b32 v44, v14 :: v_dual_add_nc_u32 v31, 0x96a522ad, v12
	v_mad_u64_u32 v[4:5], null, 0xcd9e8d57, v6, 0
	s_mul_i32 s11, s11, s14
	s_mov_b32 s0, 0
	s_delay_alu instid0(VALU_DEP_3) | instskip(SKIP_3) | instid1(VALU_DEP_2)
	v_xor3_b32 v6, v29, v2, v9
	s_mul_i32 s11, s11, s10
	s_lshl_b32 s1, s8, 1
	s_lshl_b32 s11, s11, 2
	v_xor3_b32 v7, v30, v5, v3
	v_mad_u64_u32 v[2:3], null, 0xcd9e8d57, v6, 0
	s_delay_alu instid0(VALU_DEP_2) | instskip(NEXT) | instid1(VALU_DEP_2)
	v_mad_u64_u32 v[5:6], null, 0xd2511f53, v7, 0
	v_xor3_b32 v8, v33, v3, v4
	v_mad_u64_u32 v[3:4], null, s15, s10, v[0:1]
	s_add_i32 s15, s15, s17
	s_delay_alu instid0(VALU_DEP_3) | instskip(NEXT) | instid1(VALU_DEP_3)
	v_xor3_b32 v1, v35, v6, v1
	v_mad_u64_u32 v[6:7], null, 0xd2511f53, v8, 0
	s_delay_alu instid0(VALU_DEP_2) | instskip(NEXT) | instid1(VALU_DEP_4)
	v_mad_u64_u32 v[8:9], null, 0xcd9e8d57, v1, 0
	v_mul_lo_u32 v40, s14, v3
	s_delay_alu instid0(VALU_DEP_3) | instskip(NEXT) | instid1(VALU_DEP_3)
	v_xor3_b32 v1, v36, v7, v5
	v_xor3_b32 v2, v32, v9, v2
	s_delay_alu instid0(VALU_DEP_2) | instskip(SKIP_1) | instid1(VALU_DEP_3)
	v_mad_u64_u32 v[4:5], null, 0xcd9e8d57, v1, 0
	v_mad_u64_u32 v[15:16], null, s18, s10, v[0:1]
	;; [unrolled: 1-line block ×4, first 2 shown]
	s_delay_alu instid0(VALU_DEP_4) | instskip(SKIP_1) | instid1(VALU_DEP_4)
	v_xor3_b32 v1, v34, v5, v8
	s_mov_b32 s12, 0
	v_mul_lo_u32 v43, s14, v15
	s_delay_alu instid0(VALU_DEP_4) | instskip(NEXT) | instid1(VALU_DEP_3)
	v_xor3_b32 v8, v39, v10, v6
	v_mad_u64_u32 v[5:6], null, s15, s10, v[0:1]
	v_mad_u64_u32 v[6:7], null, 0xd2511f53, v1, 0
	s_delay_alu instid0(VALU_DEP_3) | instskip(SKIP_2) | instid1(VALU_DEP_4)
	v_mad_u64_u32 v[1:2], null, 0xcd9e8d57, v8, 0
	v_mul_lo_u32 v41, s14, v41
	s_mul_i32 s10, s8, 3
	v_mul_lo_u32 v42, s14, v5
	s_delay_alu instid0(VALU_DEP_4) | instskip(NEXT) | instid1(VALU_DEP_4)
	v_mov_b32_e32 v3, v6
	v_xor3_b32 v0, v2, v4, v28
	v_xor3_b32 v2, v7, v9, v31
	s_branch .LBB127_8
.LBB127_7:                              ;   in Loop: Header=BB127_8 Depth=1
	s_or_b32 exec_lo, exec_lo, s13
	v_add_co_u32 v13, vcc_lo, v13, s9
	v_add_co_ci_u32_e32 v14, vcc_lo, 0, v14, vcc_lo
	v_mov_b32_e32 v7, v15
	v_dual_mov_b32 v0, v4 :: v_dual_mov_b32 v1, v5
	s_delay_alu instid0(VALU_DEP_3) | instskip(NEXT) | instid1(VALU_DEP_3)
	v_cmp_le_i64_e32 vcc_lo, s[2:3], v[13:14]
	v_dual_mov_b32 v2, v6 :: v_dual_mov_b32 v3, v7
	s_add_i32 s12, s12, s11
	s_waitcnt_vscnt null, 0x0
	s_barrier
	s_or_b32 s0, vcc_lo, s0
	buffer_gl0_inv
	s_and_not1_b32 exec_lo, exec_lo, s0
	s_cbranch_execz .LBB127_26
.LBB127_8:                              ; =>This Inner Loop Header: Depth=1
	v_add_co_u32 v17, vcc_lo, v17, 1
	s_delay_alu instid0(VALU_DEP_1) | instskip(SKIP_2) | instid1(VALU_DEP_1)
	v_cndmask_b32_e64 v4, 0, 1, vcc_lo
	v_add_co_ci_u32_e32 v18, vcc_lo, 0, v18, vcc_lo
	s_mov_b32 s13, exec_lo
	v_cmp_eq_u32_e32 vcc_lo, 0, v18
	s_delay_alu instid0(VALU_DEP_3) | instskip(NEXT) | instid1(VALU_DEP_1)
	v_cndmask_b32_e32 v4, 0, v4, vcc_lo
	v_add_nc_u32_e32 v38, v4, v38
	s_delay_alu instid0(VALU_DEP_1) | instskip(SKIP_2) | instid1(VALU_DEP_2)
	v_cmp_eq_u32_e32 vcc_lo, 0, v38
	v_mad_u64_u32 v[6:7], null, 0xcd9e8d57, v38, 0
	v_cndmask_b32_e32 v4, 0, v4, vcc_lo
	v_xor3_b32 v9, v7, v11, v18
	s_delay_alu instid0(VALU_DEP_2) | instskip(SKIP_1) | instid1(VALU_DEP_3)
	v_add_nc_u32_e32 v44, v4, v44
	v_mad_u64_u32 v[4:5], null, 0xd2511f53, v17, 0
	v_mad_u64_u32 v[7:8], null, 0xd2511f53, v9, 0
	s_delay_alu instid0(VALU_DEP_2) | instskip(NEXT) | instid1(VALU_DEP_2)
	v_xor_b32_e32 v5, v5, v12
	v_xor3_b32 v8, v19, v8, v4
	s_delay_alu instid0(VALU_DEP_2) | instskip(NEXT) | instid1(VALU_DEP_1)
	v_xor_b32_e32 v5, v44, v5
	v_mad_u64_u32 v[9:10], null, 0xcd9e8d57, v5, 0
	s_delay_alu instid0(VALU_DEP_3) | instskip(NEXT) | instid1(VALU_DEP_2)
	v_mad_u64_u32 v[4:5], null, 0xcd9e8d57, v8, 0
	v_xor3_b32 v6, v20, v10, v6
	s_delay_alu instid0(VALU_DEP_2) | instskip(NEXT) | instid1(VALU_DEP_2)
	v_xor3_b32 v8, v21, v5, v9
	v_mad_u64_u32 v[15:16], null, 0xd2511f53, v6, 0
	s_delay_alu instid0(VALU_DEP_2) | instskip(NEXT) | instid1(VALU_DEP_2)
	v_mad_u64_u32 v[5:6], null, 0xd2511f53, v8, 0
	v_xor3_b32 v9, v22, v16, v7
	s_delay_alu instid0(VALU_DEP_2) | instskip(NEXT) | instid1(VALU_DEP_2)
	v_xor3_b32 v6, v23, v6, v15
	v_mad_u64_u32 v[7:8], null, 0xcd9e8d57, v9, 0
	s_delay_alu instid0(VALU_DEP_1) | instskip(NEXT) | instid1(VALU_DEP_3)
	v_xor3_b32 v4, v24, v8, v4
	v_mad_u64_u32 v[8:9], null, 0xcd9e8d57, v6, 0
	s_delay_alu instid0(VALU_DEP_2) | instskip(NEXT) | instid1(VALU_DEP_2)
	v_mad_u64_u32 v[15:16], null, 0xd2511f53, v4, 0
	v_xor3_b32 v6, v25, v9, v7
	s_delay_alu instid0(VALU_DEP_2) | instskip(NEXT) | instid1(VALU_DEP_2)
	v_xor3_b32 v9, v26, v16, v5
	v_mad_u64_u32 v[4:5], null, 0xd2511f53, v6, 0
	s_delay_alu instid0(VALU_DEP_2) | instskip(NEXT) | instid1(VALU_DEP_2)
	v_mad_u64_u32 v[6:7], null, 0xcd9e8d57, v9, 0
	v_xor3_b32 v5, v29, v5, v15
	s_delay_alu instid0(VALU_DEP_2) | instskip(NEXT) | instid1(VALU_DEP_2)
	;; [unrolled: 6-line block ×6, first 2 shown]
	v_xor3_b32 v4, v6, v7, v28
	v_mov_b32_e32 v6, v10
	v_cmpx_lt_i32_e32 1, v27
	s_xor_b32 s13, exec_lo, s13
	s_cbranch_execnz .LBB127_18
; %bb.9:                                ;   in Loop: Header=BB127_8 Depth=1
	s_and_not1_saveexec_b32 s13, s13
	s_cbranch_execnz .LBB127_23
.LBB127_10:                             ;   in Loop: Header=BB127_8 Depth=1
	s_or_b32 exec_lo, exec_lo, s13
	s_delay_alu instid0(SALU_CYCLE_1)
	s_mov_b32 s13, exec_lo
	v_cmpx_gt_i64_e64 s[4:5], v[13:14]
	s_cbranch_execz .LBB127_12
.LBB127_11:                             ;   in Loop: Header=BB127_8 Depth=1
	v_add_nc_u32_e32 v7, s12, v40
	v_cvt_f32_u32_e32 v0, v0
	s_delay_alu instid0(VALU_DEP_2) | instskip(NEXT) | instid1(VALU_DEP_2)
	v_ashrrev_i32_e32 v8, 31, v7
	v_fmaak_f32 v0, 0x2f800000, v0, 0x2f800000
	v_add_co_u32 v7, vcc_lo, s6, v7
	s_delay_alu instid0(VALU_DEP_3) | instskip(NEXT) | instid1(VALU_DEP_3)
	v_add_co_ci_u32_e32 v8, vcc_lo, s7, v8, vcc_lo
	v_cmp_lt_f32_e32 vcc_lo, v0, v37
	v_cndmask_b32_e64 v0, 0, 1, vcc_lo
	global_store_b8 v[7:8], v0, off
.LBB127_12:                             ;   in Loop: Header=BB127_8 Depth=1
	s_or_b32 exec_lo, exec_lo, s13
	v_add_co_u32 v7, vcc_lo, s8, v13
	v_add_co_ci_u32_e32 v8, vcc_lo, 0, v14, vcc_lo
	s_mov_b32 s13, exec_lo
	s_delay_alu instid0(VALU_DEP_1)
	v_cmpx_gt_i64_e64 s[4:5], v[7:8]
	s_cbranch_execz .LBB127_14
; %bb.13:                               ;   in Loop: Header=BB127_8 Depth=1
	v_add_nc_u32_e32 v0, s12, v43
	v_cvt_f32_u32_e32 v1, v1
	s_delay_alu instid0(VALU_DEP_2) | instskip(NEXT) | instid1(VALU_DEP_2)
	v_ashrrev_i32_e32 v7, 31, v0
	v_fmaak_f32 v8, 0x2f800000, v1, 0x2f800000
	v_add_co_u32 v0, vcc_lo, s6, v0
	s_delay_alu instid0(VALU_DEP_3) | instskip(NEXT) | instid1(VALU_DEP_3)
	v_add_co_ci_u32_e32 v1, vcc_lo, s7, v7, vcc_lo
	v_cmp_lt_f32_e32 vcc_lo, v8, v37
	v_cndmask_b32_e64 v7, 0, 1, vcc_lo
	global_store_b8 v[0:1], v7, off
.LBB127_14:                             ;   in Loop: Header=BB127_8 Depth=1
	s_or_b32 exec_lo, exec_lo, s13
	v_add_co_u32 v0, vcc_lo, s1, v13
	v_add_co_ci_u32_e32 v1, vcc_lo, 0, v14, vcc_lo
	s_mov_b32 s13, exec_lo
	s_delay_alu instid0(VALU_DEP_1)
	v_cmpx_gt_i64_e64 s[4:5], v[0:1]
	s_cbranch_execz .LBB127_16
; %bb.15:                               ;   in Loop: Header=BB127_8 Depth=1
	v_cvt_f32_u32_e32 v1, v2
	s_delay_alu instid0(VALU_DEP_1) | instskip(NEXT) | instid1(VALU_DEP_1)
	v_dual_fmaak_f32 v7, 0x2f800000, v1, 0x2f800000 :: v_dual_add_nc_u32 v0, s12, v42
	v_ashrrev_i32_e32 v2, 31, v0
	v_add_co_u32 v0, vcc_lo, s6, v0
	s_delay_alu instid0(VALU_DEP_2) | instskip(NEXT) | instid1(VALU_DEP_4)
	v_add_co_ci_u32_e32 v1, vcc_lo, s7, v2, vcc_lo
	v_cmp_lt_f32_e32 vcc_lo, v7, v37
	v_cndmask_b32_e64 v2, 0, 1, vcc_lo
	global_store_b8 v[0:1], v2, off
.LBB127_16:                             ;   in Loop: Header=BB127_8 Depth=1
	s_or_b32 exec_lo, exec_lo, s13
	v_add_co_u32 v0, vcc_lo, s10, v13
	v_add_co_ci_u32_e32 v1, vcc_lo, 0, v14, vcc_lo
	s_mov_b32 s13, exec_lo
	s_delay_alu instid0(VALU_DEP_1)
	v_cmpx_gt_i64_e64 s[4:5], v[0:1]
	s_cbranch_execz .LBB127_7
; %bb.17:                               ;   in Loop: Header=BB127_8 Depth=1
	v_add_nc_u32_e32 v0, s12, v41
	v_cvt_f32_u32_e32 v1, v3
	s_delay_alu instid0(VALU_DEP_2) | instskip(NEXT) | instid1(VALU_DEP_2)
	v_ashrrev_i32_e32 v2, 31, v0
	v_fmaak_f32 v3, 0x2f800000, v1, 0x2f800000
	v_add_co_u32 v0, vcc_lo, s6, v0
	s_delay_alu instid0(VALU_DEP_3) | instskip(NEXT) | instid1(VALU_DEP_3)
	v_add_co_ci_u32_e32 v1, vcc_lo, s7, v2, vcc_lo
	v_cmp_lt_f32_e32 vcc_lo, v3, v37
	v_cndmask_b32_e64 v2, 0, 1, vcc_lo
	global_store_b8 v[0:1], v2, off
	s_branch .LBB127_7
.LBB127_18:                             ;   in Loop: Header=BB127_8 Depth=1
	s_mov_b32 s14, exec_lo
	v_cmpx_lt_i32_e32 2, v27
	s_xor_b32 s14, exec_lo, s14
; %bb.19:                               ;   in Loop: Header=BB127_8 Depth=1
	v_dual_mov_b32 v7, v3 :: v_dual_mov_b32 v8, v4
	v_mov_b32_e32 v9, v5
	s_delay_alu instid0(VALU_DEP_2) | instskip(NEXT) | instid1(VALU_DEP_2)
	v_dual_mov_b32 v0, v7 :: v_dual_mov_b32 v1, v8
	v_dual_mov_b32 v2, v9 :: v_dual_mov_b32 v3, v10
; %bb.20:                               ;   in Loop: Header=BB127_8 Depth=1
	s_and_not1_saveexec_b32 s14, s14
; %bb.21:                               ;   in Loop: Header=BB127_8 Depth=1
	s_delay_alu instid0(VALU_DEP_1)
	v_dual_mov_b32 v0, v2 :: v_dual_mov_b32 v1, v3
	v_dual_mov_b32 v2, v4 :: v_dual_mov_b32 v3, v5
; %bb.22:                               ;   in Loop: Header=BB127_8 Depth=1
	s_or_b32 exec_lo, exec_lo, s14
	s_and_not1_saveexec_b32 s13, s13
	s_cbranch_execz .LBB127_10
.LBB127_23:                             ;   in Loop: Header=BB127_8 Depth=1
	s_mov_b32 s14, exec_lo
	v_cmpx_eq_u32_e32 1, v27
; %bb.24:                               ;   in Loop: Header=BB127_8 Depth=1
	v_dual_mov_b32 v0, v1 :: v_dual_mov_b32 v1, v2
	v_dual_mov_b32 v2, v3 :: v_dual_mov_b32 v3, v4
; %bb.25:                               ;   in Loop: Header=BB127_8 Depth=1
	s_or_b32 exec_lo, exec_lo, s14
	s_delay_alu instid0(SALU_CYCLE_1) | instskip(NEXT) | instid1(SALU_CYCLE_1)
	s_or_b32 exec_lo, exec_lo, s13
	s_mov_b32 s13, exec_lo
	v_cmpx_gt_i64_e64 s[4:5], v[13:14]
	s_cbranch_execnz .LBB127_11
	s_branch .LBB127_12
.LBB127_26:
	s_endpgm
.LBB127_27:
                                        ; implicit-def: $sgpr2_sgpr3
	s_branch .LBB127_4
	.section	.rodata,"a",@progbits
	.p2align	6, 0x0
	.amdhsa_kernel _ZN2at6native12_GLOBAL__N_143distribution_elementwise_grid_stride_kernelIfLi4EZNS0_9templates4cuda21uniform_and_transformIafPNS_17CUDAGeneratorImplEZZZNS4_16bernoulli_kernelIS7_EEvRNS_18TensorIteratorBaseEdT_ENKUlvE_clEvENKUlvE0_clEvEUlfE_EEvSA_T1_T2_EUlP25hiprandStatePhilox4_32_10E0_ZNS1_27distribution_nullary_kernelIaf15HIP_vector_typeIfLj4EES7_SJ_SE_EEvSA_SG_RKT3_T4_EUlifE_EEvlNS_15PhiloxCudaStateESF_SG_
		.amdhsa_group_segment_fixed_size 0
		.amdhsa_private_segment_fixed_size 0
		.amdhsa_kernarg_size 328
		.amdhsa_user_sgpr_count 15
		.amdhsa_user_sgpr_dispatch_ptr 0
		.amdhsa_user_sgpr_queue_ptr 0
		.amdhsa_user_sgpr_kernarg_segment_ptr 1
		.amdhsa_user_sgpr_dispatch_id 0
		.amdhsa_user_sgpr_private_segment_size 0
		.amdhsa_wavefront_size32 1
		.amdhsa_uses_dynamic_stack 0
		.amdhsa_enable_private_segment 0
		.amdhsa_system_sgpr_workgroup_id_x 1
		.amdhsa_system_sgpr_workgroup_id_y 0
		.amdhsa_system_sgpr_workgroup_id_z 0
		.amdhsa_system_sgpr_workgroup_info 0
		.amdhsa_system_vgpr_workitem_id 0
		.amdhsa_next_free_vgpr 45
		.amdhsa_next_free_sgpr 23
		.amdhsa_reserve_vcc 1
		.amdhsa_float_round_mode_32 0
		.amdhsa_float_round_mode_16_64 0
		.amdhsa_float_denorm_mode_32 3
		.amdhsa_float_denorm_mode_16_64 3
		.amdhsa_dx10_clamp 1
		.amdhsa_ieee_mode 1
		.amdhsa_fp16_overflow 0
		.amdhsa_workgroup_processor_mode 1
		.amdhsa_memory_ordered 1
		.amdhsa_forward_progress 0
		.amdhsa_shared_vgpr_count 0
		.amdhsa_exception_fp_ieee_invalid_op 0
		.amdhsa_exception_fp_denorm_src 0
		.amdhsa_exception_fp_ieee_div_zero 0
		.amdhsa_exception_fp_ieee_overflow 0
		.amdhsa_exception_fp_ieee_underflow 0
		.amdhsa_exception_fp_ieee_inexact 0
		.amdhsa_exception_int_div_zero 0
	.end_amdhsa_kernel
	.section	.text._ZN2at6native12_GLOBAL__N_143distribution_elementwise_grid_stride_kernelIfLi4EZNS0_9templates4cuda21uniform_and_transformIafPNS_17CUDAGeneratorImplEZZZNS4_16bernoulli_kernelIS7_EEvRNS_18TensorIteratorBaseEdT_ENKUlvE_clEvENKUlvE0_clEvEUlfE_EEvSA_T1_T2_EUlP25hiprandStatePhilox4_32_10E0_ZNS1_27distribution_nullary_kernelIaf15HIP_vector_typeIfLj4EES7_SJ_SE_EEvSA_SG_RKT3_T4_EUlifE_EEvlNS_15PhiloxCudaStateESF_SG_,"axG",@progbits,_ZN2at6native12_GLOBAL__N_143distribution_elementwise_grid_stride_kernelIfLi4EZNS0_9templates4cuda21uniform_and_transformIafPNS_17CUDAGeneratorImplEZZZNS4_16bernoulli_kernelIS7_EEvRNS_18TensorIteratorBaseEdT_ENKUlvE_clEvENKUlvE0_clEvEUlfE_EEvSA_T1_T2_EUlP25hiprandStatePhilox4_32_10E0_ZNS1_27distribution_nullary_kernelIaf15HIP_vector_typeIfLj4EES7_SJ_SE_EEvSA_SG_RKT3_T4_EUlifE_EEvlNS_15PhiloxCudaStateESF_SG_,comdat
.Lfunc_end127:
	.size	_ZN2at6native12_GLOBAL__N_143distribution_elementwise_grid_stride_kernelIfLi4EZNS0_9templates4cuda21uniform_and_transformIafPNS_17CUDAGeneratorImplEZZZNS4_16bernoulli_kernelIS7_EEvRNS_18TensorIteratorBaseEdT_ENKUlvE_clEvENKUlvE0_clEvEUlfE_EEvSA_T1_T2_EUlP25hiprandStatePhilox4_32_10E0_ZNS1_27distribution_nullary_kernelIaf15HIP_vector_typeIfLj4EES7_SJ_SE_EEvSA_SG_RKT3_T4_EUlifE_EEvlNS_15PhiloxCudaStateESF_SG_, .Lfunc_end127-_ZN2at6native12_GLOBAL__N_143distribution_elementwise_grid_stride_kernelIfLi4EZNS0_9templates4cuda21uniform_and_transformIafPNS_17CUDAGeneratorImplEZZZNS4_16bernoulli_kernelIS7_EEvRNS_18TensorIteratorBaseEdT_ENKUlvE_clEvENKUlvE0_clEvEUlfE_EEvSA_T1_T2_EUlP25hiprandStatePhilox4_32_10E0_ZNS1_27distribution_nullary_kernelIaf15HIP_vector_typeIfLj4EES7_SJ_SE_EEvSA_SG_RKT3_T4_EUlifE_EEvlNS_15PhiloxCudaStateESF_SG_
                                        ; -- End function
	.section	.AMDGPU.csdata,"",@progbits
; Kernel info:
; codeLenInByte = 2928
; NumSgprs: 25
; NumVgprs: 45
; ScratchSize: 0
; MemoryBound: 0
; FloatMode: 240
; IeeeMode: 1
; LDSByteSize: 0 bytes/workgroup (compile time only)
; SGPRBlocks: 3
; VGPRBlocks: 5
; NumSGPRsForWavesPerEU: 25
; NumVGPRsForWavesPerEU: 45
; Occupancy: 16
; WaveLimiterHint : 0
; COMPUTE_PGM_RSRC2:SCRATCH_EN: 0
; COMPUTE_PGM_RSRC2:USER_SGPR: 15
; COMPUTE_PGM_RSRC2:TRAP_HANDLER: 0
; COMPUTE_PGM_RSRC2:TGID_X_EN: 1
; COMPUTE_PGM_RSRC2:TGID_Y_EN: 0
; COMPUTE_PGM_RSRC2:TGID_Z_EN: 0
; COMPUTE_PGM_RSRC2:TIDIG_COMP_CNT: 0
	.section	.text._ZN2at6native12_GLOBAL__N_143distribution_elementwise_grid_stride_kernelIfLi4EZNS0_9templates4cuda21uniform_and_transformIafPNS_17CUDAGeneratorImplEZZZNS4_16bernoulli_kernelIS7_EEvRNS_18TensorIteratorBaseEdT_ENKUlvE_clEvENKUlvE0_clEvEUlfE_EEvSA_T1_T2_EUlP25hiprandStatePhilox4_32_10E0_ZNS1_27distribution_nullary_kernelIaf15HIP_vector_typeIfLj4EES7_SJ_SE_EEvSA_SG_RKT3_T4_EUlifE0_EEvlNS_15PhiloxCudaStateESF_SG_,"axG",@progbits,_ZN2at6native12_GLOBAL__N_143distribution_elementwise_grid_stride_kernelIfLi4EZNS0_9templates4cuda21uniform_and_transformIafPNS_17CUDAGeneratorImplEZZZNS4_16bernoulli_kernelIS7_EEvRNS_18TensorIteratorBaseEdT_ENKUlvE_clEvENKUlvE0_clEvEUlfE_EEvSA_T1_T2_EUlP25hiprandStatePhilox4_32_10E0_ZNS1_27distribution_nullary_kernelIaf15HIP_vector_typeIfLj4EES7_SJ_SE_EEvSA_SG_RKT3_T4_EUlifE0_EEvlNS_15PhiloxCudaStateESF_SG_,comdat
	.globl	_ZN2at6native12_GLOBAL__N_143distribution_elementwise_grid_stride_kernelIfLi4EZNS0_9templates4cuda21uniform_and_transformIafPNS_17CUDAGeneratorImplEZZZNS4_16bernoulli_kernelIS7_EEvRNS_18TensorIteratorBaseEdT_ENKUlvE_clEvENKUlvE0_clEvEUlfE_EEvSA_T1_T2_EUlP25hiprandStatePhilox4_32_10E0_ZNS1_27distribution_nullary_kernelIaf15HIP_vector_typeIfLj4EES7_SJ_SE_EEvSA_SG_RKT3_T4_EUlifE0_EEvlNS_15PhiloxCudaStateESF_SG_ ; -- Begin function _ZN2at6native12_GLOBAL__N_143distribution_elementwise_grid_stride_kernelIfLi4EZNS0_9templates4cuda21uniform_and_transformIafPNS_17CUDAGeneratorImplEZZZNS4_16bernoulli_kernelIS7_EEvRNS_18TensorIteratorBaseEdT_ENKUlvE_clEvENKUlvE0_clEvEUlfE_EEvSA_T1_T2_EUlP25hiprandStatePhilox4_32_10E0_ZNS1_27distribution_nullary_kernelIaf15HIP_vector_typeIfLj4EES7_SJ_SE_EEvSA_SG_RKT3_T4_EUlifE0_EEvlNS_15PhiloxCudaStateESF_SG_
	.p2align	8
	.type	_ZN2at6native12_GLOBAL__N_143distribution_elementwise_grid_stride_kernelIfLi4EZNS0_9templates4cuda21uniform_and_transformIafPNS_17CUDAGeneratorImplEZZZNS4_16bernoulli_kernelIS7_EEvRNS_18TensorIteratorBaseEdT_ENKUlvE_clEvENKUlvE0_clEvEUlfE_EEvSA_T1_T2_EUlP25hiprandStatePhilox4_32_10E0_ZNS1_27distribution_nullary_kernelIaf15HIP_vector_typeIfLj4EES7_SJ_SE_EEvSA_SG_RKT3_T4_EUlifE0_EEvlNS_15PhiloxCudaStateESF_SG_,@function
_ZN2at6native12_GLOBAL__N_143distribution_elementwise_grid_stride_kernelIfLi4EZNS0_9templates4cuda21uniform_and_transformIafPNS_17CUDAGeneratorImplEZZZNS4_16bernoulli_kernelIS7_EEvRNS_18TensorIteratorBaseEdT_ENKUlvE_clEvENKUlvE0_clEvEUlfE_EEvSA_T1_T2_EUlP25hiprandStatePhilox4_32_10E0_ZNS1_27distribution_nullary_kernelIaf15HIP_vector_typeIfLj4EES7_SJ_SE_EEvSA_SG_RKT3_T4_EUlifE0_EEvlNS_15PhiloxCudaStateESF_SG_: ; @_ZN2at6native12_GLOBAL__N_143distribution_elementwise_grid_stride_kernelIfLi4EZNS0_9templates4cuda21uniform_and_transformIafPNS_17CUDAGeneratorImplEZZZNS4_16bernoulli_kernelIS7_EEvRNS_18TensorIteratorBaseEdT_ENKUlvE_clEvENKUlvE0_clEvEUlfE_EEvSA_T1_T2_EUlP25hiprandStatePhilox4_32_10E0_ZNS1_27distribution_nullary_kernelIaf15HIP_vector_typeIfLj4EES7_SJ_SE_EEvSA_SG_RKT3_T4_EUlifE0_EEvlNS_15PhiloxCudaStateESF_SG_
; %bb.0:
	s_clause 0x2
	s_load_b64 s[4:5], s[0:1], 0x10
	s_load_b128 s[16:19], s[0:1], 0x0
	s_load_b32 s2, s[0:1], 0x20
	s_waitcnt lgkmcnt(0)
	v_dual_mov_b32 v2, s4 :: v_dual_mov_b32 v3, s5
	v_dual_mov_b32 v11, s18 :: v_dual_mov_b32 v12, s19
	s_bitcmp0_b32 s2, 0
	s_mov_b32 s2, 0
	s_cbranch_scc1 .LBB128_2
; %bb.1:
	v_dual_mov_b32 v1, s4 :: v_dual_mov_b32 v2, s5
	v_dual_mov_b32 v4, s18 :: v_dual_mov_b32 v5, s19
	s_load_b64 s[4:5], s[0:1], 0x18
	flat_load_b64 v[2:3], v[1:2]
	flat_load_b64 v[11:12], v[4:5]
	s_waitcnt vmcnt(1) lgkmcnt(0)
	v_add_co_u32 v2, vcc_lo, v2, s4
	v_add_co_ci_u32_e32 v3, vcc_lo, s5, v3, vcc_lo
.LBB128_2:
	s_clause 0x1
	s_load_b32 s3, s[0:1], 0x154
	s_load_b32 s4, s[0:1], 0x148
	s_waitcnt lgkmcnt(0)
	s_and_b32 s5, s3, 0xffff
	s_add_u32 s6, s16, -1
	s_mul_i32 s24, s4, s5
	s_addc_u32 s3, s17, -1
	s_lshl_b32 s25, s24, 2
	s_cmp_lg_u64 s[2:3], 0
	s_cbranch_scc0 .LBB128_79
; %bb.3:
	v_cvt_f32_ubyte0_e32 v1, 0
	v_cvt_f32_u32_e32 v4, s25
	s_sub_u32 s8, 0, s25
	s_subb_u32 s9, 0, 0
	s_delay_alu instid0(VALU_DEP_1) | instskip(NEXT) | instid1(VALU_DEP_1)
	v_fmamk_f32 v1, v1, 0x4f800000, v4
	v_rcp_f32_e32 v1, v1
	s_waitcnt_depctr 0xfff
	v_mul_f32_e32 v1, 0x5f7ffffc, v1
	s_delay_alu instid0(VALU_DEP_1) | instskip(NEXT) | instid1(VALU_DEP_1)
	v_mul_f32_e32 v4, 0x2f800000, v1
	v_trunc_f32_e32 v4, v4
	s_delay_alu instid0(VALU_DEP_1) | instskip(SKIP_1) | instid1(VALU_DEP_2)
	v_fmamk_f32 v1, v4, 0xcf800000, v1
	v_cvt_u32_f32_e32 v4, v4
	v_cvt_u32_f32_e32 v1, v1
	s_delay_alu instid0(VALU_DEP_2) | instskip(NEXT) | instid1(VALU_DEP_2)
	v_readfirstlane_b32 s2, v4
	v_readfirstlane_b32 s7, v1
	s_delay_alu instid0(VALU_DEP_2) | instskip(NEXT) | instid1(VALU_DEP_1)
	s_mul_i32 s10, s8, s2
	s_mul_hi_u32 s12, s8, s7
	s_mul_i32 s11, s9, s7
	s_add_i32 s10, s12, s10
	s_mul_i32 s13, s8, s7
	s_add_i32 s10, s10, s11
	s_mul_hi_u32 s12, s7, s13
	s_mul_hi_u32 s14, s2, s13
	s_mul_i32 s11, s2, s13
	s_mul_hi_u32 s13, s7, s10
	s_mul_i32 s7, s7, s10
	s_mul_hi_u32 s18, s2, s10
	s_add_u32 s7, s12, s7
	s_addc_u32 s12, 0, s13
	s_add_u32 s7, s7, s11
	s_mul_i32 s10, s2, s10
	s_addc_u32 s7, s12, s14
	s_addc_u32 s11, s18, 0
	s_add_u32 s7, s7, s10
	s_addc_u32 s10, 0, s11
	v_add_co_u32 v1, s7, v1, s7
	s_delay_alu instid0(VALU_DEP_1) | instskip(SKIP_1) | instid1(VALU_DEP_1)
	s_cmp_lg_u32 s7, 0
	s_addc_u32 s2, s2, s10
	v_readfirstlane_b32 s7, v1
	s_mul_i32 s10, s8, s2
	s_delay_alu instid0(VALU_DEP_1)
	s_mul_hi_u32 s11, s8, s7
	s_mul_i32 s9, s9, s7
	s_add_i32 s10, s11, s10
	s_mul_i32 s8, s8, s7
	s_add_i32 s10, s10, s9
	s_mul_hi_u32 s11, s2, s8
	s_mul_i32 s12, s2, s8
	s_mul_hi_u32 s8, s7, s8
	s_mul_hi_u32 s13, s7, s10
	s_mul_i32 s7, s7, s10
	s_mul_hi_u32 s9, s2, s10
	s_add_u32 s7, s8, s7
	s_addc_u32 s8, 0, s13
	s_add_u32 s7, s7, s12
	s_mul_i32 s10, s2, s10
	s_addc_u32 s7, s8, s11
	s_addc_u32 s8, s9, 0
	s_add_u32 s7, s7, s10
	s_addc_u32 s8, 0, s8
	v_add_co_u32 v1, s7, v1, s7
	s_delay_alu instid0(VALU_DEP_1) | instskip(SKIP_2) | instid1(VALU_DEP_1)
	s_cmp_lg_u32 s7, 0
	s_addc_u32 s7, s2, s8
	s_ashr_i32 s8, s3, 31
	v_readfirstlane_b32 s10, v1
	s_add_u32 s2, s6, s8
	s_mov_b32 s9, s8
	s_addc_u32 s3, s3, s8
	s_delay_alu instid0(SALU_CYCLE_1) | instskip(NEXT) | instid1(SALU_CYCLE_1)
	s_xor_b64 s[2:3], s[2:3], s[8:9]
	s_mul_i32 s12, s2, s7
	s_mul_hi_u32 s13, s2, s10
	s_mul_hi_u32 s11, s2, s7
	;; [unrolled: 1-line block ×3, first 2 shown]
	s_mul_i32 s10, s3, s10
	s_add_u32 s12, s13, s12
	s_addc_u32 s11, 0, s11
	s_mul_hi_u32 s14, s3, s7
	s_add_u32 s10, s12, s10
	s_mul_i32 s7, s3, s7
	s_addc_u32 s10, s11, s18
	s_addc_u32 s11, s14, 0
	s_add_u32 s7, s10, s7
	s_addc_u32 s10, 0, s11
	s_mul_i32 s12, s25, s7
	s_add_u32 s11, s7, 1
	v_sub_co_u32 v1, s2, s2, s12
	s_mul_hi_u32 s12, s25, s7
	s_addc_u32 s13, s10, 0
	s_mul_i32 s14, s25, s10
	s_delay_alu instid0(VALU_DEP_1)
	v_sub_co_u32 v4, s18, v1, s25
	s_add_u32 s19, s7, 2
	s_addc_u32 s20, s10, 0
	s_add_i32 s12, s12, s14
	s_cmp_lg_u32 s2, 0
	v_readfirstlane_b32 s2, v4
	s_subb_u32 s3, s3, s12
	s_cmp_lg_u32 s18, 0
	s_subb_u32 s12, s3, 0
	s_delay_alu instid0(VALU_DEP_1) | instskip(SKIP_4) | instid1(SALU_CYCLE_1)
	s_cmp_ge_u32 s2, s25
	s_cselect_b32 s2, -1, 0
	s_cmp_eq_u32 s12, 0
	v_readfirstlane_b32 s12, v1
	s_cselect_b32 s2, s2, -1
	s_cmp_lg_u32 s2, 0
	s_cselect_b32 s2, s19, s11
	s_cselect_b32 s11, s20, s13
	s_cmp_ge_u32 s12, s25
	s_cselect_b32 s12, -1, 0
	s_cmp_eq_u32 s3, 0
	s_cselect_b32 s3, s12, -1
	s_delay_alu instid0(SALU_CYCLE_1) | instskip(SKIP_2) | instid1(SALU_CYCLE_1)
	s_cmp_lg_u32 s3, 0
	s_cselect_b32 s3, s11, s10
	s_cselect_b32 s2, s2, s7
	s_xor_b64 s[2:3], s[2:3], s[8:9]
	s_delay_alu instid0(SALU_CYCLE_1)
	s_sub_u32 s2, s2, s8
	s_subb_u32 s3, s3, s8
	s_cbranch_execnz .LBB128_5
.LBB128_4:
	v_cvt_f32_u32_e32 v1, s25
	s_sub_i32 s3, 0, s25
	s_delay_alu instid0(VALU_DEP_1) | instskip(SKIP_2) | instid1(VALU_DEP_1)
	v_rcp_iflag_f32_e32 v1, v1
	s_waitcnt_depctr 0xfff
	v_mul_f32_e32 v1, 0x4f7ffffe, v1
	v_cvt_u32_f32_e32 v1, v1
	s_delay_alu instid0(VALU_DEP_1) | instskip(NEXT) | instid1(VALU_DEP_1)
	v_readfirstlane_b32 s2, v1
	s_mul_i32 s3, s3, s2
	s_delay_alu instid0(SALU_CYCLE_1) | instskip(NEXT) | instid1(SALU_CYCLE_1)
	s_mul_hi_u32 s3, s2, s3
	s_add_i32 s2, s2, s3
	s_delay_alu instid0(SALU_CYCLE_1) | instskip(NEXT) | instid1(SALU_CYCLE_1)
	s_mul_hi_u32 s2, s6, s2
	s_mul_i32 s3, s2, s25
	s_delay_alu instid0(SALU_CYCLE_1)
	s_sub_i32 s3, s6, s3
	s_add_i32 s6, s2, 1
	s_sub_i32 s7, s3, s25
	s_cmp_ge_u32 s3, s25
	s_cselect_b32 s2, s6, s2
	s_cselect_b32 s3, s7, s3
	s_add_i32 s6, s2, 1
	s_cmp_ge_u32 s3, s25
	s_mov_b32 s3, 0
	s_cselect_b32 s2, s6, s2
.LBB128_5:
	v_mov_b32_e32 v1, 0
	s_add_u32 s2, s2, 1
	s_addc_u32 s3, s3, 0
	s_mul_hi_u32 s6, s24, s2
	s_mul_i32 s3, s24, s3
	v_mad_u64_u32 v[13:14], null, s5, s15, v[0:1]
	s_mul_hi_u32 s4, s4, s5
	s_add_i32 s3, s6, s3
	s_mul_i32 s4, s4, s2
	s_mul_i32 s2, s24, s2
	s_add_i32 s3, s3, s4
	s_mov_b32 s4, exec_lo
	s_lshl_b64 s[2:3], s[2:3], 2
	s_delay_alu instid0(SALU_CYCLE_1)
	v_cmpx_gt_i64_e64 s[2:3], v[13:14]
	s_cbranch_execz .LBB128_78
; %bb.6:
	v_alignbit_b32 v17, v3, v2, 2
	v_mad_u64_u32 v[4:5], null, 0xcd9e8d57, v13, 0
	v_lshrrev_b32_e32 v18, 2, v3
	s_waitcnt vmcnt(0)
	v_dual_mov_b32 v9, v12 :: v_dual_add_nc_u32 v28, 0x8ff34781, v11
	v_mad_u64_u32 v[0:1], null, 0xd2511f53, v17, 0
	v_add_co_u32 v20, null, 0x9e3779b9, v11
	v_xor3_b32 v3, v11, v5, v18
	s_delay_alu instid0(VALU_DEP_4) | instskip(SKIP_2) | instid1(VALU_DEP_4)
	v_add_co_u32 v19, null, 0xbb67ae85, v9
	v_add_co_u32 v21, null, 0x3c6ef372, v11
	v_xor_b32_e32 v1, v1, v12
	v_mad_u64_u32 v[5:6], null, 0xd2511f53, v3, 0
	v_add_co_u32 v22, null, 0x76cf5d0a, v9
	s_delay_alu instid0(VALU_DEP_3) | instskip(SKIP_2) | instid1(VALU_DEP_3)
	v_xor_b32_e32 v1, v1, v14
	v_add_co_u32 v23, null, 0x32370b8f, v9
	v_add_co_u32 v24, null, 0xdaa66d2b, v11
	v_mad_u64_u32 v[7:8], null, 0xcd9e8d57, v1, 0
	v_xor3_b32 v3, v19, v6, v0
	v_dual_mov_b32 v36, v13 :: v_dual_and_b32 v25, 3, v2
	v_add_co_u32 v26, null, 0x78dde6e4, v11
	s_delay_alu instid0(VALU_DEP_3) | instskip(SKIP_3) | instid1(VALU_DEP_3)
	v_mad_u64_u32 v[0:1], null, 0xcd9e8d57, v3, 0
	v_xor3_b32 v6, v20, v8, v4
	v_add_co_u32 v27, null, 0xed9eba14, v9
	v_add_co_u32 v31, null, 0xa9066899, v9
	v_mad_u64_u32 v[3:4], null, 0xd2511f53, v6, 0
	v_xor3_b32 v1, v21, v1, v7
	v_add_co_u32 v32, null, 0x1715609d, v11
	s_clause 0x1
	s_load_b64 s[20:21], s[0:1], 0xf4
	s_load_b128 s[12:15], s[0:1], 0x138
	v_add_co_u32 v33, null, 0xb54cda56, v11
	s_delay_alu instid0(VALU_DEP_4) | instskip(SKIP_2) | instid1(VALU_DEP_3)
	v_xor3_b32 v8, v22, v4, v5
	v_mad_u64_u32 v[4:5], null, 0xd2511f53, v1, 0
	v_add_co_u32 v34, null, 0x646e171e, v9
	v_mad_u64_u32 v[6:7], null, 0xcd9e8d57, v8, 0
	s_load_b256 s[4:11], s[0:1], 0x30
	v_add_co_u32 v30, null, 0x5384540f, v11
	s_delay_alu instid0(VALU_DEP_4) | instskip(SKIP_1) | instid1(VALU_DEP_4)
	v_xor3_b32 v3, v23, v5, v3
	v_add_co_u32 v37, null, 0x1fd5c5a3, v9
	v_xor3_b32 v5, v24, v7, v0
	v_add_co_u32 v35, null, 0xf1bbcdc8, v11
	s_delay_alu instid0(VALU_DEP_4) | instskip(NEXT) | instid1(VALU_DEP_3)
	v_mad_u64_u32 v[0:1], null, 0xcd9e8d57, v3, 0
	v_mad_u64_u32 v[2:3], null, 0xd2511f53, v5, 0
	s_waitcnt lgkmcnt(0)
	v_cvt_f32_f64_e32 v38, s[14:15]
	v_add_co_u32 v39, null, 0xdb3d7428, v9
	s_add_u32 s18, s0, 48
	s_delay_alu instid0(VALU_DEP_4) | instskip(SKIP_1) | instid1(VALU_DEP_4)
	v_xor3_b32 v1, v26, v1, v6
	s_addc_u32 s19, s1, 0
	v_xor3_b32 v7, v27, v3, v4
	s_add_i32 s22, s4, -1
	v_dual_mov_b32 v40, v14 :: v_dual_add_nc_u32 v29, 0x96a522ad, v12
	v_mad_u64_u32 v[3:4], null, 0xd2511f53, v1, 0
	s_delay_alu instid0(VALU_DEP_3) | instskip(SKIP_4) | instid1(VALU_DEP_2)
	v_mad_u64_u32 v[5:6], null, 0xcd9e8d57, v7, 0
	s_cmp_gt_u32 s22, 1
	s_mov_b32 s26, 0
	s_cselect_b32 s11, -1, 0
	s_cmp_lg_u32 s4, 0
	v_xor3_b32 v2, v31, v4, v2
	s_cselect_b32 s27, -1, 0
	s_delay_alu instid0(VALU_DEP_2) | instskip(SKIP_3) | instid1(VALU_DEP_2)
	v_xor3_b32 v4, v32, v6, v0
	s_add_u32 s0, s0, 0xf4
	s_addc_u32 s1, s1, 0
	v_mad_u64_u32 v[0:1], null, 0xcd9e8d57, v2, 0
	v_mad_u64_u32 v[6:7], null, 0xd2511f53, v4, 0
	s_min_u32 s14, s22, 15
	s_cmp_gt_u32 s4, 1
	s_mul_i32 s33, s24, 3
	s_cselect_b32 s4, -1, 0
	s_delay_alu instid0(VALU_DEP_2) | instskip(SKIP_1) | instid1(VALU_DEP_2)
	v_xor3_b32 v4, v33, v1, v5
	s_add_i32 s14, s14, 1
	v_xor3_b32 v5, v34, v7, v3
	s_lshl_b32 s28, s24, 1
	s_and_b32 s29, s14, 3
	v_mad_u64_u32 v[1:2], null, 0xd2511f53, v4, 0
	s_delay_alu instid0(VALU_DEP_2) | instskip(SKIP_3) | instid1(VALU_DEP_2)
	v_mad_u64_u32 v[3:4], null, 0xcd9e8d57, v5, 0
	s_cmp_lg_u32 s22, 2
	s_cselect_b32 s30, -1, 0
	s_and_b32 s31, s14, 28
	v_xor3_b32 v2, v37, v2, v6
	s_cmp_lg_u32 s29, 0
	s_delay_alu instid0(VALU_DEP_2) | instskip(SKIP_1) | instid1(VALU_DEP_2)
	v_xor3_b32 v0, v30, v4, v0
	s_cselect_b32 s34, -1, 0
	v_mad_u64_u32 v[4:5], null, 0xcd9e8d57, v2, 0
	s_delay_alu instid0(VALU_DEP_2) | instskip(NEXT) | instid1(VALU_DEP_2)
	v_mad_u64_u32 v[6:7], null, 0xd2511f53, v0, 0
	v_xor3_b32 v0, v35, v5, v3
	s_delay_alu instid0(VALU_DEP_2) | instskip(NEXT) | instid1(VALU_DEP_2)
	v_xor3_b32 v3, v39, v7, v1
	v_mad_u64_u32 v[7:8], null, 0xd2511f53, v0, 0
	s_delay_alu instid0(VALU_DEP_2) | instskip(NEXT) | instid1(VALU_DEP_2)
	v_mad_u64_u32 v[1:2], null, 0xcd9e8d57, v3, 0
	v_mov_b32_e32 v3, v7
	s_delay_alu instid0(VALU_DEP_2) | instskip(NEXT) | instid1(VALU_DEP_4)
	v_xor3_b32 v0, v2, v4, v28
	v_xor3_b32 v2, v8, v6, v29
	s_branch .LBB128_9
.LBB128_7:                              ;   in Loop: Header=BB128_9 Depth=1
	v_cvt_f32_u32_e32 v0, v3
	s_delay_alu instid0(VALU_DEP_1) | instskip(NEXT) | instid1(VALU_DEP_1)
	v_fmaak_f32 v0, 0x2f800000, v0, 0x2f800000
	v_cmp_lt_f32_e32 vcc_lo, v0, v38
	v_cndmask_b32_e64 v0, 0, 1, vcc_lo
	global_store_b8 v1, v0, s[12:13]
.LBB128_8:                              ;   in Loop: Header=BB128_9 Depth=1
	s_or_b32 exec_lo, exec_lo, s35
	v_add_co_u32 v13, vcc_lo, v13, s25
	v_add_co_ci_u32_e32 v14, vcc_lo, 0, v14, vcc_lo
	v_mov_b32_e32 v7, v15
	v_dual_mov_b32 v0, v4 :: v_dual_mov_b32 v1, v5
	s_delay_alu instid0(VALU_DEP_3) | instskip(NEXT) | instid1(VALU_DEP_3)
	v_cmp_le_i64_e32 vcc_lo, s[2:3], v[13:14]
	v_dual_mov_b32 v2, v6 :: v_dual_mov_b32 v3, v7
	s_waitcnt_vscnt null, 0x0
	s_barrier
	buffer_gl0_inv
	s_or_b32 s26, vcc_lo, s26
	s_delay_alu instid0(SALU_CYCLE_1)
	s_and_not1_b32 exec_lo, exec_lo, s26
	s_cbranch_execz .LBB128_78
.LBB128_9:                              ; =>This Loop Header: Depth=1
                                        ;     Child Loop BB128_24 Depth 2
                                        ;     Child Loop BB128_29 Depth 2
	;; [unrolled: 1-line block ×8, first 2 shown]
	v_add_co_u32 v17, vcc_lo, v17, 1
	s_delay_alu instid0(VALU_DEP_1) | instskip(SKIP_2) | instid1(VALU_DEP_1)
	v_cndmask_b32_e64 v4, 0, 1, vcc_lo
	v_add_co_ci_u32_e32 v18, vcc_lo, 0, v18, vcc_lo
	s_mov_b32 s14, exec_lo
	v_cmp_eq_u32_e32 vcc_lo, 0, v18
	s_delay_alu instid0(VALU_DEP_3) | instskip(NEXT) | instid1(VALU_DEP_1)
	v_cndmask_b32_e32 v4, 0, v4, vcc_lo
	v_add_nc_u32_e32 v36, v4, v36
	s_delay_alu instid0(VALU_DEP_1) | instskip(SKIP_2) | instid1(VALU_DEP_2)
	v_cmp_eq_u32_e32 vcc_lo, 0, v36
	v_mad_u64_u32 v[6:7], null, 0xcd9e8d57, v36, 0
	v_cndmask_b32_e32 v4, 0, v4, vcc_lo
	v_xor3_b32 v9, v7, v11, v18
	s_delay_alu instid0(VALU_DEP_2) | instskip(SKIP_1) | instid1(VALU_DEP_3)
	v_add_nc_u32_e32 v40, v4, v40
	v_mad_u64_u32 v[4:5], null, 0xd2511f53, v17, 0
	v_mad_u64_u32 v[7:8], null, 0xd2511f53, v9, 0
	s_delay_alu instid0(VALU_DEP_2) | instskip(NEXT) | instid1(VALU_DEP_2)
	v_xor_b32_e32 v5, v5, v12
	v_xor3_b32 v8, v19, v8, v4
	s_delay_alu instid0(VALU_DEP_2) | instskip(NEXT) | instid1(VALU_DEP_1)
	v_xor_b32_e32 v5, v40, v5
	v_mad_u64_u32 v[9:10], null, 0xcd9e8d57, v5, 0
	s_delay_alu instid0(VALU_DEP_3) | instskip(NEXT) | instid1(VALU_DEP_2)
	v_mad_u64_u32 v[4:5], null, 0xcd9e8d57, v8, 0
	v_xor3_b32 v6, v20, v10, v6
	s_delay_alu instid0(VALU_DEP_2) | instskip(NEXT) | instid1(VALU_DEP_2)
	v_xor3_b32 v8, v21, v5, v9
	v_mad_u64_u32 v[15:16], null, 0xd2511f53, v6, 0
	s_delay_alu instid0(VALU_DEP_2) | instskip(NEXT) | instid1(VALU_DEP_2)
	v_mad_u64_u32 v[5:6], null, 0xd2511f53, v8, 0
	v_xor3_b32 v9, v22, v16, v7
	s_delay_alu instid0(VALU_DEP_2) | instskip(NEXT) | instid1(VALU_DEP_2)
	v_xor3_b32 v6, v23, v6, v15
	v_mad_u64_u32 v[7:8], null, 0xcd9e8d57, v9, 0
	s_delay_alu instid0(VALU_DEP_1) | instskip(NEXT) | instid1(VALU_DEP_3)
	v_xor3_b32 v4, v24, v8, v4
	v_mad_u64_u32 v[8:9], null, 0xcd9e8d57, v6, 0
	s_delay_alu instid0(VALU_DEP_2) | instskip(NEXT) | instid1(VALU_DEP_2)
	v_mad_u64_u32 v[15:16], null, 0xd2511f53, v4, 0
	v_xor3_b32 v6, v26, v9, v7
	s_delay_alu instid0(VALU_DEP_2) | instskip(NEXT) | instid1(VALU_DEP_2)
	v_xor3_b32 v9, v27, v16, v5
	v_mad_u64_u32 v[4:5], null, 0xd2511f53, v6, 0
	s_delay_alu instid0(VALU_DEP_2) | instskip(NEXT) | instid1(VALU_DEP_2)
	v_mad_u64_u32 v[6:7], null, 0xcd9e8d57, v9, 0
	v_xor3_b32 v5, v31, v5, v15
	s_delay_alu instid0(VALU_DEP_2) | instskip(NEXT) | instid1(VALU_DEP_2)
	;; [unrolled: 6-line block ×6, first 2 shown]
	v_xor3_b32 v4, v6, v7, v28
	v_mov_b32_e32 v6, v10
	v_cmpx_lt_i32_e32 1, v25
	s_xor_b32 s14, exec_lo, s14
	s_cbranch_execnz .LBB128_12
; %bb.10:                               ;   in Loop: Header=BB128_9 Depth=1
	s_and_not1_saveexec_b32 s14, s14
	s_cbranch_execnz .LBB128_17
.LBB128_11:                             ;   in Loop: Header=BB128_9 Depth=1
	s_or_b32 exec_lo, exec_lo, s14
	s_delay_alu instid0(SALU_CYCLE_1)
	s_mov_b32 s35, exec_lo
	v_cmpx_gt_i64_e64 s[16:17], v[13:14]
	s_cbranch_execnz .LBB128_20
	s_branch .LBB128_34
.LBB128_12:                             ;   in Loop: Header=BB128_9 Depth=1
	s_mov_b32 s15, exec_lo
	v_cmpx_lt_i32_e32 2, v25
	s_xor_b32 s15, exec_lo, s15
; %bb.13:                               ;   in Loop: Header=BB128_9 Depth=1
	v_dual_mov_b32 v7, v3 :: v_dual_mov_b32 v8, v4
	v_mov_b32_e32 v9, v5
	s_delay_alu instid0(VALU_DEP_2) | instskip(NEXT) | instid1(VALU_DEP_2)
	v_dual_mov_b32 v0, v7 :: v_dual_mov_b32 v1, v8
	v_dual_mov_b32 v2, v9 :: v_dual_mov_b32 v3, v10
; %bb.14:                               ;   in Loop: Header=BB128_9 Depth=1
	s_and_not1_saveexec_b32 s15, s15
; %bb.15:                               ;   in Loop: Header=BB128_9 Depth=1
	s_delay_alu instid0(VALU_DEP_1)
	v_dual_mov_b32 v0, v2 :: v_dual_mov_b32 v1, v3
	v_dual_mov_b32 v2, v4 :: v_dual_mov_b32 v3, v5
; %bb.16:                               ;   in Loop: Header=BB128_9 Depth=1
	s_or_b32 exec_lo, exec_lo, s15
	s_and_not1_saveexec_b32 s14, s14
	s_cbranch_execz .LBB128_11
.LBB128_17:                             ;   in Loop: Header=BB128_9 Depth=1
	s_mov_b32 s15, exec_lo
	v_cmpx_eq_u32_e32 1, v25
; %bb.18:                               ;   in Loop: Header=BB128_9 Depth=1
	v_dual_mov_b32 v0, v1 :: v_dual_mov_b32 v1, v2
	v_dual_mov_b32 v2, v3 :: v_dual_mov_b32 v3, v4
; %bb.19:                               ;   in Loop: Header=BB128_9 Depth=1
	s_or_b32 exec_lo, exec_lo, s15
	s_delay_alu instid0(SALU_CYCLE_1) | instskip(NEXT) | instid1(SALU_CYCLE_1)
	s_or_b32 exec_lo, exec_lo, s14
	s_mov_b32 s35, exec_lo
	v_cmpx_gt_i64_e64 s[16:17], v[13:14]
	s_cbranch_execz .LBB128_34
.LBB128_20:                             ;   in Loop: Header=BB128_9 Depth=1
	s_and_not1_b32 vcc_lo, exec_lo, s11
	s_cbranch_vccnz .LBB128_26
; %bb.21:                               ;   in Loop: Header=BB128_9 Depth=1
	v_mov_b32_e32 v7, 0
	s_and_not1_b32 vcc_lo, exec_lo, s27
	s_cbranch_vccnz .LBB128_30
; %bb.22:                               ;   in Loop: Header=BB128_9 Depth=1
	s_and_not1_b32 vcc_lo, exec_lo, s30
	s_mov_b32 s14, 0
	s_cbranch_vccnz .LBB128_27
; %bb.23:                               ;   in Loop: Header=BB128_9 Depth=1
	v_dual_mov_b32 v7, 0 :: v_dual_mov_b32 v8, v13
	s_mov_b32 s36, 0
	s_mov_b64 s[14:15], s[18:19]
	s_mov_b64 s[22:23], s[0:1]
.LBB128_24:                             ;   Parent Loop BB128_9 Depth=1
                                        ; =>  This Inner Loop Header: Depth=2
	s_clause 0x1
	s_load_b256 s[40:47], s[14:15], 0x4
	s_load_b128 s[48:51], s[14:15], 0x24
	s_load_b128 s[52:55], s[22:23], 0x0
	s_add_u32 s14, s14, 48
	s_addc_u32 s15, s15, 0
	s_add_i32 s36, s36, 4
	s_add_u32 s22, s22, 16
	s_addc_u32 s23, s23, 0
	s_cmp_lg_u32 s31, s36
	s_waitcnt lgkmcnt(0)
	v_mul_hi_u32 v9, s41, v8
	s_delay_alu instid0(VALU_DEP_1) | instskip(NEXT) | instid1(VALU_DEP_1)
	v_add_nc_u32_e32 v9, v8, v9
	v_lshrrev_b32_e32 v9, s42, v9
	s_delay_alu instid0(VALU_DEP_1) | instskip(SKIP_1) | instid1(VALU_DEP_2)
	v_mul_hi_u32 v10, s44, v9
	v_mul_lo_u32 v42, v9, s40
	v_add_nc_u32_e32 v10, v9, v10
	s_delay_alu instid0(VALU_DEP_2) | instskip(NEXT) | instid1(VALU_DEP_2)
	v_sub_nc_u32_e32 v42, v8, v42
	v_lshrrev_b32_e32 v10, s45, v10
	s_delay_alu instid0(VALU_DEP_2) | instskip(NEXT) | instid1(VALU_DEP_2)
	v_mul_lo_u32 v42, v42, s52
	v_mul_hi_u32 v16, s47, v10
	v_mul_lo_u32 v43, v10, s43
	s_delay_alu instid0(VALU_DEP_2) | instskip(NEXT) | instid1(VALU_DEP_2)
	v_add_nc_u32_e32 v16, v10, v16
	v_sub_nc_u32_e32 v9, v9, v43
	s_delay_alu instid0(VALU_DEP_2) | instskip(NEXT) | instid1(VALU_DEP_2)
	v_lshrrev_b32_e32 v16, s48, v16
	v_mul_lo_u32 v9, v9, s53
	s_delay_alu instid0(VALU_DEP_2) | instskip(NEXT) | instid1(VALU_DEP_2)
	v_mul_hi_u32 v41, s50, v16
	v_add3_u32 v7, v42, v7, v9
	s_delay_alu instid0(VALU_DEP_2) | instskip(NEXT) | instid1(VALU_DEP_1)
	v_add_nc_u32_e32 v41, v16, v41
	v_lshrrev_b32_e32 v8, s51, v41
	v_mul_lo_u32 v41, v16, s46
	s_delay_alu instid0(VALU_DEP_2) | instskip(NEXT) | instid1(VALU_DEP_2)
	v_mul_lo_u32 v44, v8, s49
	v_sub_nc_u32_e32 v10, v10, v41
	s_delay_alu instid0(VALU_DEP_2) | instskip(NEXT) | instid1(VALU_DEP_2)
	v_sub_nc_u32_e32 v16, v16, v44
	v_mul_lo_u32 v10, v10, s54
	s_delay_alu instid0(VALU_DEP_2) | instskip(NEXT) | instid1(VALU_DEP_1)
	v_mul_lo_u32 v16, v16, s55
	v_add3_u32 v7, v10, v7, v16
	s_cbranch_scc1 .LBB128_24
; %bb.25:                               ;   in Loop: Header=BB128_9 Depth=1
	s_mov_b32 s14, s31
	s_and_not1_b32 vcc_lo, exec_lo, s34
	s_cbranch_vccz .LBB128_28
	s_branch .LBB128_30
.LBB128_26:                             ;   in Loop: Header=BB128_9 Depth=1
                                        ; implicit-def: $vgpr7
	s_branch .LBB128_31
.LBB128_27:                             ;   in Loop: Header=BB128_9 Depth=1
	v_mov_b32_e32 v8, v13
	s_and_not1_b32 vcc_lo, exec_lo, s34
	s_cbranch_vccnz .LBB128_30
.LBB128_28:                             ;   in Loop: Header=BB128_9 Depth=1
	s_lshl_b32 s15, s14, 2
	s_mul_i32 s22, s14, 12
	s_add_u32 s14, s0, s15
	s_addc_u32 s15, s1, 0
	s_add_u32 s22, s18, s22
	s_addc_u32 s23, s19, 0
	s_mov_b32 s36, s29
	.p2align	6
.LBB128_29:                             ;   Parent Loop BB128_9 Depth=1
                                        ; =>  This Inner Loop Header: Depth=2
	s_clause 0x1
	s_load_b64 s[38:39], s[22:23], 0x4
	s_load_b32 s37, s[22:23], 0xc
	s_add_u32 s22, s22, 12
	s_addc_u32 s23, s23, 0
	s_waitcnt lgkmcnt(0)
	v_mul_hi_u32 v9, s39, v8
	s_load_b32 s39, s[14:15], 0x0
	s_add_u32 s14, s14, 4
	s_addc_u32 s15, s15, 0
	s_add_i32 s36, s36, -1
	s_delay_alu instid0(SALU_CYCLE_1) | instskip(NEXT) | instid1(VALU_DEP_1)
	s_cmp_lg_u32 s36, 0
	v_add_nc_u32_e32 v9, v8, v9
	s_delay_alu instid0(VALU_DEP_1) | instskip(NEXT) | instid1(VALU_DEP_1)
	v_lshrrev_b32_e32 v16, s37, v9
	v_mul_lo_u32 v9, v16, s38
	s_delay_alu instid0(VALU_DEP_1) | instskip(SKIP_1) | instid1(VALU_DEP_1)
	v_sub_nc_u32_e32 v8, v8, v9
	s_waitcnt lgkmcnt(0)
	v_mad_u64_u32 v[9:10], null, v8, s39, v[7:8]
	s_delay_alu instid0(VALU_DEP_1)
	v_dual_mov_b32 v8, v16 :: v_dual_mov_b32 v7, v9
	s_cbranch_scc1 .LBB128_29
.LBB128_30:                             ;   in Loop: Header=BB128_9 Depth=1
	s_cbranch_execnz .LBB128_33
.LBB128_31:                             ;   in Loop: Header=BB128_9 Depth=1
	v_mul_hi_u32 v7, v13, s6
	s_and_not1_b32 vcc_lo, exec_lo, s4
	s_delay_alu instid0(VALU_DEP_1) | instskip(NEXT) | instid1(VALU_DEP_1)
	v_add_nc_u32_e32 v7, v7, v13
	v_lshrrev_b32_e32 v8, s7, v7
	s_delay_alu instid0(VALU_DEP_1) | instskip(NEXT) | instid1(VALU_DEP_1)
	v_mul_lo_u32 v7, v8, s5
	v_sub_nc_u32_e32 v7, v13, v7
	s_delay_alu instid0(VALU_DEP_1)
	v_mul_lo_u32 v7, v7, s20
	s_cbranch_vccnz .LBB128_33
; %bb.32:                               ;   in Loop: Header=BB128_9 Depth=1
	v_mul_hi_u32 v9, s9, v8
	s_delay_alu instid0(VALU_DEP_1) | instskip(NEXT) | instid1(VALU_DEP_1)
	v_add_nc_u32_e32 v9, v8, v9
	v_lshrrev_b32_e32 v9, s10, v9
	s_delay_alu instid0(VALU_DEP_1) | instskip(NEXT) | instid1(VALU_DEP_1)
	v_mul_lo_u32 v9, v9, s8
	v_sub_nc_u32_e32 v10, v8, v9
	s_delay_alu instid0(VALU_DEP_1) | instskip(NEXT) | instid1(VALU_DEP_1)
	v_mad_u64_u32 v[8:9], null, v10, s21, v[7:8]
	v_mov_b32_e32 v7, v8
.LBB128_33:                             ;   in Loop: Header=BB128_9 Depth=1
	v_cvt_f32_u32_e32 v0, v0
	s_delay_alu instid0(VALU_DEP_1) | instskip(NEXT) | instid1(VALU_DEP_1)
	v_fmaak_f32 v0, 0x2f800000, v0, 0x2f800000
	v_cmp_lt_f32_e32 vcc_lo, v0, v38
	v_cndmask_b32_e64 v0, 0, 1, vcc_lo
	global_store_b8 v7, v0, s[12:13]
.LBB128_34:                             ;   in Loop: Header=BB128_9 Depth=1
	s_or_b32 exec_lo, exec_lo, s35
	v_add_co_u32 v7, vcc_lo, v13, s24
	v_add_co_ci_u32_e32 v8, vcc_lo, 0, v14, vcc_lo
	s_mov_b32 s35, exec_lo
	s_delay_alu instid0(VALU_DEP_1)
	v_cmpx_gt_i64_e64 s[16:17], v[7:8]
	s_cbranch_execz .LBB128_49
; %bb.35:                               ;   in Loop: Header=BB128_9 Depth=1
	s_and_not1_b32 vcc_lo, exec_lo, s11
	s_cbranch_vccnz .LBB128_41
; %bb.36:                               ;   in Loop: Header=BB128_9 Depth=1
	v_mov_b32_e32 v0, 0
	s_and_not1_b32 vcc_lo, exec_lo, s27
	s_cbranch_vccnz .LBB128_45
; %bb.37:                               ;   in Loop: Header=BB128_9 Depth=1
	s_and_not1_b32 vcc_lo, exec_lo, s30
	s_mov_b32 s14, 0
	s_cbranch_vccnz .LBB128_42
; %bb.38:                               ;   in Loop: Header=BB128_9 Depth=1
	v_mov_b32_e32 v0, 0
	v_mov_b32_e32 v8, v7
	s_mov_b32 s36, 0
	s_mov_b64 s[14:15], s[18:19]
	s_mov_b64 s[22:23], s[0:1]
.LBB128_39:                             ;   Parent Loop BB128_9 Depth=1
                                        ; =>  This Inner Loop Header: Depth=2
	s_clause 0x1
	s_load_b256 s[40:47], s[14:15], 0x4
	s_load_b128 s[48:51], s[14:15], 0x24
	s_load_b128 s[52:55], s[22:23], 0x0
	s_add_u32 s14, s14, 48
	s_addc_u32 s15, s15, 0
	s_add_i32 s36, s36, 4
	s_add_u32 s22, s22, 16
	s_addc_u32 s23, s23, 0
	s_cmp_eq_u32 s31, s36
	s_waitcnt lgkmcnt(0)
	v_mul_hi_u32 v9, s41, v8
	s_delay_alu instid0(VALU_DEP_1) | instskip(NEXT) | instid1(VALU_DEP_1)
	v_add_nc_u32_e32 v9, v8, v9
	v_lshrrev_b32_e32 v9, s42, v9
	s_delay_alu instid0(VALU_DEP_1) | instskip(SKIP_1) | instid1(VALU_DEP_2)
	v_mul_hi_u32 v10, s44, v9
	v_mul_lo_u32 v42, v9, s40
	v_add_nc_u32_e32 v10, v9, v10
	s_delay_alu instid0(VALU_DEP_2) | instskip(NEXT) | instid1(VALU_DEP_2)
	v_sub_nc_u32_e32 v42, v8, v42
	v_lshrrev_b32_e32 v10, s45, v10
	s_delay_alu instid0(VALU_DEP_2) | instskip(NEXT) | instid1(VALU_DEP_2)
	v_mul_lo_u32 v42, v42, s52
	v_mul_hi_u32 v16, s47, v10
	v_mul_lo_u32 v43, v10, s43
	s_delay_alu instid0(VALU_DEP_2) | instskip(NEXT) | instid1(VALU_DEP_2)
	v_add_nc_u32_e32 v16, v10, v16
	v_sub_nc_u32_e32 v9, v9, v43
	s_delay_alu instid0(VALU_DEP_2) | instskip(NEXT) | instid1(VALU_DEP_2)
	v_lshrrev_b32_e32 v16, s48, v16
	v_mul_lo_u32 v9, v9, s53
	s_delay_alu instid0(VALU_DEP_2) | instskip(NEXT) | instid1(VALU_DEP_2)
	v_mul_hi_u32 v41, s50, v16
	v_add3_u32 v0, v42, v0, v9
	s_delay_alu instid0(VALU_DEP_2) | instskip(NEXT) | instid1(VALU_DEP_1)
	v_add_nc_u32_e32 v41, v16, v41
	v_lshrrev_b32_e32 v8, s51, v41
	v_mul_lo_u32 v41, v16, s46
	s_delay_alu instid0(VALU_DEP_2) | instskip(NEXT) | instid1(VALU_DEP_2)
	v_mul_lo_u32 v44, v8, s49
	v_sub_nc_u32_e32 v10, v10, v41
	s_delay_alu instid0(VALU_DEP_2) | instskip(NEXT) | instid1(VALU_DEP_2)
	v_sub_nc_u32_e32 v16, v16, v44
	v_mul_lo_u32 v10, v10, s54
	s_delay_alu instid0(VALU_DEP_2) | instskip(NEXT) | instid1(VALU_DEP_1)
	v_mul_lo_u32 v16, v16, s55
	v_add3_u32 v0, v10, v0, v16
	s_cbranch_scc0 .LBB128_39
; %bb.40:                               ;   in Loop: Header=BB128_9 Depth=1
	s_mov_b32 s14, s31
	s_and_not1_b32 vcc_lo, exec_lo, s34
	s_cbranch_vccz .LBB128_43
	s_branch .LBB128_45
.LBB128_41:                             ;   in Loop: Header=BB128_9 Depth=1
                                        ; implicit-def: $vgpr0
	s_branch .LBB128_46
.LBB128_42:                             ;   in Loop: Header=BB128_9 Depth=1
	v_mov_b32_e32 v8, v7
	s_and_not1_b32 vcc_lo, exec_lo, s34
	s_cbranch_vccnz .LBB128_45
.LBB128_43:                             ;   in Loop: Header=BB128_9 Depth=1
	s_lshl_b32 s15, s14, 2
	s_mul_i32 s22, s14, 12
	s_add_u32 s14, s0, s15
	s_addc_u32 s15, s1, 0
	s_add_u32 s22, s18, s22
	s_addc_u32 s23, s19, 0
	s_mov_b32 s36, s29
	.p2align	6
.LBB128_44:                             ;   Parent Loop BB128_9 Depth=1
                                        ; =>  This Inner Loop Header: Depth=2
	s_clause 0x1
	s_load_b64 s[38:39], s[22:23], 0x4
	s_load_b32 s37, s[22:23], 0xc
	s_add_u32 s22, s22, 12
	s_addc_u32 s23, s23, 0
	s_waitcnt lgkmcnt(0)
	v_mul_hi_u32 v9, s39, v8
	s_load_b32 s39, s[14:15], 0x0
	s_add_u32 s14, s14, 4
	s_addc_u32 s15, s15, 0
	s_add_i32 s36, s36, -1
	s_delay_alu instid0(SALU_CYCLE_1) | instskip(NEXT) | instid1(VALU_DEP_1)
	s_cmp_lg_u32 s36, 0
	v_add_nc_u32_e32 v9, v8, v9
	s_delay_alu instid0(VALU_DEP_1) | instskip(NEXT) | instid1(VALU_DEP_1)
	v_lshrrev_b32_e32 v16, s37, v9
	v_mul_lo_u32 v9, v16, s38
	s_delay_alu instid0(VALU_DEP_1) | instskip(SKIP_1) | instid1(VALU_DEP_1)
	v_sub_nc_u32_e32 v8, v8, v9
	s_waitcnt lgkmcnt(0)
	v_mad_u64_u32 v[9:10], null, v8, s39, v[0:1]
	v_mov_b32_e32 v8, v16
	s_delay_alu instid0(VALU_DEP_2)
	v_mov_b32_e32 v0, v9
	s_cbranch_scc1 .LBB128_44
.LBB128_45:                             ;   in Loop: Header=BB128_9 Depth=1
	s_cbranch_execnz .LBB128_48
.LBB128_46:                             ;   in Loop: Header=BB128_9 Depth=1
	v_mul_hi_u32 v0, v7, s6
	s_and_not1_b32 vcc_lo, exec_lo, s4
	s_delay_alu instid0(VALU_DEP_1) | instskip(NEXT) | instid1(VALU_DEP_1)
	v_add_nc_u32_e32 v0, v0, v7
	v_lshrrev_b32_e32 v8, s7, v0
	s_delay_alu instid0(VALU_DEP_1) | instskip(NEXT) | instid1(VALU_DEP_1)
	v_mul_lo_u32 v0, v8, s5
	v_sub_nc_u32_e32 v0, v7, v0
	s_delay_alu instid0(VALU_DEP_1)
	v_mul_lo_u32 v0, v0, s20
	s_cbranch_vccnz .LBB128_48
; %bb.47:                               ;   in Loop: Header=BB128_9 Depth=1
	v_mul_hi_u32 v7, s9, v8
	s_delay_alu instid0(VALU_DEP_1) | instskip(NEXT) | instid1(VALU_DEP_1)
	v_add_nc_u32_e32 v7, v8, v7
	v_lshrrev_b32_e32 v7, s10, v7
	s_delay_alu instid0(VALU_DEP_1) | instskip(NEXT) | instid1(VALU_DEP_1)
	v_mul_lo_u32 v7, v7, s8
	v_sub_nc_u32_e32 v9, v8, v7
	s_delay_alu instid0(VALU_DEP_1) | instskip(NEXT) | instid1(VALU_DEP_1)
	v_mad_u64_u32 v[7:8], null, v9, s21, v[0:1]
	v_mov_b32_e32 v0, v7
.LBB128_48:                             ;   in Loop: Header=BB128_9 Depth=1
	v_cvt_f32_u32_e32 v1, v1
	s_delay_alu instid0(VALU_DEP_1) | instskip(NEXT) | instid1(VALU_DEP_1)
	v_fmaak_f32 v1, 0x2f800000, v1, 0x2f800000
	v_cmp_lt_f32_e32 vcc_lo, v1, v38
	v_cndmask_b32_e64 v1, 0, 1, vcc_lo
	global_store_b8 v0, v1, s[12:13]
.LBB128_49:                             ;   in Loop: Header=BB128_9 Depth=1
	s_or_b32 exec_lo, exec_lo, s35
	v_add_co_u32 v0, vcc_lo, v13, s28
	v_add_co_ci_u32_e32 v1, vcc_lo, 0, v14, vcc_lo
	s_mov_b32 s35, exec_lo
	s_delay_alu instid0(VALU_DEP_1)
	v_cmpx_gt_i64_e64 s[16:17], v[0:1]
	s_cbranch_execz .LBB128_64
; %bb.50:                               ;   in Loop: Header=BB128_9 Depth=1
	s_and_not1_b32 vcc_lo, exec_lo, s11
	s_cbranch_vccnz .LBB128_56
; %bb.51:                               ;   in Loop: Header=BB128_9 Depth=1
	v_mov_b32_e32 v1, 0
	s_and_not1_b32 vcc_lo, exec_lo, s27
	s_cbranch_vccnz .LBB128_60
; %bb.52:                               ;   in Loop: Header=BB128_9 Depth=1
	s_and_not1_b32 vcc_lo, exec_lo, s30
	s_mov_b32 s14, 0
	s_cbranch_vccnz .LBB128_57
; %bb.53:                               ;   in Loop: Header=BB128_9 Depth=1
	v_mov_b32_e32 v1, 0
	v_mov_b32_e32 v7, v0
	s_mov_b32 s36, 0
	s_mov_b64 s[14:15], s[18:19]
	s_mov_b64 s[22:23], s[0:1]
.LBB128_54:                             ;   Parent Loop BB128_9 Depth=1
                                        ; =>  This Inner Loop Header: Depth=2
	s_clause 0x1
	s_load_b256 s[40:47], s[14:15], 0x4
	s_load_b128 s[48:51], s[14:15], 0x24
	s_load_b128 s[52:55], s[22:23], 0x0
	s_add_u32 s14, s14, 48
	s_addc_u32 s15, s15, 0
	s_add_i32 s36, s36, 4
	s_add_u32 s22, s22, 16
	s_addc_u32 s23, s23, 0
	s_cmp_eq_u32 s31, s36
	s_waitcnt lgkmcnt(0)
	v_mul_hi_u32 v8, s41, v7
	s_delay_alu instid0(VALU_DEP_1) | instskip(NEXT) | instid1(VALU_DEP_1)
	v_add_nc_u32_e32 v8, v7, v8
	v_lshrrev_b32_e32 v8, s42, v8
	s_delay_alu instid0(VALU_DEP_1) | instskip(SKIP_1) | instid1(VALU_DEP_2)
	v_mul_hi_u32 v9, s44, v8
	v_mul_lo_u32 v41, v8, s40
	v_add_nc_u32_e32 v9, v8, v9
	s_delay_alu instid0(VALU_DEP_2) | instskip(NEXT) | instid1(VALU_DEP_2)
	v_sub_nc_u32_e32 v41, v7, v41
	v_lshrrev_b32_e32 v9, s45, v9
	s_delay_alu instid0(VALU_DEP_2) | instskip(NEXT) | instid1(VALU_DEP_2)
	v_mul_lo_u32 v41, v41, s52
	v_mul_hi_u32 v10, s47, v9
	v_mul_lo_u32 v42, v9, s43
	s_delay_alu instid0(VALU_DEP_2) | instskip(NEXT) | instid1(VALU_DEP_2)
	v_add_nc_u32_e32 v10, v9, v10
	v_sub_nc_u32_e32 v8, v8, v42
	s_delay_alu instid0(VALU_DEP_2) | instskip(NEXT) | instid1(VALU_DEP_2)
	v_lshrrev_b32_e32 v10, s48, v10
	v_mul_lo_u32 v8, v8, s53
	s_delay_alu instid0(VALU_DEP_2) | instskip(NEXT) | instid1(VALU_DEP_2)
	v_mul_hi_u32 v16, s50, v10
	v_add3_u32 v1, v41, v1, v8
	s_delay_alu instid0(VALU_DEP_2) | instskip(NEXT) | instid1(VALU_DEP_1)
	v_add_nc_u32_e32 v16, v10, v16
	v_lshrrev_b32_e32 v7, s51, v16
	v_mul_lo_u32 v16, v10, s46
	s_delay_alu instid0(VALU_DEP_2) | instskip(NEXT) | instid1(VALU_DEP_2)
	v_mul_lo_u32 v43, v7, s49
	v_sub_nc_u32_e32 v9, v9, v16
	s_delay_alu instid0(VALU_DEP_2) | instskip(NEXT) | instid1(VALU_DEP_2)
	v_sub_nc_u32_e32 v10, v10, v43
	v_mul_lo_u32 v9, v9, s54
	s_delay_alu instid0(VALU_DEP_2) | instskip(NEXT) | instid1(VALU_DEP_1)
	v_mul_lo_u32 v10, v10, s55
	v_add3_u32 v1, v9, v1, v10
	s_cbranch_scc0 .LBB128_54
; %bb.55:                               ;   in Loop: Header=BB128_9 Depth=1
	s_mov_b32 s14, s31
	s_and_not1_b32 vcc_lo, exec_lo, s34
	s_cbranch_vccz .LBB128_58
	s_branch .LBB128_60
.LBB128_56:                             ;   in Loop: Header=BB128_9 Depth=1
                                        ; implicit-def: $vgpr1
	s_branch .LBB128_61
.LBB128_57:                             ;   in Loop: Header=BB128_9 Depth=1
	v_mov_b32_e32 v7, v0
	s_and_not1_b32 vcc_lo, exec_lo, s34
	s_cbranch_vccnz .LBB128_60
.LBB128_58:                             ;   in Loop: Header=BB128_9 Depth=1
	s_lshl_b32 s15, s14, 2
	s_mul_i32 s22, s14, 12
	s_add_u32 s14, s0, s15
	s_addc_u32 s15, s1, 0
	s_add_u32 s22, s18, s22
	s_addc_u32 s23, s19, 0
	s_mov_b32 s36, s29
	.p2align	6
.LBB128_59:                             ;   Parent Loop BB128_9 Depth=1
                                        ; =>  This Inner Loop Header: Depth=2
	s_clause 0x1
	s_load_b64 s[38:39], s[22:23], 0x4
	s_load_b32 s37, s[22:23], 0xc
	s_add_u32 s22, s22, 12
	s_addc_u32 s23, s23, 0
	s_waitcnt lgkmcnt(0)
	v_mul_hi_u32 v8, s39, v7
	s_load_b32 s39, s[14:15], 0x0
	s_add_u32 s14, s14, 4
	s_addc_u32 s15, s15, 0
	s_add_i32 s36, s36, -1
	s_delay_alu instid0(SALU_CYCLE_1) | instskip(NEXT) | instid1(VALU_DEP_1)
	s_cmp_lg_u32 s36, 0
	v_add_nc_u32_e32 v8, v7, v8
	s_delay_alu instid0(VALU_DEP_1) | instskip(NEXT) | instid1(VALU_DEP_1)
	v_lshrrev_b32_e32 v10, s37, v8
	v_mul_lo_u32 v8, v10, s38
	s_delay_alu instid0(VALU_DEP_1) | instskip(SKIP_1) | instid1(VALU_DEP_1)
	v_sub_nc_u32_e32 v7, v7, v8
	s_waitcnt lgkmcnt(0)
	v_mad_u64_u32 v[8:9], null, v7, s39, v[1:2]
	v_mov_b32_e32 v7, v10
	s_delay_alu instid0(VALU_DEP_2)
	v_mov_b32_e32 v1, v8
	s_cbranch_scc1 .LBB128_59
.LBB128_60:                             ;   in Loop: Header=BB128_9 Depth=1
	s_cbranch_execnz .LBB128_63
.LBB128_61:                             ;   in Loop: Header=BB128_9 Depth=1
	v_mul_hi_u32 v1, v0, s6
	s_and_not1_b32 vcc_lo, exec_lo, s4
	s_delay_alu instid0(VALU_DEP_1) | instskip(NEXT) | instid1(VALU_DEP_1)
	v_add_nc_u32_e32 v1, v1, v0
	v_lshrrev_b32_e32 v7, s7, v1
	s_delay_alu instid0(VALU_DEP_1) | instskip(NEXT) | instid1(VALU_DEP_1)
	v_mul_lo_u32 v1, v7, s5
	v_sub_nc_u32_e32 v0, v0, v1
	s_delay_alu instid0(VALU_DEP_1)
	v_mul_lo_u32 v1, v0, s20
	s_cbranch_vccnz .LBB128_63
; %bb.62:                               ;   in Loop: Header=BB128_9 Depth=1
	v_mul_hi_u32 v0, s9, v7
	s_delay_alu instid0(VALU_DEP_1) | instskip(NEXT) | instid1(VALU_DEP_1)
	v_add_nc_u32_e32 v0, v7, v0
	v_lshrrev_b32_e32 v0, s10, v0
	s_delay_alu instid0(VALU_DEP_1) | instskip(NEXT) | instid1(VALU_DEP_1)
	v_mul_lo_u32 v0, v0, s8
	v_sub_nc_u32_e32 v0, v7, v0
	s_delay_alu instid0(VALU_DEP_1) | instskip(NEXT) | instid1(VALU_DEP_1)
	v_mad_u64_u32 v[7:8], null, v0, s21, v[1:2]
	v_mov_b32_e32 v1, v7
.LBB128_63:                             ;   in Loop: Header=BB128_9 Depth=1
	v_cvt_f32_u32_e32 v0, v2
	s_delay_alu instid0(VALU_DEP_1) | instskip(NEXT) | instid1(VALU_DEP_1)
	v_fmaak_f32 v0, 0x2f800000, v0, 0x2f800000
	v_cmp_lt_f32_e32 vcc_lo, v0, v38
	v_cndmask_b32_e64 v0, 0, 1, vcc_lo
	global_store_b8 v1, v0, s[12:13]
.LBB128_64:                             ;   in Loop: Header=BB128_9 Depth=1
	s_or_b32 exec_lo, exec_lo, s35
	v_add_co_u32 v0, vcc_lo, v13, s33
	v_add_co_ci_u32_e32 v1, vcc_lo, 0, v14, vcc_lo
	s_mov_b32 s35, exec_lo
	s_delay_alu instid0(VALU_DEP_1)
	v_cmpx_gt_i64_e64 s[16:17], v[0:1]
	s_cbranch_execz .LBB128_8
; %bb.65:                               ;   in Loop: Header=BB128_9 Depth=1
	s_and_not1_b32 vcc_lo, exec_lo, s11
	s_cbranch_vccnz .LBB128_71
; %bb.66:                               ;   in Loop: Header=BB128_9 Depth=1
	v_mov_b32_e32 v1, 0
	s_and_not1_b32 vcc_lo, exec_lo, s27
	s_cbranch_vccnz .LBB128_75
; %bb.67:                               ;   in Loop: Header=BB128_9 Depth=1
	s_and_not1_b32 vcc_lo, exec_lo, s30
	s_mov_b32 s14, 0
	s_cbranch_vccnz .LBB128_72
; %bb.68:                               ;   in Loop: Header=BB128_9 Depth=1
	v_dual_mov_b32 v1, 0 :: v_dual_mov_b32 v2, v0
	s_mov_b32 s36, 0
	s_mov_b64 s[14:15], s[18:19]
	s_mov_b64 s[22:23], s[0:1]
.LBB128_69:                             ;   Parent Loop BB128_9 Depth=1
                                        ; =>  This Inner Loop Header: Depth=2
	s_clause 0x1
	s_load_b256 s[40:47], s[14:15], 0x4
	s_load_b128 s[48:51], s[14:15], 0x24
	s_load_b128 s[52:55], s[22:23], 0x0
	s_add_u32 s14, s14, 48
	s_addc_u32 s15, s15, 0
	s_add_i32 s36, s36, 4
	s_add_u32 s22, s22, 16
	s_addc_u32 s23, s23, 0
	s_cmp_eq_u32 s31, s36
	s_waitcnt lgkmcnt(0)
	v_mul_hi_u32 v7, s41, v2
	s_delay_alu instid0(VALU_DEP_1) | instskip(NEXT) | instid1(VALU_DEP_1)
	v_add_nc_u32_e32 v7, v2, v7
	v_lshrrev_b32_e32 v7, s42, v7
	s_delay_alu instid0(VALU_DEP_1) | instskip(SKIP_1) | instid1(VALU_DEP_2)
	v_mul_hi_u32 v8, s44, v7
	v_mul_lo_u32 v16, v7, s40
	v_add_nc_u32_e32 v8, v7, v8
	s_delay_alu instid0(VALU_DEP_2) | instskip(NEXT) | instid1(VALU_DEP_2)
	v_sub_nc_u32_e32 v16, v2, v16
	v_lshrrev_b32_e32 v8, s45, v8
	s_delay_alu instid0(VALU_DEP_2) | instskip(NEXT) | instid1(VALU_DEP_2)
	v_mul_lo_u32 v16, v16, s52
	v_mul_hi_u32 v9, s47, v8
	v_mul_lo_u32 v41, v8, s43
	s_delay_alu instid0(VALU_DEP_2) | instskip(NEXT) | instid1(VALU_DEP_2)
	v_add_nc_u32_e32 v9, v8, v9
	v_sub_nc_u32_e32 v7, v7, v41
	s_delay_alu instid0(VALU_DEP_2) | instskip(NEXT) | instid1(VALU_DEP_2)
	v_lshrrev_b32_e32 v9, s48, v9
	v_mul_lo_u32 v7, v7, s53
	s_delay_alu instid0(VALU_DEP_2) | instskip(NEXT) | instid1(VALU_DEP_2)
	v_mul_hi_u32 v10, s50, v9
	v_add3_u32 v1, v16, v1, v7
	s_delay_alu instid0(VALU_DEP_2) | instskip(NEXT) | instid1(VALU_DEP_1)
	v_add_nc_u32_e32 v10, v9, v10
	v_lshrrev_b32_e32 v2, s51, v10
	v_mul_lo_u32 v10, v9, s46
	s_delay_alu instid0(VALU_DEP_2) | instskip(NEXT) | instid1(VALU_DEP_2)
	v_mul_lo_u32 v42, v2, s49
	v_sub_nc_u32_e32 v8, v8, v10
	s_delay_alu instid0(VALU_DEP_2) | instskip(NEXT) | instid1(VALU_DEP_2)
	v_sub_nc_u32_e32 v9, v9, v42
	v_mul_lo_u32 v8, v8, s54
	s_delay_alu instid0(VALU_DEP_2) | instskip(NEXT) | instid1(VALU_DEP_1)
	v_mul_lo_u32 v9, v9, s55
	v_add3_u32 v1, v8, v1, v9
	s_cbranch_scc0 .LBB128_69
; %bb.70:                               ;   in Loop: Header=BB128_9 Depth=1
	s_mov_b32 s14, s31
	s_and_not1_b32 vcc_lo, exec_lo, s34
	s_cbranch_vccz .LBB128_73
	s_branch .LBB128_75
.LBB128_71:                             ;   in Loop: Header=BB128_9 Depth=1
                                        ; implicit-def: $vgpr1
	s_branch .LBB128_76
.LBB128_72:                             ;   in Loop: Header=BB128_9 Depth=1
	v_mov_b32_e32 v2, v0
	s_and_not1_b32 vcc_lo, exec_lo, s34
	s_cbranch_vccnz .LBB128_75
.LBB128_73:                             ;   in Loop: Header=BB128_9 Depth=1
	s_lshl_b32 s15, s14, 2
	s_mul_i32 s22, s14, 12
	s_add_u32 s14, s0, s15
	s_addc_u32 s15, s1, 0
	s_add_u32 s22, s18, s22
	s_addc_u32 s23, s19, 0
	s_mov_b32 s36, s29
	.p2align	6
.LBB128_74:                             ;   Parent Loop BB128_9 Depth=1
                                        ; =>  This Inner Loop Header: Depth=2
	s_clause 0x1
	s_load_b64 s[38:39], s[22:23], 0x4
	s_load_b32 s37, s[22:23], 0xc
	s_add_u32 s22, s22, 12
	s_addc_u32 s23, s23, 0
	s_waitcnt lgkmcnt(0)
	v_mul_hi_u32 v7, s39, v2
	s_load_b32 s39, s[14:15], 0x0
	s_add_u32 s14, s14, 4
	s_addc_u32 s15, s15, 0
	s_add_i32 s36, s36, -1
	s_delay_alu instid0(SALU_CYCLE_1) | instskip(NEXT) | instid1(VALU_DEP_1)
	s_cmp_lg_u32 s36, 0
	v_add_nc_u32_e32 v7, v2, v7
	s_delay_alu instid0(VALU_DEP_1) | instskip(NEXT) | instid1(VALU_DEP_1)
	v_lshrrev_b32_e32 v9, s37, v7
	v_mul_lo_u32 v7, v9, s38
	s_delay_alu instid0(VALU_DEP_1) | instskip(SKIP_1) | instid1(VALU_DEP_1)
	v_sub_nc_u32_e32 v2, v2, v7
	s_waitcnt lgkmcnt(0)
	v_mad_u64_u32 v[7:8], null, v2, s39, v[1:2]
	s_delay_alu instid0(VALU_DEP_1)
	v_dual_mov_b32 v2, v9 :: v_dual_mov_b32 v1, v7
	s_cbranch_scc1 .LBB128_74
.LBB128_75:                             ;   in Loop: Header=BB128_9 Depth=1
	s_cbranch_execnz .LBB128_7
.LBB128_76:                             ;   in Loop: Header=BB128_9 Depth=1
	v_mul_hi_u32 v1, v0, s6
	s_and_not1_b32 vcc_lo, exec_lo, s4
	s_delay_alu instid0(VALU_DEP_1) | instskip(NEXT) | instid1(VALU_DEP_1)
	v_add_nc_u32_e32 v1, v1, v0
	v_lshrrev_b32_e32 v2, s7, v1
	s_delay_alu instid0(VALU_DEP_1) | instskip(NEXT) | instid1(VALU_DEP_1)
	v_mul_lo_u32 v1, v2, s5
	v_sub_nc_u32_e32 v0, v0, v1
	s_delay_alu instid0(VALU_DEP_1)
	v_mul_lo_u32 v1, v0, s20
	s_cbranch_vccnz .LBB128_7
; %bb.77:                               ;   in Loop: Header=BB128_9 Depth=1
	v_mul_hi_u32 v0, s9, v2
	s_delay_alu instid0(VALU_DEP_1) | instskip(NEXT) | instid1(VALU_DEP_1)
	v_add_nc_u32_e32 v0, v2, v0
	v_lshrrev_b32_e32 v0, s10, v0
	s_delay_alu instid0(VALU_DEP_1) | instskip(NEXT) | instid1(VALU_DEP_1)
	v_mul_lo_u32 v0, v0, s8
	v_sub_nc_u32_e32 v0, v2, v0
	s_delay_alu instid0(VALU_DEP_1) | instskip(NEXT) | instid1(VALU_DEP_1)
	v_mad_u64_u32 v[7:8], null, v0, s21, v[1:2]
	v_mov_b32_e32 v1, v7
	s_branch .LBB128_7
.LBB128_78:
	s_endpgm
.LBB128_79:
                                        ; implicit-def: $sgpr2_sgpr3
	s_branch .LBB128_4
	.section	.rodata,"a",@progbits
	.p2align	6, 0x0
	.amdhsa_kernel _ZN2at6native12_GLOBAL__N_143distribution_elementwise_grid_stride_kernelIfLi4EZNS0_9templates4cuda21uniform_and_transformIafPNS_17CUDAGeneratorImplEZZZNS4_16bernoulli_kernelIS7_EEvRNS_18TensorIteratorBaseEdT_ENKUlvE_clEvENKUlvE0_clEvEUlfE_EEvSA_T1_T2_EUlP25hiprandStatePhilox4_32_10E0_ZNS1_27distribution_nullary_kernelIaf15HIP_vector_typeIfLj4EES7_SJ_SE_EEvSA_SG_RKT3_T4_EUlifE0_EEvlNS_15PhiloxCudaStateESF_SG_
		.amdhsa_group_segment_fixed_size 0
		.amdhsa_private_segment_fixed_size 0
		.amdhsa_kernarg_size 584
		.amdhsa_user_sgpr_count 15
		.amdhsa_user_sgpr_dispatch_ptr 0
		.amdhsa_user_sgpr_queue_ptr 0
		.amdhsa_user_sgpr_kernarg_segment_ptr 1
		.amdhsa_user_sgpr_dispatch_id 0
		.amdhsa_user_sgpr_private_segment_size 0
		.amdhsa_wavefront_size32 1
		.amdhsa_uses_dynamic_stack 0
		.amdhsa_enable_private_segment 0
		.amdhsa_system_sgpr_workgroup_id_x 1
		.amdhsa_system_sgpr_workgroup_id_y 0
		.amdhsa_system_sgpr_workgroup_id_z 0
		.amdhsa_system_sgpr_workgroup_info 0
		.amdhsa_system_vgpr_workitem_id 0
		.amdhsa_next_free_vgpr 45
		.amdhsa_next_free_sgpr 56
		.amdhsa_reserve_vcc 1
		.amdhsa_float_round_mode_32 0
		.amdhsa_float_round_mode_16_64 0
		.amdhsa_float_denorm_mode_32 3
		.amdhsa_float_denorm_mode_16_64 3
		.amdhsa_dx10_clamp 1
		.amdhsa_ieee_mode 1
		.amdhsa_fp16_overflow 0
		.amdhsa_workgroup_processor_mode 1
		.amdhsa_memory_ordered 1
		.amdhsa_forward_progress 0
		.amdhsa_shared_vgpr_count 0
		.amdhsa_exception_fp_ieee_invalid_op 0
		.amdhsa_exception_fp_denorm_src 0
		.amdhsa_exception_fp_ieee_div_zero 0
		.amdhsa_exception_fp_ieee_overflow 0
		.amdhsa_exception_fp_ieee_underflow 0
		.amdhsa_exception_fp_ieee_inexact 0
		.amdhsa_exception_int_div_zero 0
	.end_amdhsa_kernel
	.section	.text._ZN2at6native12_GLOBAL__N_143distribution_elementwise_grid_stride_kernelIfLi4EZNS0_9templates4cuda21uniform_and_transformIafPNS_17CUDAGeneratorImplEZZZNS4_16bernoulli_kernelIS7_EEvRNS_18TensorIteratorBaseEdT_ENKUlvE_clEvENKUlvE0_clEvEUlfE_EEvSA_T1_T2_EUlP25hiprandStatePhilox4_32_10E0_ZNS1_27distribution_nullary_kernelIaf15HIP_vector_typeIfLj4EES7_SJ_SE_EEvSA_SG_RKT3_T4_EUlifE0_EEvlNS_15PhiloxCudaStateESF_SG_,"axG",@progbits,_ZN2at6native12_GLOBAL__N_143distribution_elementwise_grid_stride_kernelIfLi4EZNS0_9templates4cuda21uniform_and_transformIafPNS_17CUDAGeneratorImplEZZZNS4_16bernoulli_kernelIS7_EEvRNS_18TensorIteratorBaseEdT_ENKUlvE_clEvENKUlvE0_clEvEUlfE_EEvSA_T1_T2_EUlP25hiprandStatePhilox4_32_10E0_ZNS1_27distribution_nullary_kernelIaf15HIP_vector_typeIfLj4EES7_SJ_SE_EEvSA_SG_RKT3_T4_EUlifE0_EEvlNS_15PhiloxCudaStateESF_SG_,comdat
.Lfunc_end128:
	.size	_ZN2at6native12_GLOBAL__N_143distribution_elementwise_grid_stride_kernelIfLi4EZNS0_9templates4cuda21uniform_and_transformIafPNS_17CUDAGeneratorImplEZZZNS4_16bernoulli_kernelIS7_EEvRNS_18TensorIteratorBaseEdT_ENKUlvE_clEvENKUlvE0_clEvEUlfE_EEvSA_T1_T2_EUlP25hiprandStatePhilox4_32_10E0_ZNS1_27distribution_nullary_kernelIaf15HIP_vector_typeIfLj4EES7_SJ_SE_EEvSA_SG_RKT3_T4_EUlifE0_EEvlNS_15PhiloxCudaStateESF_SG_, .Lfunc_end128-_ZN2at6native12_GLOBAL__N_143distribution_elementwise_grid_stride_kernelIfLi4EZNS0_9templates4cuda21uniform_and_transformIafPNS_17CUDAGeneratorImplEZZZNS4_16bernoulli_kernelIS7_EEvRNS_18TensorIteratorBaseEdT_ENKUlvE_clEvENKUlvE0_clEvEUlfE_EEvSA_T1_T2_EUlP25hiprandStatePhilox4_32_10E0_ZNS1_27distribution_nullary_kernelIaf15HIP_vector_typeIfLj4EES7_SJ_SE_EEvSA_SG_RKT3_T4_EUlifE0_EEvlNS_15PhiloxCudaStateESF_SG_
                                        ; -- End function
	.section	.AMDGPU.csdata,"",@progbits
; Kernel info:
; codeLenInByte = 5256
; NumSgprs: 58
; NumVgprs: 45
; ScratchSize: 0
; MemoryBound: 0
; FloatMode: 240
; IeeeMode: 1
; LDSByteSize: 0 bytes/workgroup (compile time only)
; SGPRBlocks: 7
; VGPRBlocks: 5
; NumSGPRsForWavesPerEU: 58
; NumVGPRsForWavesPerEU: 45
; Occupancy: 16
; WaveLimiterHint : 1
; COMPUTE_PGM_RSRC2:SCRATCH_EN: 0
; COMPUTE_PGM_RSRC2:USER_SGPR: 15
; COMPUTE_PGM_RSRC2:TRAP_HANDLER: 0
; COMPUTE_PGM_RSRC2:TGID_X_EN: 1
; COMPUTE_PGM_RSRC2:TGID_Y_EN: 0
; COMPUTE_PGM_RSRC2:TGID_Z_EN: 0
; COMPUTE_PGM_RSRC2:TIDIG_COMP_CNT: 0
	.section	.text._ZN2at6native12_GLOBAL__N_143distribution_elementwise_grid_stride_kernelIfLi4EZNS0_9templates4cuda21uniform_and_transformIifPNS_17CUDAGeneratorImplEZZZNS4_16bernoulli_kernelIS7_EEvRNS_18TensorIteratorBaseEdT_ENKUlvE_clEvENKUlvE1_clEvEUlfE_EEvSA_T1_T2_EUlP25hiprandStatePhilox4_32_10E_ZNS1_27distribution_nullary_kernelIif15HIP_vector_typeIdLj2EES7_SJ_SE_EEvSA_SG_RKT3_T4_EUlifE_EEvlNS_15PhiloxCudaStateESF_SG_,"axG",@progbits,_ZN2at6native12_GLOBAL__N_143distribution_elementwise_grid_stride_kernelIfLi4EZNS0_9templates4cuda21uniform_and_transformIifPNS_17CUDAGeneratorImplEZZZNS4_16bernoulli_kernelIS7_EEvRNS_18TensorIteratorBaseEdT_ENKUlvE_clEvENKUlvE1_clEvEUlfE_EEvSA_T1_T2_EUlP25hiprandStatePhilox4_32_10E_ZNS1_27distribution_nullary_kernelIif15HIP_vector_typeIdLj2EES7_SJ_SE_EEvSA_SG_RKT3_T4_EUlifE_EEvlNS_15PhiloxCudaStateESF_SG_,comdat
	.globl	_ZN2at6native12_GLOBAL__N_143distribution_elementwise_grid_stride_kernelIfLi4EZNS0_9templates4cuda21uniform_and_transformIifPNS_17CUDAGeneratorImplEZZZNS4_16bernoulli_kernelIS7_EEvRNS_18TensorIteratorBaseEdT_ENKUlvE_clEvENKUlvE1_clEvEUlfE_EEvSA_T1_T2_EUlP25hiprandStatePhilox4_32_10E_ZNS1_27distribution_nullary_kernelIif15HIP_vector_typeIdLj2EES7_SJ_SE_EEvSA_SG_RKT3_T4_EUlifE_EEvlNS_15PhiloxCudaStateESF_SG_ ; -- Begin function _ZN2at6native12_GLOBAL__N_143distribution_elementwise_grid_stride_kernelIfLi4EZNS0_9templates4cuda21uniform_and_transformIifPNS_17CUDAGeneratorImplEZZZNS4_16bernoulli_kernelIS7_EEvRNS_18TensorIteratorBaseEdT_ENKUlvE_clEvENKUlvE1_clEvEUlfE_EEvSA_T1_T2_EUlP25hiprandStatePhilox4_32_10E_ZNS1_27distribution_nullary_kernelIif15HIP_vector_typeIdLj2EES7_SJ_SE_EEvSA_SG_RKT3_T4_EUlifE_EEvlNS_15PhiloxCudaStateESF_SG_
	.p2align	8
	.type	_ZN2at6native12_GLOBAL__N_143distribution_elementwise_grid_stride_kernelIfLi4EZNS0_9templates4cuda21uniform_and_transformIifPNS_17CUDAGeneratorImplEZZZNS4_16bernoulli_kernelIS7_EEvRNS_18TensorIteratorBaseEdT_ENKUlvE_clEvENKUlvE1_clEvEUlfE_EEvSA_T1_T2_EUlP25hiprandStatePhilox4_32_10E_ZNS1_27distribution_nullary_kernelIif15HIP_vector_typeIdLj2EES7_SJ_SE_EEvSA_SG_RKT3_T4_EUlifE_EEvlNS_15PhiloxCudaStateESF_SG_,@function
_ZN2at6native12_GLOBAL__N_143distribution_elementwise_grid_stride_kernelIfLi4EZNS0_9templates4cuda21uniform_and_transformIifPNS_17CUDAGeneratorImplEZZZNS4_16bernoulli_kernelIS7_EEvRNS_18TensorIteratorBaseEdT_ENKUlvE_clEvENKUlvE1_clEvEUlfE_EEvSA_T1_T2_EUlP25hiprandStatePhilox4_32_10E_ZNS1_27distribution_nullary_kernelIif15HIP_vector_typeIdLj2EES7_SJ_SE_EEvSA_SG_RKT3_T4_EUlifE_EEvlNS_15PhiloxCudaStateESF_SG_: ; @_ZN2at6native12_GLOBAL__N_143distribution_elementwise_grid_stride_kernelIfLi4EZNS0_9templates4cuda21uniform_and_transformIifPNS_17CUDAGeneratorImplEZZZNS4_16bernoulli_kernelIS7_EEvRNS_18TensorIteratorBaseEdT_ENKUlvE_clEvENKUlvE1_clEvEUlfE_EEvSA_T1_T2_EUlP25hiprandStatePhilox4_32_10E_ZNS1_27distribution_nullary_kernelIif15HIP_vector_typeIdLj2EES7_SJ_SE_EEvSA_SG_RKT3_T4_EUlifE_EEvlNS_15PhiloxCudaStateESF_SG_
; %bb.0:
	s_clause 0x2
	s_load_b64 s[8:9], s[0:1], 0x10
	s_load_b128 s[4:7], s[0:1], 0x0
	s_load_b32 s2, s[0:1], 0x20
	s_waitcnt lgkmcnt(0)
	v_dual_mov_b32 v2, s8 :: v_dual_mov_b32 v3, s9
	v_dual_mov_b32 v12, s7 :: v_dual_mov_b32 v11, s6
	s_bitcmp0_b32 s2, 0
	s_mov_b32 s2, 0
	s_cbranch_scc1 .LBB129_2
; %bb.1:
	v_dual_mov_b32 v1, s8 :: v_dual_mov_b32 v2, s9
	v_dual_mov_b32 v4, s6 :: v_dual_mov_b32 v5, s7
	s_load_b64 s[6:7], s[0:1], 0x18
	flat_load_b64 v[2:3], v[1:2]
	flat_load_b64 v[11:12], v[4:5]
	s_waitcnt vmcnt(1) lgkmcnt(0)
	v_add_co_u32 v2, vcc_lo, v2, s6
	v_add_co_ci_u32_e32 v3, vcc_lo, s7, v3, vcc_lo
.LBB129_2:
	s_clause 0x1
	s_load_b32 s3, s[0:1], 0x54
	s_load_b32 s11, s[0:1], 0x48
	s_waitcnt lgkmcnt(0)
	s_and_b32 s10, s3, 0xffff
	s_add_u32 s6, s4, -1
	s_mul_i32 s8, s11, s10
	s_addc_u32 s3, s5, -1
	s_lshl_b32 s9, s8, 2
	s_cmp_lg_u64 s[2:3], 0
	s_cbranch_scc0 .LBB129_23
; %bb.3:
	v_cvt_f32_ubyte0_e32 v1, 0
	v_cvt_f32_u32_e32 v4, s9
	s_sub_u32 s12, 0, s9
	s_subb_u32 s13, 0, 0
	s_delay_alu instid0(VALU_DEP_1) | instskip(NEXT) | instid1(VALU_DEP_1)
	v_fmamk_f32 v1, v1, 0x4f800000, v4
	v_rcp_f32_e32 v1, v1
	s_waitcnt_depctr 0xfff
	v_mul_f32_e32 v1, 0x5f7ffffc, v1
	s_delay_alu instid0(VALU_DEP_1) | instskip(NEXT) | instid1(VALU_DEP_1)
	v_mul_f32_e32 v4, 0x2f800000, v1
	v_trunc_f32_e32 v4, v4
	s_delay_alu instid0(VALU_DEP_1) | instskip(SKIP_1) | instid1(VALU_DEP_2)
	v_fmamk_f32 v1, v4, 0xcf800000, v1
	v_cvt_u32_f32_e32 v4, v4
	v_cvt_u32_f32_e32 v1, v1
	s_delay_alu instid0(VALU_DEP_2) | instskip(NEXT) | instid1(VALU_DEP_2)
	v_readfirstlane_b32 s2, v4
	v_readfirstlane_b32 s7, v1
	s_delay_alu instid0(VALU_DEP_2) | instskip(NEXT) | instid1(VALU_DEP_1)
	s_mul_i32 s14, s12, s2
	s_mul_hi_u32 s17, s12, s7
	s_mul_i32 s16, s13, s7
	s_add_i32 s14, s17, s14
	s_mul_i32 s18, s12, s7
	s_add_i32 s14, s14, s16
	s_mul_hi_u32 s17, s7, s18
	s_mul_hi_u32 s19, s2, s18
	s_mul_i32 s16, s2, s18
	s_mul_hi_u32 s18, s7, s14
	s_mul_i32 s7, s7, s14
	s_mul_hi_u32 s20, s2, s14
	s_add_u32 s7, s17, s7
	s_addc_u32 s17, 0, s18
	s_add_u32 s7, s7, s16
	s_mul_i32 s14, s2, s14
	s_addc_u32 s7, s17, s19
	s_addc_u32 s16, s20, 0
	s_add_u32 s7, s7, s14
	s_addc_u32 s14, 0, s16
	v_add_co_u32 v1, s7, v1, s7
	s_delay_alu instid0(VALU_DEP_1) | instskip(SKIP_1) | instid1(VALU_DEP_1)
	s_cmp_lg_u32 s7, 0
	s_addc_u32 s2, s2, s14
	v_readfirstlane_b32 s7, v1
	s_mul_i32 s14, s12, s2
	s_delay_alu instid0(VALU_DEP_1)
	s_mul_hi_u32 s16, s12, s7
	s_mul_i32 s13, s13, s7
	s_add_i32 s14, s16, s14
	s_mul_i32 s12, s12, s7
	s_add_i32 s14, s14, s13
	s_mul_hi_u32 s16, s2, s12
	s_mul_i32 s17, s2, s12
	s_mul_hi_u32 s12, s7, s12
	s_mul_hi_u32 s18, s7, s14
	s_mul_i32 s7, s7, s14
	s_mul_hi_u32 s13, s2, s14
	s_add_u32 s7, s12, s7
	s_addc_u32 s12, 0, s18
	s_add_u32 s7, s7, s17
	s_mul_i32 s14, s2, s14
	s_addc_u32 s7, s12, s16
	s_addc_u32 s12, s13, 0
	s_add_u32 s7, s7, s14
	s_addc_u32 s12, 0, s12
	v_add_co_u32 v1, s7, v1, s7
	s_delay_alu instid0(VALU_DEP_1) | instskip(SKIP_2) | instid1(VALU_DEP_1)
	s_cmp_lg_u32 s7, 0
	s_addc_u32 s7, s2, s12
	s_ashr_i32 s12, s3, 31
	v_readfirstlane_b32 s14, v1
	s_add_u32 s2, s6, s12
	s_mov_b32 s13, s12
	s_addc_u32 s3, s3, s12
	s_delay_alu instid0(SALU_CYCLE_1) | instskip(NEXT) | instid1(SALU_CYCLE_1)
	s_xor_b64 s[2:3], s[2:3], s[12:13]
	s_mul_i32 s17, s2, s7
	s_mul_hi_u32 s18, s2, s14
	s_mul_hi_u32 s16, s2, s7
	s_mul_hi_u32 s20, s3, s14
	s_mul_i32 s14, s3, s14
	s_add_u32 s17, s18, s17
	s_addc_u32 s16, 0, s16
	s_mul_hi_u32 s19, s3, s7
	s_add_u32 s14, s17, s14
	s_mul_i32 s7, s3, s7
	s_addc_u32 s14, s16, s20
	s_addc_u32 s16, s19, 0
	s_add_u32 s7, s14, s7
	s_addc_u32 s14, 0, s16
	s_mul_i32 s17, s9, s7
	s_add_u32 s16, s7, 1
	v_sub_co_u32 v1, s2, s2, s17
	s_mul_hi_u32 s17, s9, s7
	s_addc_u32 s18, s14, 0
	s_mul_i32 s19, s9, s14
	s_delay_alu instid0(VALU_DEP_1)
	v_sub_co_u32 v4, s20, v1, s9
	s_add_u32 s21, s7, 2
	s_addc_u32 s22, s14, 0
	s_add_i32 s17, s17, s19
	s_cmp_lg_u32 s2, 0
	v_readfirstlane_b32 s2, v4
	s_subb_u32 s3, s3, s17
	s_cmp_lg_u32 s20, 0
	s_subb_u32 s17, s3, 0
	s_delay_alu instid0(VALU_DEP_1) | instskip(SKIP_4) | instid1(SALU_CYCLE_1)
	s_cmp_ge_u32 s2, s9
	s_cselect_b32 s2, -1, 0
	s_cmp_eq_u32 s17, 0
	v_readfirstlane_b32 s17, v1
	s_cselect_b32 s2, s2, -1
	s_cmp_lg_u32 s2, 0
	s_cselect_b32 s2, s21, s16
	s_cselect_b32 s16, s22, s18
	s_cmp_ge_u32 s17, s9
	s_cselect_b32 s17, -1, 0
	s_cmp_eq_u32 s3, 0
	s_cselect_b32 s3, s17, -1
	s_delay_alu instid0(SALU_CYCLE_1) | instskip(SKIP_2) | instid1(SALU_CYCLE_1)
	s_cmp_lg_u32 s3, 0
	s_cselect_b32 s3, s16, s14
	s_cselect_b32 s2, s2, s7
	s_xor_b64 s[2:3], s[2:3], s[12:13]
	s_delay_alu instid0(SALU_CYCLE_1)
	s_sub_u32 s2, s2, s12
	s_subb_u32 s3, s3, s12
	s_cbranch_execnz .LBB129_5
.LBB129_4:
	v_cvt_f32_u32_e32 v1, s9
	s_sub_i32 s3, 0, s9
	s_delay_alu instid0(VALU_DEP_1) | instskip(SKIP_2) | instid1(VALU_DEP_1)
	v_rcp_iflag_f32_e32 v1, v1
	s_waitcnt_depctr 0xfff
	v_mul_f32_e32 v1, 0x4f7ffffe, v1
	v_cvt_u32_f32_e32 v1, v1
	s_delay_alu instid0(VALU_DEP_1) | instskip(NEXT) | instid1(VALU_DEP_1)
	v_readfirstlane_b32 s2, v1
	s_mul_i32 s3, s3, s2
	s_delay_alu instid0(SALU_CYCLE_1) | instskip(NEXT) | instid1(SALU_CYCLE_1)
	s_mul_hi_u32 s3, s2, s3
	s_add_i32 s2, s2, s3
	s_delay_alu instid0(SALU_CYCLE_1) | instskip(NEXT) | instid1(SALU_CYCLE_1)
	s_mul_hi_u32 s2, s6, s2
	s_mul_i32 s3, s2, s9
	s_delay_alu instid0(SALU_CYCLE_1)
	s_sub_i32 s3, s6, s3
	s_add_i32 s6, s2, 1
	s_sub_i32 s7, s3, s9
	s_cmp_ge_u32 s3, s9
	s_cselect_b32 s2, s6, s2
	s_cselect_b32 s3, s7, s3
	s_add_i32 s6, s2, 1
	s_cmp_ge_u32 s3, s9
	s_mov_b32 s3, 0
	s_cselect_b32 s2, s6, s2
.LBB129_5:
	v_mov_b32_e32 v1, 0
	s_add_u32 s2, s2, 1
	s_addc_u32 s3, s3, 0
	s_mul_hi_u32 s6, s8, s2
	s_mul_i32 s3, s8, s3
	v_mad_u64_u32 v[13:14], null, s10, s15, v[0:1]
	s_mul_hi_u32 s7, s11, s10
	s_add_i32 s3, s6, s3
	s_mul_i32 s7, s7, s2
	s_mul_i32 s2, s8, s2
	s_add_i32 s3, s3, s7
	s_mov_b32 s6, exec_lo
	s_lshl_b64 s[2:3], s[2:3], 2
	s_delay_alu instid0(SALU_CYCLE_1)
	v_cmpx_gt_i64_e64 s[2:3], v[13:14]
	s_cbranch_execz .LBB129_22
; %bb.6:
	v_alignbit_b32 v17, v3, v2, 2
	v_mad_u64_u32 v[6:7], null, 0xcd9e8d57, v13, 0
	v_lshrrev_b32_e32 v18, 2, v3
	s_waitcnt vmcnt(0)
	v_dual_mov_b32 v15, v12 :: v_dual_and_b32 v34, 3, v2
	v_mad_u64_u32 v[4:5], null, 0xd2511f53, v17, 0
	v_add_co_u32 v20, null, 0x9e3779b9, v11
	v_xor3_b32 v3, v11, v7, v18
	s_delay_alu instid0(VALU_DEP_4) | instskip(SKIP_2) | instid1(VALU_DEP_4)
	v_add_co_u32 v19, null, 0xbb67ae85, v15
	v_add_co_u32 v21, null, 0x3c6ef372, v11
	v_xor_b32_e32 v1, v5, v12
	v_mad_u64_u32 v[7:8], null, 0xd2511f53, v3, 0
	v_add_co_u32 v22, null, 0x76cf5d0a, v15
	s_delay_alu instid0(VALU_DEP_3) | instskip(SKIP_2) | instid1(VALU_DEP_3)
	v_xor_b32_e32 v1, v1, v14
	v_add_co_u32 v23, null, 0x32370b8f, v15
	v_add_co_u32 v24, null, 0xdaa66d2b, v11
	v_mad_u64_u32 v[9:10], null, 0xcd9e8d57, v1, 0
	v_xor3_b32 v1, v19, v8, v4
	v_add_co_u32 v25, null, 0x78dde6e4, v11
	v_add_co_u32 v26, null, 0xed9eba14, v15
	s_delay_alu instid0(VALU_DEP_3) | instskip(SKIP_3) | instid1(VALU_DEP_3)
	v_mad_u64_u32 v[3:4], null, 0xcd9e8d57, v1, 0
	v_xor3_b32 v8, v20, v10, v6
	v_add_co_u32 v27, null, 0xa9066899, v15
	v_add_co_u32 v28, null, 0x1715609d, v11
	v_mad_u64_u32 v[5:6], null, 0xd2511f53, v8, 0
	v_xor3_b32 v1, v21, v4, v9
	s_load_b64 s[12:13], s[0:1], 0x40
	v_add_co_u32 v29, null, 0xb54cda56, v11
	v_add_co_u32 v30, null, 0x646e171e, v15
	s_delay_alu instid0(VALU_DEP_4) | instskip(SKIP_2) | instid1(VALU_DEP_3)
	v_xor3_b32 v4, v22, v6, v7
	v_mad_u64_u32 v[6:7], null, 0xd2511f53, v1, 0
	v_add_co_u32 v31, null, 0x1fd5c5a3, v15
	v_mad_u64_u32 v[8:9], null, 0xcd9e8d57, v4, 0
	v_add_co_u32 v32, null, 0x5384540f, v11
	s_delay_alu instid0(VALU_DEP_4) | instskip(SKIP_4) | instid1(VALU_DEP_4)
	v_xor3_b32 v1, v23, v7, v5
	s_clause 0x1
	s_load_b64 s[6:7], s[0:1], 0x30
	s_load_b32 s0, s[0:1], 0x38
	v_add_co_u32 v36, null, 0xf1bbcdc8, v11
	v_xor3_b32 v5, v24, v9, v3
	v_mad_u64_u32 v[3:4], null, 0xcd9e8d57, v1, 0
	s_waitcnt lgkmcnt(0)
	v_cvt_f32_f64_e32 v33, s[12:13]
	v_add_co_u32 v37, null, 0xdb3d7428, v15
	v_mad_u64_u32 v[9:10], null, 0xd2511f53, v5, 0
	v_dual_mov_b32 v42, v14 :: v_dual_add_nc_u32 v35, 0x8ff34781, v11
	v_xor3_b32 v1, v25, v4, v8
	v_dual_mov_b32 v39, v13 :: v_dual_add_nc_u32 v38, 0x96a522ad, v12
	s_delay_alu instid0(VALU_DEP_4) | instskip(NEXT) | instid1(VALU_DEP_3)
	v_xor3_b32 v8, v26, v10, v6
	v_mad_u64_u32 v[4:5], null, 0xd2511f53, v1, 0
	s_mul_i32 s1, s11, s0
	s_delay_alu instid0(VALU_DEP_2) | instskip(SKIP_1) | instid1(VALU_DEP_2)
	v_mad_u64_u32 v[6:7], null, 0xcd9e8d57, v8, 0
	s_mul_i32 s1, s1, s10
	v_xor3_b32 v1, v27, v5, v9
	s_lshl_b32 s1, s1, 2
	s_delay_alu instid0(VALU_DEP_2) | instskip(NEXT) | instid1(VALU_DEP_2)
	v_xor3_b32 v3, v28, v7, v3
	v_mad_u64_u32 v[7:8], null, 0xcd9e8d57, v1, 0
	s_delay_alu instid0(VALU_DEP_2) | instskip(NEXT) | instid1(VALU_DEP_2)
	v_mad_u64_u32 v[9:10], null, 0xd2511f53, v3, 0
	v_xor3_b32 v1, v29, v8, v6
	s_delay_alu instid0(VALU_DEP_2) | instskip(NEXT) | instid1(VALU_DEP_2)
	v_xor3_b32 v8, v30, v10, v4
	v_mad_u64_u32 v[3:4], null, 0xd2511f53, v1, 0
	s_delay_alu instid0(VALU_DEP_2) | instskip(NEXT) | instid1(VALU_DEP_2)
	v_mad_u64_u32 v[5:6], null, 0xcd9e8d57, v8, 0
	v_xor3_b32 v1, v31, v4, v9
	s_delay_alu instid0(VALU_DEP_2) | instskip(NEXT) | instid1(VALU_DEP_2)
	v_xor3_b32 v2, v32, v6, v7
	v_mad_u64_u32 v[6:7], null, 0xcd9e8d57, v1, 0
	v_mad_u64_u32 v[15:16], null, s15, s10, v[0:1]
	s_delay_alu instid0(VALU_DEP_3) | instskip(SKIP_1) | instid1(VALU_DEP_3)
	v_mad_u64_u32 v[8:9], null, 0xd2511f53, v2, 0
	s_add_i32 s15, s15, s11
	v_xor3_b32 v1, v36, v7, v5
	s_delay_alu instid0(VALU_DEP_3) | instskip(NEXT) | instid1(VALU_DEP_3)
	v_mul_lo_u32 v40, s0, v15
	v_xor3_b32 v7, v37, v9, v3
	s_delay_alu instid0(VALU_DEP_3) | instskip(SKIP_1) | instid1(VALU_DEP_3)
	v_mad_u64_u32 v[3:4], null, s15, s10, v[0:1]
	v_mad_u64_u32 v[4:5], null, 0xd2511f53, v1, 0
	;; [unrolled: 1-line block ×3, first 2 shown]
	s_mov_b32 s10, 0
	s_delay_alu instid0(VALU_DEP_3) | instskip(SKIP_1) | instid1(VALU_DEP_3)
	v_mul_lo_u32 v41, s0, v3
	s_mov_b32 s0, 0
	v_mov_b32_e32 v3, v4
	s_delay_alu instid0(VALU_DEP_3)
	v_xor3_b32 v0, v2, v6, v35
	v_xor3_b32 v2, v5, v8, v38
	s_branch .LBB129_8
.LBB129_7:                              ;   in Loop: Header=BB129_8 Depth=1
	s_or_b32 exec_lo, exec_lo, s11
	v_add_co_u32 v13, vcc_lo, v13, s9
	v_add_co_ci_u32_e32 v14, vcc_lo, 0, v14, vcc_lo
	v_mov_b32_e32 v7, v15
	v_dual_mov_b32 v0, v4 :: v_dual_mov_b32 v1, v5
	s_delay_alu instid0(VALU_DEP_3) | instskip(NEXT) | instid1(VALU_DEP_3)
	v_cmp_le_i64_e32 vcc_lo, s[2:3], v[13:14]
	v_dual_mov_b32 v2, v6 :: v_dual_mov_b32 v3, v7
	s_add_i32 s10, s10, s1
	s_waitcnt_vscnt null, 0x0
	s_barrier
	s_or_b32 s0, vcc_lo, s0
	buffer_gl0_inv
	s_and_not1_b32 exec_lo, exec_lo, s0
	s_cbranch_execz .LBB129_22
.LBB129_8:                              ; =>This Inner Loop Header: Depth=1
	v_add_co_u32 v17, vcc_lo, v17, 1
	s_delay_alu instid0(VALU_DEP_1) | instskip(SKIP_2) | instid1(VALU_DEP_1)
	v_cndmask_b32_e64 v4, 0, 1, vcc_lo
	v_add_co_ci_u32_e32 v18, vcc_lo, 0, v18, vcc_lo
	s_mov_b32 s11, exec_lo
	v_cmp_eq_u32_e32 vcc_lo, 0, v18
	s_delay_alu instid0(VALU_DEP_3) | instskip(NEXT) | instid1(VALU_DEP_1)
	v_cndmask_b32_e32 v4, 0, v4, vcc_lo
	v_add_nc_u32_e32 v39, v4, v39
	s_delay_alu instid0(VALU_DEP_1) | instskip(SKIP_2) | instid1(VALU_DEP_2)
	v_cmp_eq_u32_e32 vcc_lo, 0, v39
	v_cndmask_b32_e32 v4, 0, v4, vcc_lo
	v_mad_u64_u32 v[6:7], null, 0xcd9e8d57, v39, 0
	v_add_nc_u32_e32 v42, v4, v42
	v_mad_u64_u32 v[4:5], null, 0xd2511f53, v17, 0
	s_delay_alu instid0(VALU_DEP_3) | instskip(NEXT) | instid1(VALU_DEP_2)
	v_xor3_b32 v9, v7, v11, v18
	v_xor_b32_e32 v5, v5, v12
	s_delay_alu instid0(VALU_DEP_2) | instskip(NEXT) | instid1(VALU_DEP_2)
	v_mad_u64_u32 v[7:8], null, 0xd2511f53, v9, 0
	v_xor_b32_e32 v5, v42, v5
	s_delay_alu instid0(VALU_DEP_2) | instskip(NEXT) | instid1(VALU_DEP_2)
	v_xor3_b32 v8, v19, v8, v4
	v_mad_u64_u32 v[9:10], null, 0xcd9e8d57, v5, 0
	s_delay_alu instid0(VALU_DEP_2) | instskip(NEXT) | instid1(VALU_DEP_2)
	v_mad_u64_u32 v[4:5], null, 0xcd9e8d57, v8, 0
	v_xor3_b32 v6, v20, v10, v6
	s_delay_alu instid0(VALU_DEP_2) | instskip(NEXT) | instid1(VALU_DEP_2)
	v_xor3_b32 v8, v21, v5, v9
	v_mad_u64_u32 v[15:16], null, 0xd2511f53, v6, 0
	s_delay_alu instid0(VALU_DEP_2) | instskip(NEXT) | instid1(VALU_DEP_2)
	v_mad_u64_u32 v[5:6], null, 0xd2511f53, v8, 0
	v_xor3_b32 v9, v22, v16, v7
	s_delay_alu instid0(VALU_DEP_2) | instskip(NEXT) | instid1(VALU_DEP_2)
	v_xor3_b32 v6, v23, v6, v15
	v_mad_u64_u32 v[7:8], null, 0xcd9e8d57, v9, 0
	s_delay_alu instid0(VALU_DEP_1) | instskip(NEXT) | instid1(VALU_DEP_3)
	v_xor3_b32 v4, v24, v8, v4
	v_mad_u64_u32 v[8:9], null, 0xcd9e8d57, v6, 0
	s_delay_alu instid0(VALU_DEP_2) | instskip(NEXT) | instid1(VALU_DEP_2)
	v_mad_u64_u32 v[15:16], null, 0xd2511f53, v4, 0
	v_xor3_b32 v6, v25, v9, v7
	s_delay_alu instid0(VALU_DEP_2) | instskip(NEXT) | instid1(VALU_DEP_2)
	v_xor3_b32 v9, v26, v16, v5
	v_mad_u64_u32 v[4:5], null, 0xd2511f53, v6, 0
	s_delay_alu instid0(VALU_DEP_2) | instskip(NEXT) | instid1(VALU_DEP_2)
	v_mad_u64_u32 v[6:7], null, 0xcd9e8d57, v9, 0
	v_xor3_b32 v5, v27, v5, v15
	s_delay_alu instid0(VALU_DEP_2) | instskip(NEXT) | instid1(VALU_DEP_2)
	;; [unrolled: 6-line block ×6, first 2 shown]
	v_xor3_b32 v4, v6, v7, v35
	v_mov_b32_e32 v6, v10
	v_cmpx_lt_i32_e32 1, v34
	s_xor_b32 s11, exec_lo, s11
	s_cbranch_execnz .LBB129_14
; %bb.9:                                ;   in Loop: Header=BB129_8 Depth=1
	s_and_not1_saveexec_b32 s11, s11
	s_cbranch_execnz .LBB129_19
.LBB129_10:                             ;   in Loop: Header=BB129_8 Depth=1
	s_or_b32 exec_lo, exec_lo, s11
	s_delay_alu instid0(SALU_CYCLE_1)
	s_mov_b32 s11, exec_lo
	v_cmpx_gt_i64_e64 s[4:5], v[13:14]
	s_cbranch_execz .LBB129_12
.LBB129_11:                             ;   in Loop: Header=BB129_8 Depth=1
	v_lshrrev_b32_e32 v1, 11, v1
	s_delay_alu instid0(VALU_DEP_1) | instskip(SKIP_1) | instid1(VALU_DEP_2)
	v_cvt_f64_u32_e32 v[7:8], v1
	v_cvt_f64_u32_e32 v[0:1], v0
	v_ldexp_f64 v[7:8], v[7:8], 32
	s_delay_alu instid0(VALU_DEP_1) | instskip(NEXT) | instid1(VALU_DEP_1)
	v_add_f64 v[0:1], v[7:8], v[0:1]
	v_fma_f64 v[0:1], 0x3ca00000, v[0:1], 0x3ca00000
	s_delay_alu instid0(VALU_DEP_1) | instskip(SKIP_1) | instid1(VALU_DEP_1)
	v_cvt_f32_f64_e32 v7, v[0:1]
	v_add_nc_u32_e32 v0, s10, v40
	v_ashrrev_i32_e32 v1, 31, v0
	v_add_co_u32 v0, vcc_lo, s6, v0
	s_delay_alu instid0(VALU_DEP_2)
	v_add_co_ci_u32_e32 v1, vcc_lo, s7, v1, vcc_lo
	v_cmp_gt_f32_e32 vcc_lo, v33, v7
	v_cndmask_b32_e64 v7, 0, 1, vcc_lo
	global_store_b32 v[0:1], v7, off
.LBB129_12:                             ;   in Loop: Header=BB129_8 Depth=1
	s_or_b32 exec_lo, exec_lo, s11
	v_add_co_u32 v0, vcc_lo, s8, v13
	v_add_co_ci_u32_e32 v1, vcc_lo, 0, v14, vcc_lo
	s_mov_b32 s11, exec_lo
	s_delay_alu instid0(VALU_DEP_1)
	v_cmpx_gt_i64_e64 s[4:5], v[0:1]
	s_cbranch_execz .LBB129_7
; %bb.13:                               ;   in Loop: Header=BB129_8 Depth=1
	v_lshrrev_b32_e32 v0, 11, v3
	v_cvt_f64_u32_e32 v[2:3], v2
	s_delay_alu instid0(VALU_DEP_2) | instskip(NEXT) | instid1(VALU_DEP_1)
	v_cvt_f64_u32_e32 v[0:1], v0
	v_ldexp_f64 v[0:1], v[0:1], 32
	s_delay_alu instid0(VALU_DEP_1) | instskip(NEXT) | instid1(VALU_DEP_1)
	v_add_f64 v[0:1], v[0:1], v[2:3]
	v_fma_f64 v[0:1], 0x3ca00000, v[0:1], 0x3ca00000
	s_delay_alu instid0(VALU_DEP_1) | instskip(SKIP_1) | instid1(VALU_DEP_1)
	v_cvt_f32_f64_e32 v2, v[0:1]
	v_add_nc_u32_e32 v0, s10, v41
	v_ashrrev_i32_e32 v1, 31, v0
	v_add_co_u32 v0, vcc_lo, s6, v0
	s_delay_alu instid0(VALU_DEP_2)
	v_add_co_ci_u32_e32 v1, vcc_lo, s7, v1, vcc_lo
	v_cmp_gt_f32_e32 vcc_lo, v33, v2
	v_cndmask_b32_e64 v2, 0, 1, vcc_lo
	global_store_b32 v[0:1], v2, off
	s_branch .LBB129_7
.LBB129_14:                             ;   in Loop: Header=BB129_8 Depth=1
	s_mov_b32 s12, exec_lo
	v_cmpx_lt_i32_e32 2, v34
	s_xor_b32 s12, exec_lo, s12
; %bb.15:                               ;   in Loop: Header=BB129_8 Depth=1
	v_dual_mov_b32 v7, v3 :: v_dual_mov_b32 v8, v4
	v_mov_b32_e32 v9, v5
	s_delay_alu instid0(VALU_DEP_2) | instskip(NEXT) | instid1(VALU_DEP_2)
	v_dual_mov_b32 v0, v7 :: v_dual_mov_b32 v1, v8
	v_dual_mov_b32 v2, v9 :: v_dual_mov_b32 v3, v10
; %bb.16:                               ;   in Loop: Header=BB129_8 Depth=1
	s_and_not1_saveexec_b32 s12, s12
; %bb.17:                               ;   in Loop: Header=BB129_8 Depth=1
	s_delay_alu instid0(VALU_DEP_1)
	v_dual_mov_b32 v0, v2 :: v_dual_mov_b32 v1, v3
	v_dual_mov_b32 v2, v4 :: v_dual_mov_b32 v3, v5
; %bb.18:                               ;   in Loop: Header=BB129_8 Depth=1
	s_or_b32 exec_lo, exec_lo, s12
	s_and_not1_saveexec_b32 s11, s11
	s_cbranch_execz .LBB129_10
.LBB129_19:                             ;   in Loop: Header=BB129_8 Depth=1
	s_mov_b32 s12, exec_lo
	v_cmpx_eq_u32_e32 1, v34
; %bb.20:                               ;   in Loop: Header=BB129_8 Depth=1
	v_dual_mov_b32 v0, v1 :: v_dual_mov_b32 v1, v2
	v_dual_mov_b32 v2, v3 :: v_dual_mov_b32 v3, v4
; %bb.21:                               ;   in Loop: Header=BB129_8 Depth=1
	s_or_b32 exec_lo, exec_lo, s12
	s_delay_alu instid0(SALU_CYCLE_1) | instskip(NEXT) | instid1(SALU_CYCLE_1)
	s_or_b32 exec_lo, exec_lo, s11
	s_mov_b32 s11, exec_lo
	v_cmpx_gt_i64_e64 s[4:5], v[13:14]
	s_cbranch_execnz .LBB129_11
	s_branch .LBB129_12
.LBB129_22:
	s_endpgm
.LBB129_23:
                                        ; implicit-def: $sgpr2_sgpr3
	s_branch .LBB129_4
	.section	.rodata,"a",@progbits
	.p2align	6, 0x0
	.amdhsa_kernel _ZN2at6native12_GLOBAL__N_143distribution_elementwise_grid_stride_kernelIfLi4EZNS0_9templates4cuda21uniform_and_transformIifPNS_17CUDAGeneratorImplEZZZNS4_16bernoulli_kernelIS7_EEvRNS_18TensorIteratorBaseEdT_ENKUlvE_clEvENKUlvE1_clEvEUlfE_EEvSA_T1_T2_EUlP25hiprandStatePhilox4_32_10E_ZNS1_27distribution_nullary_kernelIif15HIP_vector_typeIdLj2EES7_SJ_SE_EEvSA_SG_RKT3_T4_EUlifE_EEvlNS_15PhiloxCudaStateESF_SG_
		.amdhsa_group_segment_fixed_size 0
		.amdhsa_private_segment_fixed_size 0
		.amdhsa_kernarg_size 328
		.amdhsa_user_sgpr_count 15
		.amdhsa_user_sgpr_dispatch_ptr 0
		.amdhsa_user_sgpr_queue_ptr 0
		.amdhsa_user_sgpr_kernarg_segment_ptr 1
		.amdhsa_user_sgpr_dispatch_id 0
		.amdhsa_user_sgpr_private_segment_size 0
		.amdhsa_wavefront_size32 1
		.amdhsa_uses_dynamic_stack 0
		.amdhsa_enable_private_segment 0
		.amdhsa_system_sgpr_workgroup_id_x 1
		.amdhsa_system_sgpr_workgroup_id_y 0
		.amdhsa_system_sgpr_workgroup_id_z 0
		.amdhsa_system_sgpr_workgroup_info 0
		.amdhsa_system_vgpr_workitem_id 0
		.amdhsa_next_free_vgpr 43
		.amdhsa_next_free_sgpr 23
		.amdhsa_reserve_vcc 1
		.amdhsa_float_round_mode_32 0
		.amdhsa_float_round_mode_16_64 0
		.amdhsa_float_denorm_mode_32 3
		.amdhsa_float_denorm_mode_16_64 3
		.amdhsa_dx10_clamp 1
		.amdhsa_ieee_mode 1
		.amdhsa_fp16_overflow 0
		.amdhsa_workgroup_processor_mode 1
		.amdhsa_memory_ordered 1
		.amdhsa_forward_progress 0
		.amdhsa_shared_vgpr_count 0
		.amdhsa_exception_fp_ieee_invalid_op 0
		.amdhsa_exception_fp_denorm_src 0
		.amdhsa_exception_fp_ieee_div_zero 0
		.amdhsa_exception_fp_ieee_overflow 0
		.amdhsa_exception_fp_ieee_underflow 0
		.amdhsa_exception_fp_ieee_inexact 0
		.amdhsa_exception_int_div_zero 0
	.end_amdhsa_kernel
	.section	.text._ZN2at6native12_GLOBAL__N_143distribution_elementwise_grid_stride_kernelIfLi4EZNS0_9templates4cuda21uniform_and_transformIifPNS_17CUDAGeneratorImplEZZZNS4_16bernoulli_kernelIS7_EEvRNS_18TensorIteratorBaseEdT_ENKUlvE_clEvENKUlvE1_clEvEUlfE_EEvSA_T1_T2_EUlP25hiprandStatePhilox4_32_10E_ZNS1_27distribution_nullary_kernelIif15HIP_vector_typeIdLj2EES7_SJ_SE_EEvSA_SG_RKT3_T4_EUlifE_EEvlNS_15PhiloxCudaStateESF_SG_,"axG",@progbits,_ZN2at6native12_GLOBAL__N_143distribution_elementwise_grid_stride_kernelIfLi4EZNS0_9templates4cuda21uniform_and_transformIifPNS_17CUDAGeneratorImplEZZZNS4_16bernoulli_kernelIS7_EEvRNS_18TensorIteratorBaseEdT_ENKUlvE_clEvENKUlvE1_clEvEUlfE_EEvSA_T1_T2_EUlP25hiprandStatePhilox4_32_10E_ZNS1_27distribution_nullary_kernelIif15HIP_vector_typeIdLj2EES7_SJ_SE_EEvSA_SG_RKT3_T4_EUlifE_EEvlNS_15PhiloxCudaStateESF_SG_,comdat
.Lfunc_end129:
	.size	_ZN2at6native12_GLOBAL__N_143distribution_elementwise_grid_stride_kernelIfLi4EZNS0_9templates4cuda21uniform_and_transformIifPNS_17CUDAGeneratorImplEZZZNS4_16bernoulli_kernelIS7_EEvRNS_18TensorIteratorBaseEdT_ENKUlvE_clEvENKUlvE1_clEvEUlfE_EEvSA_T1_T2_EUlP25hiprandStatePhilox4_32_10E_ZNS1_27distribution_nullary_kernelIif15HIP_vector_typeIdLj2EES7_SJ_SE_EEvSA_SG_RKT3_T4_EUlifE_EEvlNS_15PhiloxCudaStateESF_SG_, .Lfunc_end129-_ZN2at6native12_GLOBAL__N_143distribution_elementwise_grid_stride_kernelIfLi4EZNS0_9templates4cuda21uniform_and_transformIifPNS_17CUDAGeneratorImplEZZZNS4_16bernoulli_kernelIS7_EEvRNS_18TensorIteratorBaseEdT_ENKUlvE_clEvENKUlvE1_clEvEUlfE_EEvSA_T1_T2_EUlP25hiprandStatePhilox4_32_10E_ZNS1_27distribution_nullary_kernelIif15HIP_vector_typeIdLj2EES7_SJ_SE_EEvSA_SG_RKT3_T4_EUlifE_EEvlNS_15PhiloxCudaStateESF_SG_
                                        ; -- End function
	.section	.AMDGPU.csdata,"",@progbits
; Kernel info:
; codeLenInByte = 2760
; NumSgprs: 25
; NumVgprs: 43
; ScratchSize: 0
; MemoryBound: 0
; FloatMode: 240
; IeeeMode: 1
; LDSByteSize: 0 bytes/workgroup (compile time only)
; SGPRBlocks: 3
; VGPRBlocks: 5
; NumSGPRsForWavesPerEU: 25
; NumVGPRsForWavesPerEU: 43
; Occupancy: 16
; WaveLimiterHint : 0
; COMPUTE_PGM_RSRC2:SCRATCH_EN: 0
; COMPUTE_PGM_RSRC2:USER_SGPR: 15
; COMPUTE_PGM_RSRC2:TRAP_HANDLER: 0
; COMPUTE_PGM_RSRC2:TGID_X_EN: 1
; COMPUTE_PGM_RSRC2:TGID_Y_EN: 0
; COMPUTE_PGM_RSRC2:TGID_Z_EN: 0
; COMPUTE_PGM_RSRC2:TIDIG_COMP_CNT: 0
	.section	.text._ZN2at6native12_GLOBAL__N_143distribution_elementwise_grid_stride_kernelIfLi4EZNS0_9templates4cuda21uniform_and_transformIifPNS_17CUDAGeneratorImplEZZZNS4_16bernoulli_kernelIS7_EEvRNS_18TensorIteratorBaseEdT_ENKUlvE_clEvENKUlvE1_clEvEUlfE_EEvSA_T1_T2_EUlP25hiprandStatePhilox4_32_10E_ZNS1_27distribution_nullary_kernelIif15HIP_vector_typeIdLj2EES7_SJ_SE_EEvSA_SG_RKT3_T4_EUlifE0_EEvlNS_15PhiloxCudaStateESF_SG_,"axG",@progbits,_ZN2at6native12_GLOBAL__N_143distribution_elementwise_grid_stride_kernelIfLi4EZNS0_9templates4cuda21uniform_and_transformIifPNS_17CUDAGeneratorImplEZZZNS4_16bernoulli_kernelIS7_EEvRNS_18TensorIteratorBaseEdT_ENKUlvE_clEvENKUlvE1_clEvEUlfE_EEvSA_T1_T2_EUlP25hiprandStatePhilox4_32_10E_ZNS1_27distribution_nullary_kernelIif15HIP_vector_typeIdLj2EES7_SJ_SE_EEvSA_SG_RKT3_T4_EUlifE0_EEvlNS_15PhiloxCudaStateESF_SG_,comdat
	.globl	_ZN2at6native12_GLOBAL__N_143distribution_elementwise_grid_stride_kernelIfLi4EZNS0_9templates4cuda21uniform_and_transformIifPNS_17CUDAGeneratorImplEZZZNS4_16bernoulli_kernelIS7_EEvRNS_18TensorIteratorBaseEdT_ENKUlvE_clEvENKUlvE1_clEvEUlfE_EEvSA_T1_T2_EUlP25hiprandStatePhilox4_32_10E_ZNS1_27distribution_nullary_kernelIif15HIP_vector_typeIdLj2EES7_SJ_SE_EEvSA_SG_RKT3_T4_EUlifE0_EEvlNS_15PhiloxCudaStateESF_SG_ ; -- Begin function _ZN2at6native12_GLOBAL__N_143distribution_elementwise_grid_stride_kernelIfLi4EZNS0_9templates4cuda21uniform_and_transformIifPNS_17CUDAGeneratorImplEZZZNS4_16bernoulli_kernelIS7_EEvRNS_18TensorIteratorBaseEdT_ENKUlvE_clEvENKUlvE1_clEvEUlfE_EEvSA_T1_T2_EUlP25hiprandStatePhilox4_32_10E_ZNS1_27distribution_nullary_kernelIif15HIP_vector_typeIdLj2EES7_SJ_SE_EEvSA_SG_RKT3_T4_EUlifE0_EEvlNS_15PhiloxCudaStateESF_SG_
	.p2align	8
	.type	_ZN2at6native12_GLOBAL__N_143distribution_elementwise_grid_stride_kernelIfLi4EZNS0_9templates4cuda21uniform_and_transformIifPNS_17CUDAGeneratorImplEZZZNS4_16bernoulli_kernelIS7_EEvRNS_18TensorIteratorBaseEdT_ENKUlvE_clEvENKUlvE1_clEvEUlfE_EEvSA_T1_T2_EUlP25hiprandStatePhilox4_32_10E_ZNS1_27distribution_nullary_kernelIif15HIP_vector_typeIdLj2EES7_SJ_SE_EEvSA_SG_RKT3_T4_EUlifE0_EEvlNS_15PhiloxCudaStateESF_SG_,@function
_ZN2at6native12_GLOBAL__N_143distribution_elementwise_grid_stride_kernelIfLi4EZNS0_9templates4cuda21uniform_and_transformIifPNS_17CUDAGeneratorImplEZZZNS4_16bernoulli_kernelIS7_EEvRNS_18TensorIteratorBaseEdT_ENKUlvE_clEvENKUlvE1_clEvEUlfE_EEvSA_T1_T2_EUlP25hiprandStatePhilox4_32_10E_ZNS1_27distribution_nullary_kernelIif15HIP_vector_typeIdLj2EES7_SJ_SE_EEvSA_SG_RKT3_T4_EUlifE0_EEvlNS_15PhiloxCudaStateESF_SG_: ; @_ZN2at6native12_GLOBAL__N_143distribution_elementwise_grid_stride_kernelIfLi4EZNS0_9templates4cuda21uniform_and_transformIifPNS_17CUDAGeneratorImplEZZZNS4_16bernoulli_kernelIS7_EEvRNS_18TensorIteratorBaseEdT_ENKUlvE_clEvENKUlvE1_clEvEUlfE_EEvSA_T1_T2_EUlP25hiprandStatePhilox4_32_10E_ZNS1_27distribution_nullary_kernelIif15HIP_vector_typeIdLj2EES7_SJ_SE_EEvSA_SG_RKT3_T4_EUlifE0_EEvlNS_15PhiloxCudaStateESF_SG_
; %bb.0:
	s_clause 0x2
	s_load_b64 s[4:5], s[0:1], 0x10
	s_load_b128 s[16:19], s[0:1], 0x0
	s_load_b32 s2, s[0:1], 0x20
	s_waitcnt lgkmcnt(0)
	v_dual_mov_b32 v2, s4 :: v_dual_mov_b32 v3, s5
	v_dual_mov_b32 v11, s18 :: v_dual_mov_b32 v12, s19
	s_bitcmp0_b32 s2, 0
	s_mov_b32 s2, 0
	s_cbranch_scc1 .LBB130_2
; %bb.1:
	v_dual_mov_b32 v1, s4 :: v_dual_mov_b32 v2, s5
	v_dual_mov_b32 v4, s18 :: v_dual_mov_b32 v5, s19
	s_load_b64 s[4:5], s[0:1], 0x18
	flat_load_b64 v[2:3], v[1:2]
	flat_load_b64 v[11:12], v[4:5]
	s_waitcnt vmcnt(1) lgkmcnt(0)
	v_add_co_u32 v2, vcc_lo, v2, s4
	v_add_co_ci_u32_e32 v3, vcc_lo, s5, v3, vcc_lo
.LBB130_2:
	s_clause 0x1
	s_load_b32 s3, s[0:1], 0x154
	s_load_b32 s4, s[0:1], 0x148
	s_waitcnt lgkmcnt(0)
	s_and_b32 s5, s3, 0xffff
	s_add_u32 s6, s16, -1
	s_mul_i32 s24, s4, s5
	s_addc_u32 s3, s17, -1
	s_lshl_b32 s25, s24, 2
	s_cmp_lg_u64 s[2:3], 0
	s_cbranch_scc0 .LBB130_49
; %bb.3:
	v_cvt_f32_ubyte0_e32 v1, 0
	v_cvt_f32_u32_e32 v4, s25
	s_sub_u32 s8, 0, s25
	s_subb_u32 s9, 0, 0
	s_delay_alu instid0(VALU_DEP_1) | instskip(NEXT) | instid1(VALU_DEP_1)
	v_fmamk_f32 v1, v1, 0x4f800000, v4
	v_rcp_f32_e32 v1, v1
	s_waitcnt_depctr 0xfff
	v_mul_f32_e32 v1, 0x5f7ffffc, v1
	s_delay_alu instid0(VALU_DEP_1) | instskip(NEXT) | instid1(VALU_DEP_1)
	v_mul_f32_e32 v4, 0x2f800000, v1
	v_trunc_f32_e32 v4, v4
	s_delay_alu instid0(VALU_DEP_1) | instskip(SKIP_1) | instid1(VALU_DEP_2)
	v_fmamk_f32 v1, v4, 0xcf800000, v1
	v_cvt_u32_f32_e32 v4, v4
	v_cvt_u32_f32_e32 v1, v1
	s_delay_alu instid0(VALU_DEP_2) | instskip(NEXT) | instid1(VALU_DEP_2)
	v_readfirstlane_b32 s2, v4
	v_readfirstlane_b32 s7, v1
	s_delay_alu instid0(VALU_DEP_2) | instskip(NEXT) | instid1(VALU_DEP_1)
	s_mul_i32 s10, s8, s2
	s_mul_hi_u32 s12, s8, s7
	s_mul_i32 s11, s9, s7
	s_add_i32 s10, s12, s10
	s_mul_i32 s13, s8, s7
	s_add_i32 s10, s10, s11
	s_mul_hi_u32 s12, s7, s13
	s_mul_hi_u32 s14, s2, s13
	s_mul_i32 s11, s2, s13
	s_mul_hi_u32 s13, s7, s10
	s_mul_i32 s7, s7, s10
	s_mul_hi_u32 s18, s2, s10
	s_add_u32 s7, s12, s7
	s_addc_u32 s12, 0, s13
	s_add_u32 s7, s7, s11
	s_mul_i32 s10, s2, s10
	s_addc_u32 s7, s12, s14
	s_addc_u32 s11, s18, 0
	s_add_u32 s7, s7, s10
	s_addc_u32 s10, 0, s11
	v_add_co_u32 v1, s7, v1, s7
	s_delay_alu instid0(VALU_DEP_1) | instskip(SKIP_1) | instid1(VALU_DEP_1)
	s_cmp_lg_u32 s7, 0
	s_addc_u32 s2, s2, s10
	v_readfirstlane_b32 s7, v1
	s_mul_i32 s10, s8, s2
	s_delay_alu instid0(VALU_DEP_1)
	s_mul_hi_u32 s11, s8, s7
	s_mul_i32 s9, s9, s7
	s_add_i32 s10, s11, s10
	s_mul_i32 s8, s8, s7
	s_add_i32 s10, s10, s9
	s_mul_hi_u32 s11, s2, s8
	s_mul_i32 s12, s2, s8
	s_mul_hi_u32 s8, s7, s8
	s_mul_hi_u32 s13, s7, s10
	s_mul_i32 s7, s7, s10
	s_mul_hi_u32 s9, s2, s10
	s_add_u32 s7, s8, s7
	s_addc_u32 s8, 0, s13
	s_add_u32 s7, s7, s12
	s_mul_i32 s10, s2, s10
	s_addc_u32 s7, s8, s11
	s_addc_u32 s8, s9, 0
	s_add_u32 s7, s7, s10
	s_addc_u32 s8, 0, s8
	v_add_co_u32 v1, s7, v1, s7
	s_delay_alu instid0(VALU_DEP_1) | instskip(SKIP_2) | instid1(VALU_DEP_1)
	s_cmp_lg_u32 s7, 0
	s_addc_u32 s7, s2, s8
	s_ashr_i32 s8, s3, 31
	v_readfirstlane_b32 s10, v1
	s_add_u32 s2, s6, s8
	s_mov_b32 s9, s8
	s_addc_u32 s3, s3, s8
	s_delay_alu instid0(SALU_CYCLE_1) | instskip(NEXT) | instid1(SALU_CYCLE_1)
	s_xor_b64 s[2:3], s[2:3], s[8:9]
	s_mul_i32 s12, s2, s7
	s_mul_hi_u32 s13, s2, s10
	s_mul_hi_u32 s11, s2, s7
	;; [unrolled: 1-line block ×3, first 2 shown]
	s_mul_i32 s10, s3, s10
	s_add_u32 s12, s13, s12
	s_addc_u32 s11, 0, s11
	s_mul_hi_u32 s14, s3, s7
	s_add_u32 s10, s12, s10
	s_mul_i32 s7, s3, s7
	s_addc_u32 s10, s11, s18
	s_addc_u32 s11, s14, 0
	s_add_u32 s7, s10, s7
	s_addc_u32 s10, 0, s11
	s_mul_i32 s12, s25, s7
	s_add_u32 s11, s7, 1
	v_sub_co_u32 v1, s2, s2, s12
	s_mul_hi_u32 s12, s25, s7
	s_addc_u32 s13, s10, 0
	s_mul_i32 s14, s25, s10
	s_delay_alu instid0(VALU_DEP_1)
	v_sub_co_u32 v4, s18, v1, s25
	s_add_u32 s19, s7, 2
	s_addc_u32 s20, s10, 0
	s_add_i32 s12, s12, s14
	s_cmp_lg_u32 s2, 0
	v_readfirstlane_b32 s2, v4
	s_subb_u32 s3, s3, s12
	s_cmp_lg_u32 s18, 0
	s_subb_u32 s12, s3, 0
	s_delay_alu instid0(VALU_DEP_1) | instskip(SKIP_4) | instid1(SALU_CYCLE_1)
	s_cmp_ge_u32 s2, s25
	s_cselect_b32 s2, -1, 0
	s_cmp_eq_u32 s12, 0
	v_readfirstlane_b32 s12, v1
	s_cselect_b32 s2, s2, -1
	s_cmp_lg_u32 s2, 0
	s_cselect_b32 s2, s19, s11
	s_cselect_b32 s11, s20, s13
	s_cmp_ge_u32 s12, s25
	s_cselect_b32 s12, -1, 0
	s_cmp_eq_u32 s3, 0
	s_cselect_b32 s3, s12, -1
	s_delay_alu instid0(SALU_CYCLE_1) | instskip(SKIP_2) | instid1(SALU_CYCLE_1)
	s_cmp_lg_u32 s3, 0
	s_cselect_b32 s3, s11, s10
	s_cselect_b32 s2, s2, s7
	s_xor_b64 s[2:3], s[2:3], s[8:9]
	s_delay_alu instid0(SALU_CYCLE_1)
	s_sub_u32 s2, s2, s8
	s_subb_u32 s3, s3, s8
	s_cbranch_execnz .LBB130_5
.LBB130_4:
	v_cvt_f32_u32_e32 v1, s25
	s_sub_i32 s3, 0, s25
	s_delay_alu instid0(VALU_DEP_1) | instskip(SKIP_2) | instid1(VALU_DEP_1)
	v_rcp_iflag_f32_e32 v1, v1
	s_waitcnt_depctr 0xfff
	v_mul_f32_e32 v1, 0x4f7ffffe, v1
	v_cvt_u32_f32_e32 v1, v1
	s_delay_alu instid0(VALU_DEP_1) | instskip(NEXT) | instid1(VALU_DEP_1)
	v_readfirstlane_b32 s2, v1
	s_mul_i32 s3, s3, s2
	s_delay_alu instid0(SALU_CYCLE_1) | instskip(NEXT) | instid1(SALU_CYCLE_1)
	s_mul_hi_u32 s3, s2, s3
	s_add_i32 s2, s2, s3
	s_delay_alu instid0(SALU_CYCLE_1) | instskip(NEXT) | instid1(SALU_CYCLE_1)
	s_mul_hi_u32 s2, s6, s2
	s_mul_i32 s3, s2, s25
	s_delay_alu instid0(SALU_CYCLE_1)
	s_sub_i32 s3, s6, s3
	s_add_i32 s6, s2, 1
	s_sub_i32 s7, s3, s25
	s_cmp_ge_u32 s3, s25
	s_cselect_b32 s2, s6, s2
	s_cselect_b32 s3, s7, s3
	s_add_i32 s6, s2, 1
	s_cmp_ge_u32 s3, s25
	s_mov_b32 s3, 0
	s_cselect_b32 s2, s6, s2
.LBB130_5:
	v_mov_b32_e32 v1, 0
	s_add_u32 s2, s2, 1
	s_addc_u32 s3, s3, 0
	s_mul_hi_u32 s6, s24, s2
	s_mul_i32 s3, s24, s3
	v_mad_u64_u32 v[13:14], null, s5, s15, v[0:1]
	s_mul_hi_u32 s4, s4, s5
	s_add_i32 s3, s6, s3
	s_mul_i32 s4, s4, s2
	s_mul_i32 s2, s24, s2
	s_add_i32 s3, s3, s4
	s_mov_b32 s4, exec_lo
	s_lshl_b64 s[2:3], s[2:3], 2
	s_delay_alu instid0(SALU_CYCLE_1)
	v_cmpx_gt_i64_e64 s[2:3], v[13:14]
	s_cbranch_execz .LBB130_48
; %bb.6:
	v_alignbit_b32 v17, v3, v2, 2
	v_mad_u64_u32 v[4:5], null, 0xcd9e8d57, v13, 0
	v_lshrrev_b32_e32 v18, 2, v3
	s_waitcnt vmcnt(0)
	v_dual_mov_b32 v9, v12 :: v_dual_add_nc_u32 v28, 0x8ff34781, v11
	v_mad_u64_u32 v[0:1], null, 0xd2511f53, v17, 0
	v_add_co_u32 v20, null, 0x9e3779b9, v11
	v_xor3_b32 v3, v11, v5, v18
	s_delay_alu instid0(VALU_DEP_4) | instskip(SKIP_2) | instid1(VALU_DEP_4)
	v_add_co_u32 v19, null, 0xbb67ae85, v9
	v_add_co_u32 v21, null, 0x3c6ef372, v11
	v_xor_b32_e32 v1, v1, v12
	v_mad_u64_u32 v[5:6], null, 0xd2511f53, v3, 0
	v_add_co_u32 v22, null, 0x76cf5d0a, v9
	s_delay_alu instid0(VALU_DEP_3) | instskip(SKIP_2) | instid1(VALU_DEP_3)
	v_xor_b32_e32 v1, v1, v14
	v_add_co_u32 v23, null, 0x32370b8f, v9
	v_add_co_u32 v24, null, 0xdaa66d2b, v11
	v_mad_u64_u32 v[7:8], null, 0xcd9e8d57, v1, 0
	v_xor3_b32 v3, v19, v6, v0
	v_add_co_u32 v25, null, 0x78dde6e4, v11
	v_add_co_u32 v26, null, 0xed9eba14, v9
	s_delay_alu instid0(VALU_DEP_3) | instskip(SKIP_3) | instid1(VALU_DEP_3)
	v_mad_u64_u32 v[0:1], null, 0xcd9e8d57, v3, 0
	v_xor3_b32 v6, v20, v8, v4
	v_dual_mov_b32 v40, v14 :: v_dual_and_b32 v27, 3, v2
	v_add_co_u32 v29, null, 0xa9066899, v9
	v_mad_u64_u32 v[3:4], null, 0xd2511f53, v6, 0
	v_xor3_b32 v1, v21, v1, v7
	v_add_co_u32 v30, null, 0x1715609d, v11
	s_clause 0x1
	s_load_b64 s[20:21], s[0:1], 0xf4
	s_load_b128 s[12:15], s[0:1], 0x138
	v_add_co_u32 v32, null, 0xb54cda56, v11
	s_delay_alu instid0(VALU_DEP_4) | instskip(SKIP_2) | instid1(VALU_DEP_3)
	v_xor3_b32 v8, v22, v4, v5
	v_mad_u64_u32 v[4:5], null, 0xd2511f53, v1, 0
	v_add_co_u32 v33, null, 0x646e171e, v9
	v_mad_u64_u32 v[6:7], null, 0xcd9e8d57, v8, 0
	s_load_b256 s[4:11], s[0:1], 0x30
	v_add_co_u32 v31, null, 0x5384540f, v11
	s_delay_alu instid0(VALU_DEP_4) | instskip(SKIP_1) | instid1(VALU_DEP_4)
	v_xor3_b32 v3, v23, v5, v3
	v_add_co_u32 v35, null, 0x1fd5c5a3, v9
	v_xor3_b32 v5, v24, v7, v0
	v_add_co_u32 v34, null, 0xf1bbcdc8, v11
	s_delay_alu instid0(VALU_DEP_4) | instskip(NEXT) | instid1(VALU_DEP_3)
	v_mad_u64_u32 v[0:1], null, 0xcd9e8d57, v3, 0
	v_mad_u64_u32 v[7:8], null, 0xd2511f53, v5, 0
	s_waitcnt lgkmcnt(0)
	v_cvt_f32_f64_e32 v36, s[14:15]
	v_add_co_u32 v37, null, 0xdb3d7428, v9
	s_add_u32 s18, s0, 48
	s_delay_alu instid0(VALU_DEP_4) | instskip(SKIP_1) | instid1(VALU_DEP_4)
	v_xor3_b32 v3, v25, v1, v6
	s_addc_u32 s19, s1, 0
	v_xor3_b32 v5, v26, v8, v4
	s_add_i32 s22, s4, -1
	v_dual_mov_b32 v39, v13 :: v_dual_add_nc_u32 v38, 0x96a522ad, v12
	v_mad_u64_u32 v[1:2], null, 0xd2511f53, v3, 0
	s_delay_alu instid0(VALU_DEP_3) | instskip(SKIP_4) | instid1(VALU_DEP_2)
	v_mad_u64_u32 v[3:4], null, 0xcd9e8d57, v5, 0
	s_cmp_gt_u32 s22, 1
	s_mov_b32 s26, 0
	s_cselect_b32 s11, -1, 0
	s_cmp_lg_u32 s4, 0
	v_xor3_b32 v2, v29, v2, v7
	s_cselect_b32 s27, -1, 0
	s_delay_alu instid0(VALU_DEP_2) | instskip(SKIP_3) | instid1(VALU_DEP_2)
	v_xor3_b32 v0, v30, v4, v0
	s_add_u32 s0, s0, 0xf4
	s_addc_u32 s1, s1, 0
	v_mad_u64_u32 v[4:5], null, 0xcd9e8d57, v2, 0
	v_mad_u64_u32 v[6:7], null, 0xd2511f53, v0, 0
	s_min_u32 s14, s22, 15
	s_cmp_gt_u32 s4, 1
	s_cselect_b32 s4, -1, 0
	s_delay_alu instid0(VALU_DEP_2) | instskip(SKIP_1) | instid1(VALU_DEP_2)
	v_xor3_b32 v2, v32, v5, v3
	s_add_i32 s14, s14, 1
	v_xor3_b32 v5, v33, v7, v1
	s_and_b32 s28, s14, 3
	s_cmp_lg_u32 s22, 2
	v_mad_u64_u32 v[0:1], null, 0xd2511f53, v2, 0
	s_delay_alu instid0(VALU_DEP_2) | instskip(SKIP_3) | instid1(VALU_DEP_2)
	v_mad_u64_u32 v[2:3], null, 0xcd9e8d57, v5, 0
	s_cselect_b32 s29, -1, 0
	s_and_b32 s30, s14, 28
	s_cmp_lg_u32 s28, 0
	v_xor3_b32 v1, v35, v1, v6
	s_cselect_b32 s31, -1, 0
	s_delay_alu instid0(VALU_DEP_2) | instskip(NEXT) | instid1(VALU_DEP_2)
	v_xor3_b32 v3, v31, v3, v4
	v_mad_u64_u32 v[4:5], null, 0xcd9e8d57, v1, 0
	s_delay_alu instid0(VALU_DEP_2) | instskip(NEXT) | instid1(VALU_DEP_2)
	v_mad_u64_u32 v[6:7], null, 0xd2511f53, v3, 0
	v_xor3_b32 v1, v34, v5, v2
	s_delay_alu instid0(VALU_DEP_2) | instskip(NEXT) | instid1(VALU_DEP_2)
	v_xor3_b32 v0, v37, v7, v0
	v_mad_u64_u32 v[7:8], null, 0xd2511f53, v1, 0
	s_delay_alu instid0(VALU_DEP_2) | instskip(NEXT) | instid1(VALU_DEP_2)
	v_mad_u64_u32 v[1:2], null, 0xcd9e8d57, v0, 0
	v_mov_b32_e32 v3, v7
	s_delay_alu instid0(VALU_DEP_2) | instskip(NEXT) | instid1(VALU_DEP_4)
	v_xor3_b32 v0, v2, v4, v28
	v_xor3_b32 v2, v8, v6, v38
	s_branch .LBB130_9
.LBB130_7:                              ;   in Loop: Header=BB130_9 Depth=1
	v_lshrrev_b32_e32 v0, 11, v3
	v_cvt_f64_u32_e32 v[2:3], v2
	s_delay_alu instid0(VALU_DEP_2) | instskip(NEXT) | instid1(VALU_DEP_1)
	v_cvt_f64_u32_e32 v[7:8], v0
	v_ldexp_f64 v[7:8], v[7:8], 32
	s_delay_alu instid0(VALU_DEP_1) | instskip(NEXT) | instid1(VALU_DEP_1)
	v_add_f64 v[2:3], v[7:8], v[2:3]
	v_fma_f64 v[2:3], 0x3ca00000, v[2:3], 0x3ca00000
	s_delay_alu instid0(VALU_DEP_1) | instskip(NEXT) | instid1(VALU_DEP_1)
	v_cvt_f32_f64_e32 v0, v[2:3]
	v_cmp_gt_f32_e32 vcc_lo, v36, v0
	v_cndmask_b32_e64 v0, 0, 1, vcc_lo
	global_store_b32 v1, v0, s[12:13]
.LBB130_8:                              ;   in Loop: Header=BB130_9 Depth=1
	s_or_b32 exec_lo, exec_lo, s33
	v_add_co_u32 v13, vcc_lo, v13, s25
	v_add_co_ci_u32_e32 v14, vcc_lo, 0, v14, vcc_lo
	v_mov_b32_e32 v7, v15
	v_dual_mov_b32 v0, v4 :: v_dual_mov_b32 v1, v5
	s_delay_alu instid0(VALU_DEP_3) | instskip(NEXT) | instid1(VALU_DEP_3)
	v_cmp_le_i64_e32 vcc_lo, s[2:3], v[13:14]
	v_dual_mov_b32 v2, v6 :: v_dual_mov_b32 v3, v7
	s_waitcnt_vscnt null, 0x0
	s_barrier
	buffer_gl0_inv
	s_or_b32 s26, vcc_lo, s26
	s_delay_alu instid0(SALU_CYCLE_1)
	s_and_not1_b32 exec_lo, exec_lo, s26
	s_cbranch_execz .LBB130_48
.LBB130_9:                              ; =>This Loop Header: Depth=1
                                        ;     Child Loop BB130_24 Depth 2
                                        ;     Child Loop BB130_29 Depth 2
	;; [unrolled: 1-line block ×4, first 2 shown]
	v_add_co_u32 v17, vcc_lo, v17, 1
	s_delay_alu instid0(VALU_DEP_1) | instskip(SKIP_2) | instid1(VALU_DEP_1)
	v_cndmask_b32_e64 v4, 0, 1, vcc_lo
	v_add_co_ci_u32_e32 v18, vcc_lo, 0, v18, vcc_lo
	s_mov_b32 s14, exec_lo
	v_cmp_eq_u32_e32 vcc_lo, 0, v18
	s_delay_alu instid0(VALU_DEP_3) | instskip(NEXT) | instid1(VALU_DEP_1)
	v_cndmask_b32_e32 v4, 0, v4, vcc_lo
	v_add_nc_u32_e32 v39, v4, v39
	s_delay_alu instid0(VALU_DEP_1) | instskip(SKIP_2) | instid1(VALU_DEP_2)
	v_cmp_eq_u32_e32 vcc_lo, 0, v39
	v_cndmask_b32_e32 v4, 0, v4, vcc_lo
	v_mad_u64_u32 v[6:7], null, 0xcd9e8d57, v39, 0
	v_add_nc_u32_e32 v40, v4, v40
	v_mad_u64_u32 v[4:5], null, 0xd2511f53, v17, 0
	s_delay_alu instid0(VALU_DEP_3) | instskip(NEXT) | instid1(VALU_DEP_2)
	v_xor3_b32 v9, v7, v11, v18
	v_xor_b32_e32 v5, v5, v12
	s_delay_alu instid0(VALU_DEP_2) | instskip(NEXT) | instid1(VALU_DEP_2)
	v_mad_u64_u32 v[7:8], null, 0xd2511f53, v9, 0
	v_xor_b32_e32 v5, v40, v5
	s_delay_alu instid0(VALU_DEP_2) | instskip(NEXT) | instid1(VALU_DEP_2)
	v_xor3_b32 v8, v19, v8, v4
	v_mad_u64_u32 v[9:10], null, 0xcd9e8d57, v5, 0
	s_delay_alu instid0(VALU_DEP_2) | instskip(NEXT) | instid1(VALU_DEP_2)
	v_mad_u64_u32 v[4:5], null, 0xcd9e8d57, v8, 0
	v_xor3_b32 v6, v20, v10, v6
	s_delay_alu instid0(VALU_DEP_2) | instskip(NEXT) | instid1(VALU_DEP_2)
	v_xor3_b32 v8, v21, v5, v9
	v_mad_u64_u32 v[15:16], null, 0xd2511f53, v6, 0
	s_delay_alu instid0(VALU_DEP_2) | instskip(NEXT) | instid1(VALU_DEP_2)
	v_mad_u64_u32 v[5:6], null, 0xd2511f53, v8, 0
	v_xor3_b32 v9, v22, v16, v7
	s_delay_alu instid0(VALU_DEP_2) | instskip(NEXT) | instid1(VALU_DEP_2)
	v_xor3_b32 v6, v23, v6, v15
	v_mad_u64_u32 v[7:8], null, 0xcd9e8d57, v9, 0
	s_delay_alu instid0(VALU_DEP_1) | instskip(NEXT) | instid1(VALU_DEP_3)
	v_xor3_b32 v4, v24, v8, v4
	v_mad_u64_u32 v[8:9], null, 0xcd9e8d57, v6, 0
	s_delay_alu instid0(VALU_DEP_2) | instskip(NEXT) | instid1(VALU_DEP_2)
	v_mad_u64_u32 v[15:16], null, 0xd2511f53, v4, 0
	v_xor3_b32 v6, v25, v9, v7
	s_delay_alu instid0(VALU_DEP_2) | instskip(NEXT) | instid1(VALU_DEP_2)
	v_xor3_b32 v9, v26, v16, v5
	v_mad_u64_u32 v[4:5], null, 0xd2511f53, v6, 0
	s_delay_alu instid0(VALU_DEP_2) | instskip(NEXT) | instid1(VALU_DEP_2)
	v_mad_u64_u32 v[6:7], null, 0xcd9e8d57, v9, 0
	v_xor3_b32 v5, v29, v5, v15
	s_delay_alu instid0(VALU_DEP_2) | instskip(NEXT) | instid1(VALU_DEP_2)
	;; [unrolled: 6-line block ×6, first 2 shown]
	v_xor3_b32 v4, v6, v7, v28
	v_mov_b32_e32 v6, v10
	v_cmpx_lt_i32_e32 1, v27
	s_xor_b32 s14, exec_lo, s14
	s_cbranch_execnz .LBB130_12
; %bb.10:                               ;   in Loop: Header=BB130_9 Depth=1
	s_and_not1_saveexec_b32 s14, s14
	s_cbranch_execnz .LBB130_17
.LBB130_11:                             ;   in Loop: Header=BB130_9 Depth=1
	s_or_b32 exec_lo, exec_lo, s14
	s_delay_alu instid0(SALU_CYCLE_1)
	s_mov_b32 s33, exec_lo
	v_cmpx_gt_i64_e64 s[16:17], v[13:14]
	s_cbranch_execnz .LBB130_20
	s_branch .LBB130_34
.LBB130_12:                             ;   in Loop: Header=BB130_9 Depth=1
	s_mov_b32 s15, exec_lo
	v_cmpx_lt_i32_e32 2, v27
	s_xor_b32 s15, exec_lo, s15
; %bb.13:                               ;   in Loop: Header=BB130_9 Depth=1
	v_dual_mov_b32 v7, v3 :: v_dual_mov_b32 v8, v4
	v_mov_b32_e32 v9, v5
	s_delay_alu instid0(VALU_DEP_2) | instskip(NEXT) | instid1(VALU_DEP_2)
	v_dual_mov_b32 v0, v7 :: v_dual_mov_b32 v1, v8
	v_dual_mov_b32 v2, v9 :: v_dual_mov_b32 v3, v10
; %bb.14:                               ;   in Loop: Header=BB130_9 Depth=1
	s_and_not1_saveexec_b32 s15, s15
; %bb.15:                               ;   in Loop: Header=BB130_9 Depth=1
	s_delay_alu instid0(VALU_DEP_1)
	v_dual_mov_b32 v0, v2 :: v_dual_mov_b32 v1, v3
	v_dual_mov_b32 v2, v4 :: v_dual_mov_b32 v3, v5
; %bb.16:                               ;   in Loop: Header=BB130_9 Depth=1
	s_or_b32 exec_lo, exec_lo, s15
	s_and_not1_saveexec_b32 s14, s14
	s_cbranch_execz .LBB130_11
.LBB130_17:                             ;   in Loop: Header=BB130_9 Depth=1
	s_mov_b32 s15, exec_lo
	v_cmpx_eq_u32_e32 1, v27
; %bb.18:                               ;   in Loop: Header=BB130_9 Depth=1
	v_dual_mov_b32 v0, v1 :: v_dual_mov_b32 v1, v2
	v_dual_mov_b32 v2, v3 :: v_dual_mov_b32 v3, v4
; %bb.19:                               ;   in Loop: Header=BB130_9 Depth=1
	s_or_b32 exec_lo, exec_lo, s15
	s_delay_alu instid0(SALU_CYCLE_1) | instskip(NEXT) | instid1(SALU_CYCLE_1)
	s_or_b32 exec_lo, exec_lo, s14
	s_mov_b32 s33, exec_lo
	v_cmpx_gt_i64_e64 s[16:17], v[13:14]
	s_cbranch_execz .LBB130_34
.LBB130_20:                             ;   in Loop: Header=BB130_9 Depth=1
	s_and_not1_b32 vcc_lo, exec_lo, s11
	s_cbranch_vccnz .LBB130_26
; %bb.21:                               ;   in Loop: Header=BB130_9 Depth=1
	v_mov_b32_e32 v7, 0
	s_and_not1_b32 vcc_lo, exec_lo, s27
	s_cbranch_vccnz .LBB130_30
; %bb.22:                               ;   in Loop: Header=BB130_9 Depth=1
	s_and_not1_b32 vcc_lo, exec_lo, s29
	s_mov_b32 s14, 0
	s_cbranch_vccnz .LBB130_27
; %bb.23:                               ;   in Loop: Header=BB130_9 Depth=1
	v_dual_mov_b32 v7, 0 :: v_dual_mov_b32 v8, v13
	s_mov_b32 s34, 0
	s_mov_b64 s[14:15], s[18:19]
	s_mov_b64 s[22:23], s[0:1]
.LBB130_24:                             ;   Parent Loop BB130_9 Depth=1
                                        ; =>  This Inner Loop Header: Depth=2
	s_clause 0x1
	s_load_b256 s[36:43], s[14:15], 0x4
	s_load_b128 s[44:47], s[14:15], 0x24
	s_load_b128 s[48:51], s[22:23], 0x0
	s_add_u32 s14, s14, 48
	s_addc_u32 s15, s15, 0
	s_add_i32 s34, s34, 4
	s_add_u32 s22, s22, 16
	s_addc_u32 s23, s23, 0
	s_cmp_lg_u32 s30, s34
	s_waitcnt lgkmcnt(0)
	v_mul_hi_u32 v9, s37, v8
	s_delay_alu instid0(VALU_DEP_1) | instskip(NEXT) | instid1(VALU_DEP_1)
	v_add_nc_u32_e32 v9, v8, v9
	v_lshrrev_b32_e32 v9, s38, v9
	s_delay_alu instid0(VALU_DEP_1) | instskip(SKIP_1) | instid1(VALU_DEP_2)
	v_mul_hi_u32 v10, s40, v9
	v_mul_lo_u32 v42, v9, s36
	v_add_nc_u32_e32 v10, v9, v10
	s_delay_alu instid0(VALU_DEP_2) | instskip(NEXT) | instid1(VALU_DEP_2)
	v_sub_nc_u32_e32 v42, v8, v42
	v_lshrrev_b32_e32 v10, s41, v10
	s_delay_alu instid0(VALU_DEP_2) | instskip(NEXT) | instid1(VALU_DEP_2)
	v_mul_lo_u32 v42, v42, s48
	v_mul_hi_u32 v16, s43, v10
	v_mul_lo_u32 v43, v10, s39
	s_delay_alu instid0(VALU_DEP_2) | instskip(NEXT) | instid1(VALU_DEP_2)
	v_add_nc_u32_e32 v16, v10, v16
	v_sub_nc_u32_e32 v9, v9, v43
	s_delay_alu instid0(VALU_DEP_2) | instskip(NEXT) | instid1(VALU_DEP_2)
	v_lshrrev_b32_e32 v16, s44, v16
	v_mul_lo_u32 v9, v9, s49
	s_delay_alu instid0(VALU_DEP_2) | instskip(NEXT) | instid1(VALU_DEP_2)
	v_mul_hi_u32 v41, s46, v16
	v_add3_u32 v7, v42, v7, v9
	s_delay_alu instid0(VALU_DEP_2) | instskip(NEXT) | instid1(VALU_DEP_1)
	v_add_nc_u32_e32 v41, v16, v41
	v_lshrrev_b32_e32 v8, s47, v41
	v_mul_lo_u32 v41, v16, s42
	s_delay_alu instid0(VALU_DEP_2) | instskip(NEXT) | instid1(VALU_DEP_2)
	v_mul_lo_u32 v44, v8, s45
	v_sub_nc_u32_e32 v10, v10, v41
	s_delay_alu instid0(VALU_DEP_2) | instskip(NEXT) | instid1(VALU_DEP_2)
	v_sub_nc_u32_e32 v16, v16, v44
	v_mul_lo_u32 v10, v10, s50
	s_delay_alu instid0(VALU_DEP_2) | instskip(NEXT) | instid1(VALU_DEP_1)
	v_mul_lo_u32 v16, v16, s51
	v_add3_u32 v7, v10, v7, v16
	s_cbranch_scc1 .LBB130_24
; %bb.25:                               ;   in Loop: Header=BB130_9 Depth=1
	s_mov_b32 s14, s30
	s_and_not1_b32 vcc_lo, exec_lo, s31
	s_cbranch_vccz .LBB130_28
	s_branch .LBB130_30
.LBB130_26:                             ;   in Loop: Header=BB130_9 Depth=1
                                        ; implicit-def: $vgpr7
	s_branch .LBB130_31
.LBB130_27:                             ;   in Loop: Header=BB130_9 Depth=1
	v_mov_b32_e32 v8, v13
	s_and_not1_b32 vcc_lo, exec_lo, s31
	s_cbranch_vccnz .LBB130_30
.LBB130_28:                             ;   in Loop: Header=BB130_9 Depth=1
	s_lshl_b32 s15, s14, 2
	s_mul_i32 s22, s14, 12
	s_add_u32 s14, s0, s15
	s_addc_u32 s15, s1, 0
	s_add_u32 s22, s18, s22
	s_addc_u32 s23, s19, 0
	s_mov_b32 s34, s28
	.p2align	6
.LBB130_29:                             ;   Parent Loop BB130_9 Depth=1
                                        ; =>  This Inner Loop Header: Depth=2
	s_clause 0x1
	s_load_b64 s[36:37], s[22:23], 0x4
	s_load_b32 s35, s[22:23], 0xc
	s_add_u32 s22, s22, 12
	s_addc_u32 s23, s23, 0
	s_waitcnt lgkmcnt(0)
	v_mul_hi_u32 v9, s37, v8
	s_load_b32 s37, s[14:15], 0x0
	s_add_u32 s14, s14, 4
	s_addc_u32 s15, s15, 0
	s_add_i32 s34, s34, -1
	s_delay_alu instid0(SALU_CYCLE_1) | instskip(NEXT) | instid1(VALU_DEP_1)
	s_cmp_lg_u32 s34, 0
	v_add_nc_u32_e32 v9, v8, v9
	s_delay_alu instid0(VALU_DEP_1) | instskip(NEXT) | instid1(VALU_DEP_1)
	v_lshrrev_b32_e32 v16, s35, v9
	v_mul_lo_u32 v9, v16, s36
	s_delay_alu instid0(VALU_DEP_1) | instskip(SKIP_1) | instid1(VALU_DEP_1)
	v_sub_nc_u32_e32 v8, v8, v9
	s_waitcnt lgkmcnt(0)
	v_mad_u64_u32 v[9:10], null, v8, s37, v[7:8]
	s_delay_alu instid0(VALU_DEP_1)
	v_dual_mov_b32 v8, v16 :: v_dual_mov_b32 v7, v9
	s_cbranch_scc1 .LBB130_29
.LBB130_30:                             ;   in Loop: Header=BB130_9 Depth=1
	s_cbranch_execnz .LBB130_33
.LBB130_31:                             ;   in Loop: Header=BB130_9 Depth=1
	v_mul_hi_u32 v7, v13, s6
	s_and_not1_b32 vcc_lo, exec_lo, s4
	s_delay_alu instid0(VALU_DEP_1) | instskip(NEXT) | instid1(VALU_DEP_1)
	v_add_nc_u32_e32 v7, v7, v13
	v_lshrrev_b32_e32 v8, s7, v7
	s_delay_alu instid0(VALU_DEP_1) | instskip(NEXT) | instid1(VALU_DEP_1)
	v_mul_lo_u32 v7, v8, s5
	v_sub_nc_u32_e32 v7, v13, v7
	s_delay_alu instid0(VALU_DEP_1)
	v_mul_lo_u32 v7, v7, s20
	s_cbranch_vccnz .LBB130_33
; %bb.32:                               ;   in Loop: Header=BB130_9 Depth=1
	v_mul_hi_u32 v9, s9, v8
	s_delay_alu instid0(VALU_DEP_1) | instskip(NEXT) | instid1(VALU_DEP_1)
	v_add_nc_u32_e32 v9, v8, v9
	v_lshrrev_b32_e32 v9, s10, v9
	s_delay_alu instid0(VALU_DEP_1) | instskip(NEXT) | instid1(VALU_DEP_1)
	v_mul_lo_u32 v9, v9, s8
	v_sub_nc_u32_e32 v10, v8, v9
	s_delay_alu instid0(VALU_DEP_1) | instskip(NEXT) | instid1(VALU_DEP_1)
	v_mad_u64_u32 v[8:9], null, v10, s21, v[7:8]
	v_mov_b32_e32 v7, v8
.LBB130_33:                             ;   in Loop: Header=BB130_9 Depth=1
	v_lshrrev_b32_e32 v1, 11, v1
	s_delay_alu instid0(VALU_DEP_1) | instskip(SKIP_1) | instid1(VALU_DEP_2)
	v_cvt_f64_u32_e32 v[8:9], v1
	v_cvt_f64_u32_e32 v[0:1], v0
	v_ldexp_f64 v[8:9], v[8:9], 32
	s_delay_alu instid0(VALU_DEP_1) | instskip(NEXT) | instid1(VALU_DEP_1)
	v_add_f64 v[0:1], v[8:9], v[0:1]
	v_fma_f64 v[0:1], 0x3ca00000, v[0:1], 0x3ca00000
	s_delay_alu instid0(VALU_DEP_1) | instskip(NEXT) | instid1(VALU_DEP_1)
	v_cvt_f32_f64_e32 v0, v[0:1]
	v_cmp_gt_f32_e32 vcc_lo, v36, v0
	v_cndmask_b32_e64 v0, 0, 1, vcc_lo
	global_store_b32 v7, v0, s[12:13]
.LBB130_34:                             ;   in Loop: Header=BB130_9 Depth=1
	s_or_b32 exec_lo, exec_lo, s33
	v_add_co_u32 v0, vcc_lo, v13, s24
	v_add_co_ci_u32_e32 v1, vcc_lo, 0, v14, vcc_lo
	s_mov_b32 s33, exec_lo
	s_delay_alu instid0(VALU_DEP_1)
	v_cmpx_gt_i64_e64 s[16:17], v[0:1]
	s_cbranch_execz .LBB130_8
; %bb.35:                               ;   in Loop: Header=BB130_9 Depth=1
	s_and_not1_b32 vcc_lo, exec_lo, s11
	s_cbranch_vccnz .LBB130_41
; %bb.36:                               ;   in Loop: Header=BB130_9 Depth=1
	v_mov_b32_e32 v1, 0
	s_and_not1_b32 vcc_lo, exec_lo, s27
	s_cbranch_vccnz .LBB130_45
; %bb.37:                               ;   in Loop: Header=BB130_9 Depth=1
	s_and_not1_b32 vcc_lo, exec_lo, s29
	s_mov_b32 s14, 0
	s_cbranch_vccnz .LBB130_42
; %bb.38:                               ;   in Loop: Header=BB130_9 Depth=1
	v_mov_b32_e32 v1, 0
	v_mov_b32_e32 v7, v0
	s_mov_b32 s34, 0
	s_mov_b64 s[14:15], s[18:19]
	s_mov_b64 s[22:23], s[0:1]
.LBB130_39:                             ;   Parent Loop BB130_9 Depth=1
                                        ; =>  This Inner Loop Header: Depth=2
	s_clause 0x1
	s_load_b256 s[36:43], s[14:15], 0x4
	s_load_b128 s[44:47], s[14:15], 0x24
	s_load_b128 s[48:51], s[22:23], 0x0
	s_add_u32 s14, s14, 48
	s_addc_u32 s15, s15, 0
	s_add_i32 s34, s34, 4
	s_add_u32 s22, s22, 16
	s_addc_u32 s23, s23, 0
	s_cmp_eq_u32 s30, s34
	s_waitcnt lgkmcnt(0)
	v_mul_hi_u32 v8, s37, v7
	s_delay_alu instid0(VALU_DEP_1) | instskip(NEXT) | instid1(VALU_DEP_1)
	v_add_nc_u32_e32 v8, v7, v8
	v_lshrrev_b32_e32 v8, s38, v8
	s_delay_alu instid0(VALU_DEP_1) | instskip(SKIP_1) | instid1(VALU_DEP_2)
	v_mul_hi_u32 v9, s40, v8
	v_mul_lo_u32 v41, v8, s36
	v_add_nc_u32_e32 v9, v8, v9
	s_delay_alu instid0(VALU_DEP_2) | instskip(NEXT) | instid1(VALU_DEP_2)
	v_sub_nc_u32_e32 v41, v7, v41
	v_lshrrev_b32_e32 v9, s41, v9
	s_delay_alu instid0(VALU_DEP_2) | instskip(NEXT) | instid1(VALU_DEP_2)
	v_mul_lo_u32 v41, v41, s48
	v_mul_hi_u32 v10, s43, v9
	v_mul_lo_u32 v42, v9, s39
	s_delay_alu instid0(VALU_DEP_2) | instskip(NEXT) | instid1(VALU_DEP_2)
	v_add_nc_u32_e32 v10, v9, v10
	v_sub_nc_u32_e32 v8, v8, v42
	s_delay_alu instid0(VALU_DEP_2) | instskip(NEXT) | instid1(VALU_DEP_2)
	v_lshrrev_b32_e32 v10, s44, v10
	v_mul_lo_u32 v8, v8, s49
	s_delay_alu instid0(VALU_DEP_2) | instskip(NEXT) | instid1(VALU_DEP_2)
	v_mul_hi_u32 v16, s46, v10
	v_add3_u32 v1, v41, v1, v8
	s_delay_alu instid0(VALU_DEP_2) | instskip(NEXT) | instid1(VALU_DEP_1)
	v_add_nc_u32_e32 v16, v10, v16
	v_lshrrev_b32_e32 v7, s47, v16
	v_mul_lo_u32 v16, v10, s42
	s_delay_alu instid0(VALU_DEP_2) | instskip(NEXT) | instid1(VALU_DEP_2)
	v_mul_lo_u32 v43, v7, s45
	v_sub_nc_u32_e32 v9, v9, v16
	s_delay_alu instid0(VALU_DEP_2) | instskip(NEXT) | instid1(VALU_DEP_2)
	v_sub_nc_u32_e32 v10, v10, v43
	v_mul_lo_u32 v9, v9, s50
	s_delay_alu instid0(VALU_DEP_2) | instskip(NEXT) | instid1(VALU_DEP_1)
	v_mul_lo_u32 v10, v10, s51
	v_add3_u32 v1, v9, v1, v10
	s_cbranch_scc0 .LBB130_39
; %bb.40:                               ;   in Loop: Header=BB130_9 Depth=1
	s_mov_b32 s14, s30
	s_and_not1_b32 vcc_lo, exec_lo, s31
	s_cbranch_vccz .LBB130_43
	s_branch .LBB130_45
.LBB130_41:                             ;   in Loop: Header=BB130_9 Depth=1
                                        ; implicit-def: $vgpr1
	s_branch .LBB130_46
.LBB130_42:                             ;   in Loop: Header=BB130_9 Depth=1
	v_mov_b32_e32 v7, v0
	s_and_not1_b32 vcc_lo, exec_lo, s31
	s_cbranch_vccnz .LBB130_45
.LBB130_43:                             ;   in Loop: Header=BB130_9 Depth=1
	s_lshl_b32 s15, s14, 2
	s_mul_i32 s22, s14, 12
	s_add_u32 s14, s0, s15
	s_addc_u32 s15, s1, 0
	s_add_u32 s22, s18, s22
	s_addc_u32 s23, s19, 0
	s_mov_b32 s34, s28
	.p2align	6
.LBB130_44:                             ;   Parent Loop BB130_9 Depth=1
                                        ; =>  This Inner Loop Header: Depth=2
	s_clause 0x1
	s_load_b64 s[36:37], s[22:23], 0x4
	s_load_b32 s35, s[22:23], 0xc
	s_add_u32 s22, s22, 12
	s_addc_u32 s23, s23, 0
	s_waitcnt lgkmcnt(0)
	v_mul_hi_u32 v8, s37, v7
	s_load_b32 s37, s[14:15], 0x0
	s_add_u32 s14, s14, 4
	s_addc_u32 s15, s15, 0
	s_add_i32 s34, s34, -1
	s_delay_alu instid0(SALU_CYCLE_1) | instskip(NEXT) | instid1(VALU_DEP_1)
	s_cmp_lg_u32 s34, 0
	v_add_nc_u32_e32 v8, v7, v8
	s_delay_alu instid0(VALU_DEP_1) | instskip(NEXT) | instid1(VALU_DEP_1)
	v_lshrrev_b32_e32 v10, s35, v8
	v_mul_lo_u32 v8, v10, s36
	s_delay_alu instid0(VALU_DEP_1) | instskip(SKIP_1) | instid1(VALU_DEP_1)
	v_sub_nc_u32_e32 v7, v7, v8
	s_waitcnt lgkmcnt(0)
	v_mad_u64_u32 v[8:9], null, v7, s37, v[1:2]
	v_mov_b32_e32 v7, v10
	s_delay_alu instid0(VALU_DEP_2)
	v_mov_b32_e32 v1, v8
	s_cbranch_scc1 .LBB130_44
.LBB130_45:                             ;   in Loop: Header=BB130_9 Depth=1
	s_cbranch_execnz .LBB130_7
.LBB130_46:                             ;   in Loop: Header=BB130_9 Depth=1
	v_mul_hi_u32 v1, v0, s6
	s_and_not1_b32 vcc_lo, exec_lo, s4
	s_delay_alu instid0(VALU_DEP_1) | instskip(NEXT) | instid1(VALU_DEP_1)
	v_add_nc_u32_e32 v1, v1, v0
	v_lshrrev_b32_e32 v7, s7, v1
	s_delay_alu instid0(VALU_DEP_1) | instskip(NEXT) | instid1(VALU_DEP_1)
	v_mul_lo_u32 v1, v7, s5
	v_sub_nc_u32_e32 v0, v0, v1
	s_delay_alu instid0(VALU_DEP_1)
	v_mul_lo_u32 v1, v0, s20
	s_cbranch_vccnz .LBB130_7
; %bb.47:                               ;   in Loop: Header=BB130_9 Depth=1
	v_mul_hi_u32 v0, s9, v7
	s_delay_alu instid0(VALU_DEP_1) | instskip(NEXT) | instid1(VALU_DEP_1)
	v_add_nc_u32_e32 v0, v7, v0
	v_lshrrev_b32_e32 v0, s10, v0
	s_delay_alu instid0(VALU_DEP_1) | instskip(NEXT) | instid1(VALU_DEP_1)
	v_mul_lo_u32 v0, v0, s8
	v_sub_nc_u32_e32 v0, v7, v0
	s_delay_alu instid0(VALU_DEP_1) | instskip(NEXT) | instid1(VALU_DEP_1)
	v_mad_u64_u32 v[7:8], null, v0, s21, v[1:2]
	v_mov_b32_e32 v1, v7
	s_branch .LBB130_7
.LBB130_48:
	s_endpgm
.LBB130_49:
                                        ; implicit-def: $sgpr2_sgpr3
	s_branch .LBB130_4
	.section	.rodata,"a",@progbits
	.p2align	6, 0x0
	.amdhsa_kernel _ZN2at6native12_GLOBAL__N_143distribution_elementwise_grid_stride_kernelIfLi4EZNS0_9templates4cuda21uniform_and_transformIifPNS_17CUDAGeneratorImplEZZZNS4_16bernoulli_kernelIS7_EEvRNS_18TensorIteratorBaseEdT_ENKUlvE_clEvENKUlvE1_clEvEUlfE_EEvSA_T1_T2_EUlP25hiprandStatePhilox4_32_10E_ZNS1_27distribution_nullary_kernelIif15HIP_vector_typeIdLj2EES7_SJ_SE_EEvSA_SG_RKT3_T4_EUlifE0_EEvlNS_15PhiloxCudaStateESF_SG_
		.amdhsa_group_segment_fixed_size 0
		.amdhsa_private_segment_fixed_size 0
		.amdhsa_kernarg_size 584
		.amdhsa_user_sgpr_count 15
		.amdhsa_user_sgpr_dispatch_ptr 0
		.amdhsa_user_sgpr_queue_ptr 0
		.amdhsa_user_sgpr_kernarg_segment_ptr 1
		.amdhsa_user_sgpr_dispatch_id 0
		.amdhsa_user_sgpr_private_segment_size 0
		.amdhsa_wavefront_size32 1
		.amdhsa_uses_dynamic_stack 0
		.amdhsa_enable_private_segment 0
		.amdhsa_system_sgpr_workgroup_id_x 1
		.amdhsa_system_sgpr_workgroup_id_y 0
		.amdhsa_system_sgpr_workgroup_id_z 0
		.amdhsa_system_sgpr_workgroup_info 0
		.amdhsa_system_vgpr_workitem_id 0
		.amdhsa_next_free_vgpr 45
		.amdhsa_next_free_sgpr 52
		.amdhsa_reserve_vcc 1
		.amdhsa_float_round_mode_32 0
		.amdhsa_float_round_mode_16_64 0
		.amdhsa_float_denorm_mode_32 3
		.amdhsa_float_denorm_mode_16_64 3
		.amdhsa_dx10_clamp 1
		.amdhsa_ieee_mode 1
		.amdhsa_fp16_overflow 0
		.amdhsa_workgroup_processor_mode 1
		.amdhsa_memory_ordered 1
		.amdhsa_forward_progress 0
		.amdhsa_shared_vgpr_count 0
		.amdhsa_exception_fp_ieee_invalid_op 0
		.amdhsa_exception_fp_denorm_src 0
		.amdhsa_exception_fp_ieee_div_zero 0
		.amdhsa_exception_fp_ieee_overflow 0
		.amdhsa_exception_fp_ieee_underflow 0
		.amdhsa_exception_fp_ieee_inexact 0
		.amdhsa_exception_int_div_zero 0
	.end_amdhsa_kernel
	.section	.text._ZN2at6native12_GLOBAL__N_143distribution_elementwise_grid_stride_kernelIfLi4EZNS0_9templates4cuda21uniform_and_transformIifPNS_17CUDAGeneratorImplEZZZNS4_16bernoulli_kernelIS7_EEvRNS_18TensorIteratorBaseEdT_ENKUlvE_clEvENKUlvE1_clEvEUlfE_EEvSA_T1_T2_EUlP25hiprandStatePhilox4_32_10E_ZNS1_27distribution_nullary_kernelIif15HIP_vector_typeIdLj2EES7_SJ_SE_EEvSA_SG_RKT3_T4_EUlifE0_EEvlNS_15PhiloxCudaStateESF_SG_,"axG",@progbits,_ZN2at6native12_GLOBAL__N_143distribution_elementwise_grid_stride_kernelIfLi4EZNS0_9templates4cuda21uniform_and_transformIifPNS_17CUDAGeneratorImplEZZZNS4_16bernoulli_kernelIS7_EEvRNS_18TensorIteratorBaseEdT_ENKUlvE_clEvENKUlvE1_clEvEUlfE_EEvSA_T1_T2_EUlP25hiprandStatePhilox4_32_10E_ZNS1_27distribution_nullary_kernelIif15HIP_vector_typeIdLj2EES7_SJ_SE_EEvSA_SG_RKT3_T4_EUlifE0_EEvlNS_15PhiloxCudaStateESF_SG_,comdat
.Lfunc_end130:
	.size	_ZN2at6native12_GLOBAL__N_143distribution_elementwise_grid_stride_kernelIfLi4EZNS0_9templates4cuda21uniform_and_transformIifPNS_17CUDAGeneratorImplEZZZNS4_16bernoulli_kernelIS7_EEvRNS_18TensorIteratorBaseEdT_ENKUlvE_clEvENKUlvE1_clEvEUlfE_EEvSA_T1_T2_EUlP25hiprandStatePhilox4_32_10E_ZNS1_27distribution_nullary_kernelIif15HIP_vector_typeIdLj2EES7_SJ_SE_EEvSA_SG_RKT3_T4_EUlifE0_EEvlNS_15PhiloxCudaStateESF_SG_, .Lfunc_end130-_ZN2at6native12_GLOBAL__N_143distribution_elementwise_grid_stride_kernelIfLi4EZNS0_9templates4cuda21uniform_and_transformIifPNS_17CUDAGeneratorImplEZZZNS4_16bernoulli_kernelIS7_EEvRNS_18TensorIteratorBaseEdT_ENKUlvE_clEvENKUlvE1_clEvEUlfE_EEvSA_T1_T2_EUlP25hiprandStatePhilox4_32_10E_ZNS1_27distribution_nullary_kernelIif15HIP_vector_typeIdLj2EES7_SJ_SE_EEvSA_SG_RKT3_T4_EUlifE0_EEvlNS_15PhiloxCudaStateESF_SG_
                                        ; -- End function
	.section	.AMDGPU.csdata,"",@progbits
; Kernel info:
; codeLenInByte = 3960
; NumSgprs: 54
; NumVgprs: 45
; ScratchSize: 0
; MemoryBound: 0
; FloatMode: 240
; IeeeMode: 1
; LDSByteSize: 0 bytes/workgroup (compile time only)
; SGPRBlocks: 6
; VGPRBlocks: 5
; NumSGPRsForWavesPerEU: 54
; NumVGPRsForWavesPerEU: 45
; Occupancy: 16
; WaveLimiterHint : 1
; COMPUTE_PGM_RSRC2:SCRATCH_EN: 0
; COMPUTE_PGM_RSRC2:USER_SGPR: 15
; COMPUTE_PGM_RSRC2:TRAP_HANDLER: 0
; COMPUTE_PGM_RSRC2:TGID_X_EN: 1
; COMPUTE_PGM_RSRC2:TGID_Y_EN: 0
; COMPUTE_PGM_RSRC2:TGID_Z_EN: 0
; COMPUTE_PGM_RSRC2:TIDIG_COMP_CNT: 0
	.section	.text._ZN2at6native12_GLOBAL__N_143distribution_elementwise_grid_stride_kernelIfLi4EZNS0_9templates4cuda21uniform_and_transformIifPNS_17CUDAGeneratorImplEZZZNS4_16bernoulli_kernelIS7_EEvRNS_18TensorIteratorBaseEdT_ENKUlvE_clEvENKUlvE1_clEvEUlfE_EEvSA_T1_T2_EUlP25hiprandStatePhilox4_32_10E0_ZNS1_27distribution_nullary_kernelIif15HIP_vector_typeIfLj4EES7_SJ_SE_EEvSA_SG_RKT3_T4_EUlifE_EEvlNS_15PhiloxCudaStateESF_SG_,"axG",@progbits,_ZN2at6native12_GLOBAL__N_143distribution_elementwise_grid_stride_kernelIfLi4EZNS0_9templates4cuda21uniform_and_transformIifPNS_17CUDAGeneratorImplEZZZNS4_16bernoulli_kernelIS7_EEvRNS_18TensorIteratorBaseEdT_ENKUlvE_clEvENKUlvE1_clEvEUlfE_EEvSA_T1_T2_EUlP25hiprandStatePhilox4_32_10E0_ZNS1_27distribution_nullary_kernelIif15HIP_vector_typeIfLj4EES7_SJ_SE_EEvSA_SG_RKT3_T4_EUlifE_EEvlNS_15PhiloxCudaStateESF_SG_,comdat
	.globl	_ZN2at6native12_GLOBAL__N_143distribution_elementwise_grid_stride_kernelIfLi4EZNS0_9templates4cuda21uniform_and_transformIifPNS_17CUDAGeneratorImplEZZZNS4_16bernoulli_kernelIS7_EEvRNS_18TensorIteratorBaseEdT_ENKUlvE_clEvENKUlvE1_clEvEUlfE_EEvSA_T1_T2_EUlP25hiprandStatePhilox4_32_10E0_ZNS1_27distribution_nullary_kernelIif15HIP_vector_typeIfLj4EES7_SJ_SE_EEvSA_SG_RKT3_T4_EUlifE_EEvlNS_15PhiloxCudaStateESF_SG_ ; -- Begin function _ZN2at6native12_GLOBAL__N_143distribution_elementwise_grid_stride_kernelIfLi4EZNS0_9templates4cuda21uniform_and_transformIifPNS_17CUDAGeneratorImplEZZZNS4_16bernoulli_kernelIS7_EEvRNS_18TensorIteratorBaseEdT_ENKUlvE_clEvENKUlvE1_clEvEUlfE_EEvSA_T1_T2_EUlP25hiprandStatePhilox4_32_10E0_ZNS1_27distribution_nullary_kernelIif15HIP_vector_typeIfLj4EES7_SJ_SE_EEvSA_SG_RKT3_T4_EUlifE_EEvlNS_15PhiloxCudaStateESF_SG_
	.p2align	8
	.type	_ZN2at6native12_GLOBAL__N_143distribution_elementwise_grid_stride_kernelIfLi4EZNS0_9templates4cuda21uniform_and_transformIifPNS_17CUDAGeneratorImplEZZZNS4_16bernoulli_kernelIS7_EEvRNS_18TensorIteratorBaseEdT_ENKUlvE_clEvENKUlvE1_clEvEUlfE_EEvSA_T1_T2_EUlP25hiprandStatePhilox4_32_10E0_ZNS1_27distribution_nullary_kernelIif15HIP_vector_typeIfLj4EES7_SJ_SE_EEvSA_SG_RKT3_T4_EUlifE_EEvlNS_15PhiloxCudaStateESF_SG_,@function
_ZN2at6native12_GLOBAL__N_143distribution_elementwise_grid_stride_kernelIfLi4EZNS0_9templates4cuda21uniform_and_transformIifPNS_17CUDAGeneratorImplEZZZNS4_16bernoulli_kernelIS7_EEvRNS_18TensorIteratorBaseEdT_ENKUlvE_clEvENKUlvE1_clEvEUlfE_EEvSA_T1_T2_EUlP25hiprandStatePhilox4_32_10E0_ZNS1_27distribution_nullary_kernelIif15HIP_vector_typeIfLj4EES7_SJ_SE_EEvSA_SG_RKT3_T4_EUlifE_EEvlNS_15PhiloxCudaStateESF_SG_: ; @_ZN2at6native12_GLOBAL__N_143distribution_elementwise_grid_stride_kernelIfLi4EZNS0_9templates4cuda21uniform_and_transformIifPNS_17CUDAGeneratorImplEZZZNS4_16bernoulli_kernelIS7_EEvRNS_18TensorIteratorBaseEdT_ENKUlvE_clEvENKUlvE1_clEvEUlfE_EEvSA_T1_T2_EUlP25hiprandStatePhilox4_32_10E0_ZNS1_27distribution_nullary_kernelIif15HIP_vector_typeIfLj4EES7_SJ_SE_EEvSA_SG_RKT3_T4_EUlifE_EEvlNS_15PhiloxCudaStateESF_SG_
; %bb.0:
	s_clause 0x2
	s_load_b64 s[8:9], s[0:1], 0x10
	s_load_b128 s[4:7], s[0:1], 0x0
	s_load_b32 s2, s[0:1], 0x20
	s_waitcnt lgkmcnt(0)
	v_dual_mov_b32 v2, s8 :: v_dual_mov_b32 v3, s9
	v_dual_mov_b32 v12, s7 :: v_dual_mov_b32 v11, s6
	s_bitcmp0_b32 s2, 0
	s_mov_b32 s2, 0
	s_cbranch_scc1 .LBB131_2
; %bb.1:
	v_dual_mov_b32 v1, s8 :: v_dual_mov_b32 v2, s9
	v_dual_mov_b32 v4, s6 :: v_dual_mov_b32 v5, s7
	s_load_b64 s[6:7], s[0:1], 0x18
	flat_load_b64 v[2:3], v[1:2]
	flat_load_b64 v[11:12], v[4:5]
	s_waitcnt vmcnt(1) lgkmcnt(0)
	v_add_co_u32 v2, vcc_lo, v2, s6
	v_add_co_ci_u32_e32 v3, vcc_lo, s7, v3, vcc_lo
.LBB131_2:
	s_clause 0x1
	s_load_b32 s3, s[0:1], 0x54
	s_load_b32 s11, s[0:1], 0x48
	s_waitcnt lgkmcnt(0)
	s_and_b32 s10, s3, 0xffff
	s_add_u32 s6, s4, -1
	s_mul_i32 s8, s11, s10
	s_addc_u32 s3, s5, -1
	s_lshl_b32 s9, s8, 2
	s_cmp_lg_u64 s[2:3], 0
	s_cbranch_scc0 .LBB131_27
; %bb.3:
	v_cvt_f32_ubyte0_e32 v1, 0
	v_cvt_f32_u32_e32 v4, s9
	s_sub_u32 s12, 0, s9
	s_subb_u32 s13, 0, 0
	s_delay_alu instid0(VALU_DEP_1) | instskip(NEXT) | instid1(VALU_DEP_1)
	v_fmamk_f32 v1, v1, 0x4f800000, v4
	v_rcp_f32_e32 v1, v1
	s_waitcnt_depctr 0xfff
	v_mul_f32_e32 v1, 0x5f7ffffc, v1
	s_delay_alu instid0(VALU_DEP_1) | instskip(NEXT) | instid1(VALU_DEP_1)
	v_mul_f32_e32 v4, 0x2f800000, v1
	v_trunc_f32_e32 v4, v4
	s_delay_alu instid0(VALU_DEP_1) | instskip(SKIP_1) | instid1(VALU_DEP_2)
	v_fmamk_f32 v1, v4, 0xcf800000, v1
	v_cvt_u32_f32_e32 v4, v4
	v_cvt_u32_f32_e32 v1, v1
	s_delay_alu instid0(VALU_DEP_2) | instskip(NEXT) | instid1(VALU_DEP_2)
	v_readfirstlane_b32 s2, v4
	v_readfirstlane_b32 s7, v1
	s_delay_alu instid0(VALU_DEP_2) | instskip(NEXT) | instid1(VALU_DEP_1)
	s_mul_i32 s14, s12, s2
	s_mul_hi_u32 s17, s12, s7
	s_mul_i32 s16, s13, s7
	s_add_i32 s14, s17, s14
	s_mul_i32 s18, s12, s7
	s_add_i32 s14, s14, s16
	s_mul_hi_u32 s17, s7, s18
	s_mul_hi_u32 s19, s2, s18
	s_mul_i32 s16, s2, s18
	s_mul_hi_u32 s18, s7, s14
	s_mul_i32 s7, s7, s14
	s_mul_hi_u32 s20, s2, s14
	s_add_u32 s7, s17, s7
	s_addc_u32 s17, 0, s18
	s_add_u32 s7, s7, s16
	s_mul_i32 s14, s2, s14
	s_addc_u32 s7, s17, s19
	s_addc_u32 s16, s20, 0
	s_add_u32 s7, s7, s14
	s_addc_u32 s14, 0, s16
	v_add_co_u32 v1, s7, v1, s7
	s_delay_alu instid0(VALU_DEP_1) | instskip(SKIP_1) | instid1(VALU_DEP_1)
	s_cmp_lg_u32 s7, 0
	s_addc_u32 s2, s2, s14
	v_readfirstlane_b32 s7, v1
	s_mul_i32 s14, s12, s2
	s_delay_alu instid0(VALU_DEP_1)
	s_mul_hi_u32 s16, s12, s7
	s_mul_i32 s13, s13, s7
	s_add_i32 s14, s16, s14
	s_mul_i32 s12, s12, s7
	s_add_i32 s14, s14, s13
	s_mul_hi_u32 s16, s2, s12
	s_mul_i32 s17, s2, s12
	s_mul_hi_u32 s12, s7, s12
	s_mul_hi_u32 s18, s7, s14
	s_mul_i32 s7, s7, s14
	s_mul_hi_u32 s13, s2, s14
	s_add_u32 s7, s12, s7
	s_addc_u32 s12, 0, s18
	s_add_u32 s7, s7, s17
	s_mul_i32 s14, s2, s14
	s_addc_u32 s7, s12, s16
	s_addc_u32 s12, s13, 0
	s_add_u32 s7, s7, s14
	s_addc_u32 s12, 0, s12
	v_add_co_u32 v1, s7, v1, s7
	s_delay_alu instid0(VALU_DEP_1) | instskip(SKIP_2) | instid1(VALU_DEP_1)
	s_cmp_lg_u32 s7, 0
	s_addc_u32 s7, s2, s12
	s_ashr_i32 s12, s3, 31
	v_readfirstlane_b32 s14, v1
	s_add_u32 s2, s6, s12
	s_mov_b32 s13, s12
	s_addc_u32 s3, s3, s12
	s_delay_alu instid0(SALU_CYCLE_1) | instskip(NEXT) | instid1(SALU_CYCLE_1)
	s_xor_b64 s[2:3], s[2:3], s[12:13]
	s_mul_i32 s17, s2, s7
	s_mul_hi_u32 s18, s2, s14
	s_mul_hi_u32 s16, s2, s7
	;; [unrolled: 1-line block ×3, first 2 shown]
	s_mul_i32 s14, s3, s14
	s_add_u32 s17, s18, s17
	s_addc_u32 s16, 0, s16
	s_mul_hi_u32 s19, s3, s7
	s_add_u32 s14, s17, s14
	s_mul_i32 s7, s3, s7
	s_addc_u32 s14, s16, s20
	s_addc_u32 s16, s19, 0
	s_add_u32 s7, s14, s7
	s_addc_u32 s14, 0, s16
	s_mul_i32 s17, s9, s7
	s_add_u32 s16, s7, 1
	v_sub_co_u32 v1, s2, s2, s17
	s_mul_hi_u32 s17, s9, s7
	s_addc_u32 s18, s14, 0
	s_mul_i32 s19, s9, s14
	s_delay_alu instid0(VALU_DEP_1)
	v_sub_co_u32 v4, s20, v1, s9
	s_add_u32 s21, s7, 2
	s_addc_u32 s22, s14, 0
	s_add_i32 s17, s17, s19
	s_cmp_lg_u32 s2, 0
	v_readfirstlane_b32 s2, v4
	s_subb_u32 s3, s3, s17
	s_cmp_lg_u32 s20, 0
	s_subb_u32 s17, s3, 0
	s_delay_alu instid0(VALU_DEP_1) | instskip(SKIP_4) | instid1(SALU_CYCLE_1)
	s_cmp_ge_u32 s2, s9
	s_cselect_b32 s2, -1, 0
	s_cmp_eq_u32 s17, 0
	v_readfirstlane_b32 s17, v1
	s_cselect_b32 s2, s2, -1
	s_cmp_lg_u32 s2, 0
	s_cselect_b32 s2, s21, s16
	s_cselect_b32 s16, s22, s18
	s_cmp_ge_u32 s17, s9
	s_cselect_b32 s17, -1, 0
	s_cmp_eq_u32 s3, 0
	s_cselect_b32 s3, s17, -1
	s_delay_alu instid0(SALU_CYCLE_1) | instskip(SKIP_2) | instid1(SALU_CYCLE_1)
	s_cmp_lg_u32 s3, 0
	s_cselect_b32 s3, s16, s14
	s_cselect_b32 s2, s2, s7
	s_xor_b64 s[2:3], s[2:3], s[12:13]
	s_delay_alu instid0(SALU_CYCLE_1)
	s_sub_u32 s2, s2, s12
	s_subb_u32 s3, s3, s12
	s_cbranch_execnz .LBB131_5
.LBB131_4:
	v_cvt_f32_u32_e32 v1, s9
	s_sub_i32 s3, 0, s9
	s_delay_alu instid0(VALU_DEP_1) | instskip(SKIP_2) | instid1(VALU_DEP_1)
	v_rcp_iflag_f32_e32 v1, v1
	s_waitcnt_depctr 0xfff
	v_mul_f32_e32 v1, 0x4f7ffffe, v1
	v_cvt_u32_f32_e32 v1, v1
	s_delay_alu instid0(VALU_DEP_1) | instskip(NEXT) | instid1(VALU_DEP_1)
	v_readfirstlane_b32 s2, v1
	s_mul_i32 s3, s3, s2
	s_delay_alu instid0(SALU_CYCLE_1) | instskip(NEXT) | instid1(SALU_CYCLE_1)
	s_mul_hi_u32 s3, s2, s3
	s_add_i32 s2, s2, s3
	s_delay_alu instid0(SALU_CYCLE_1) | instskip(NEXT) | instid1(SALU_CYCLE_1)
	s_mul_hi_u32 s2, s6, s2
	s_mul_i32 s3, s2, s9
	s_delay_alu instid0(SALU_CYCLE_1)
	s_sub_i32 s3, s6, s3
	s_add_i32 s6, s2, 1
	s_sub_i32 s7, s3, s9
	s_cmp_ge_u32 s3, s9
	s_cselect_b32 s2, s6, s2
	s_cselect_b32 s3, s7, s3
	s_add_i32 s6, s2, 1
	s_cmp_ge_u32 s3, s9
	s_mov_b32 s3, 0
	s_cselect_b32 s2, s6, s2
.LBB131_5:
	v_mov_b32_e32 v1, 0
	s_add_u32 s2, s2, 1
	s_addc_u32 s3, s3, 0
	s_mul_hi_u32 s6, s8, s2
	s_mul_i32 s3, s8, s3
	v_mad_u64_u32 v[13:14], null, s10, s15, v[0:1]
	s_mul_hi_u32 s7, s11, s10
	s_add_i32 s3, s6, s3
	s_mul_i32 s7, s7, s2
	s_mul_i32 s2, s8, s2
	s_add_i32 s3, s3, s7
	s_mov_b32 s6, exec_lo
	s_lshl_b64 s[2:3], s[2:3], 2
	s_delay_alu instid0(SALU_CYCLE_1)
	v_cmpx_gt_i64_e64 s[2:3], v[13:14]
	s_cbranch_execz .LBB131_26
; %bb.6:
	v_alignbit_b32 v17, v3, v2, 2
	v_mad_u64_u32 v[6:7], null, 0xcd9e8d57, v13, 0
	v_lshrrev_b32_e32 v18, 2, v3
	s_waitcnt vmcnt(0)
	v_dual_mov_b32 v15, v12 :: v_dual_add_nc_u32 v28, 0x8ff34781, v11
	v_mad_u64_u32 v[4:5], null, 0xd2511f53, v17, 0
	v_add_co_u32 v20, null, 0x9e3779b9, v11
	v_xor3_b32 v3, v11, v7, v18
	s_delay_alu instid0(VALU_DEP_4) | instskip(SKIP_2) | instid1(VALU_DEP_4)
	v_add_co_u32 v19, null, 0xbb67ae85, v15
	v_add_co_u32 v21, null, 0x3c6ef372, v11
	v_xor_b32_e32 v1, v5, v12
	v_mad_u64_u32 v[7:8], null, 0xd2511f53, v3, 0
	v_add_co_u32 v22, null, 0x76cf5d0a, v15
	s_delay_alu instid0(VALU_DEP_3) | instskip(SKIP_2) | instid1(VALU_DEP_3)
	v_xor_b32_e32 v1, v1, v14
	v_add_co_u32 v23, null, 0x32370b8f, v15
	v_add_co_u32 v24, null, 0xdaa66d2b, v11
	v_mad_u64_u32 v[9:10], null, 0xcd9e8d57, v1, 0
	v_xor3_b32 v1, v19, v8, v4
	v_add_co_u32 v25, null, 0x78dde6e4, v11
	v_add_co_u32 v26, null, 0xed9eba14, v15
	s_delay_alu instid0(VALU_DEP_3) | instskip(SKIP_3) | instid1(VALU_DEP_3)
	v_mad_u64_u32 v[3:4], null, 0xcd9e8d57, v1, 0
	v_xor3_b32 v8, v20, v10, v6
	v_dual_mov_b32 v38, v13 :: v_dual_and_b32 v27, 3, v2
	v_add_co_u32 v29, null, 0xa9066899, v15
	v_mad_u64_u32 v[5:6], null, 0xd2511f53, v8, 0
	v_xor3_b32 v1, v21, v4, v9
	v_add_co_u32 v30, null, 0x1715609d, v11
	s_clause 0x2
	s_load_b64 s[6:7], s[0:1], 0x30
	s_load_b32 s14, s[0:1], 0x38
	s_load_b64 s[12:13], s[0:1], 0x40
	v_add_co_u32 v33, null, 0xb54cda56, v11
	v_xor3_b32 v4, v22, v6, v7
	v_mad_u64_u32 v[6:7], null, 0xd2511f53, v1, 0
	v_add_co_u32 v35, null, 0x646e171e, v15
	s_delay_alu instid0(VALU_DEP_3) | instskip(SKIP_1) | instid1(VALU_DEP_4)
	v_mad_u64_u32 v[8:9], null, 0xcd9e8d57, v4, 0
	v_add_co_u32 v36, null, 0x1fd5c5a3, v15
	v_xor3_b32 v1, v23, v7, v5
	v_add_co_u32 v32, null, 0x5384540f, v11
	v_add_co_u32 v34, null, 0xf1bbcdc8, v11
	v_xor3_b32 v5, v24, v9, v3
	s_delay_alu instid0(VALU_DEP_4)
	v_mad_u64_u32 v[3:4], null, 0xcd9e8d57, v1, 0
	s_waitcnt lgkmcnt(0)
	v_cvt_f32_f64_e32 v37, s[12:13]
	s_mul_i32 s16, s11, 3
	v_mad_u64_u32 v[9:10], null, 0xd2511f53, v5, 0
	s_add_i32 s18, s15, s11
	s_add_i32 s12, s15, s16
	s_delay_alu instid0(VALU_DEP_3) | instskip(SKIP_2) | instid1(VALU_DEP_3)
	v_xor3_b32 v4, v25, v4, v8
	v_add_co_u32 v39, null, 0xdb3d7428, v15
	s_lshl_b32 s17, s11, 1
	v_xor3_b32 v6, v26, v10, v6
	s_delay_alu instid0(VALU_DEP_3) | instskip(SKIP_1) | instid1(VALU_DEP_3)
	v_mad_u64_u32 v[1:2], null, 0xd2511f53, v4, 0
	v_dual_mov_b32 v44, v14 :: v_dual_add_nc_u32 v31, 0x96a522ad, v12
	v_mad_u64_u32 v[4:5], null, 0xcd9e8d57, v6, 0
	s_mul_i32 s11, s11, s14
	s_mov_b32 s0, 0
	s_delay_alu instid0(VALU_DEP_3) | instskip(SKIP_3) | instid1(VALU_DEP_2)
	v_xor3_b32 v6, v29, v2, v9
	s_mul_i32 s11, s11, s10
	s_lshl_b32 s1, s8, 1
	s_lshl_b32 s11, s11, 2
	v_xor3_b32 v7, v30, v5, v3
	v_mad_u64_u32 v[2:3], null, 0xcd9e8d57, v6, 0
	s_delay_alu instid0(VALU_DEP_2) | instskip(NEXT) | instid1(VALU_DEP_2)
	v_mad_u64_u32 v[5:6], null, 0xd2511f53, v7, 0
	v_xor3_b32 v8, v33, v3, v4
	v_mad_u64_u32 v[3:4], null, s15, s10, v[0:1]
	s_add_i32 s15, s15, s17
	s_delay_alu instid0(VALU_DEP_3) | instskip(NEXT) | instid1(VALU_DEP_3)
	v_xor3_b32 v1, v35, v6, v1
	v_mad_u64_u32 v[6:7], null, 0xd2511f53, v8, 0
	s_delay_alu instid0(VALU_DEP_2) | instskip(NEXT) | instid1(VALU_DEP_4)
	v_mad_u64_u32 v[8:9], null, 0xcd9e8d57, v1, 0
	v_mul_lo_u32 v40, s14, v3
	s_delay_alu instid0(VALU_DEP_3) | instskip(NEXT) | instid1(VALU_DEP_3)
	v_xor3_b32 v1, v36, v7, v5
	v_xor3_b32 v2, v32, v9, v2
	s_delay_alu instid0(VALU_DEP_2) | instskip(SKIP_1) | instid1(VALU_DEP_3)
	v_mad_u64_u32 v[4:5], null, 0xcd9e8d57, v1, 0
	v_mad_u64_u32 v[15:16], null, s18, s10, v[0:1]
	;; [unrolled: 1-line block ×4, first 2 shown]
	s_delay_alu instid0(VALU_DEP_4) | instskip(SKIP_1) | instid1(VALU_DEP_4)
	v_xor3_b32 v1, v34, v5, v8
	s_mov_b32 s12, 0
	v_mul_lo_u32 v43, s14, v15
	s_delay_alu instid0(VALU_DEP_4) | instskip(NEXT) | instid1(VALU_DEP_3)
	v_xor3_b32 v8, v39, v10, v6
	v_mad_u64_u32 v[5:6], null, s15, s10, v[0:1]
	v_mad_u64_u32 v[6:7], null, 0xd2511f53, v1, 0
	s_delay_alu instid0(VALU_DEP_3) | instskip(SKIP_2) | instid1(VALU_DEP_4)
	v_mad_u64_u32 v[1:2], null, 0xcd9e8d57, v8, 0
	v_mul_lo_u32 v41, s14, v41
	s_mul_i32 s10, s8, 3
	v_mul_lo_u32 v42, s14, v5
	s_delay_alu instid0(VALU_DEP_4) | instskip(NEXT) | instid1(VALU_DEP_4)
	v_mov_b32_e32 v3, v6
	v_xor3_b32 v0, v2, v4, v28
	v_xor3_b32 v2, v7, v9, v31
	s_branch .LBB131_8
.LBB131_7:                              ;   in Loop: Header=BB131_8 Depth=1
	s_or_b32 exec_lo, exec_lo, s13
	v_add_co_u32 v13, vcc_lo, v13, s9
	v_add_co_ci_u32_e32 v14, vcc_lo, 0, v14, vcc_lo
	v_mov_b32_e32 v7, v15
	v_dual_mov_b32 v0, v4 :: v_dual_mov_b32 v1, v5
	s_delay_alu instid0(VALU_DEP_3) | instskip(NEXT) | instid1(VALU_DEP_3)
	v_cmp_le_i64_e32 vcc_lo, s[2:3], v[13:14]
	v_dual_mov_b32 v2, v6 :: v_dual_mov_b32 v3, v7
	s_add_i32 s12, s12, s11
	s_waitcnt_vscnt null, 0x0
	s_barrier
	s_or_b32 s0, vcc_lo, s0
	buffer_gl0_inv
	s_and_not1_b32 exec_lo, exec_lo, s0
	s_cbranch_execz .LBB131_26
.LBB131_8:                              ; =>This Inner Loop Header: Depth=1
	v_add_co_u32 v17, vcc_lo, v17, 1
	s_delay_alu instid0(VALU_DEP_1) | instskip(SKIP_2) | instid1(VALU_DEP_1)
	v_cndmask_b32_e64 v4, 0, 1, vcc_lo
	v_add_co_ci_u32_e32 v18, vcc_lo, 0, v18, vcc_lo
	s_mov_b32 s13, exec_lo
	v_cmp_eq_u32_e32 vcc_lo, 0, v18
	s_delay_alu instid0(VALU_DEP_3) | instskip(NEXT) | instid1(VALU_DEP_1)
	v_cndmask_b32_e32 v4, 0, v4, vcc_lo
	v_add_nc_u32_e32 v38, v4, v38
	s_delay_alu instid0(VALU_DEP_1) | instskip(SKIP_2) | instid1(VALU_DEP_2)
	v_cmp_eq_u32_e32 vcc_lo, 0, v38
	v_mad_u64_u32 v[6:7], null, 0xcd9e8d57, v38, 0
	v_cndmask_b32_e32 v4, 0, v4, vcc_lo
	v_xor3_b32 v9, v7, v11, v18
	s_delay_alu instid0(VALU_DEP_2) | instskip(SKIP_1) | instid1(VALU_DEP_3)
	v_add_nc_u32_e32 v44, v4, v44
	v_mad_u64_u32 v[4:5], null, 0xd2511f53, v17, 0
	v_mad_u64_u32 v[7:8], null, 0xd2511f53, v9, 0
	s_delay_alu instid0(VALU_DEP_2) | instskip(NEXT) | instid1(VALU_DEP_2)
	v_xor_b32_e32 v5, v5, v12
	v_xor3_b32 v8, v19, v8, v4
	s_delay_alu instid0(VALU_DEP_2) | instskip(NEXT) | instid1(VALU_DEP_1)
	v_xor_b32_e32 v5, v44, v5
	v_mad_u64_u32 v[9:10], null, 0xcd9e8d57, v5, 0
	s_delay_alu instid0(VALU_DEP_3) | instskip(NEXT) | instid1(VALU_DEP_2)
	v_mad_u64_u32 v[4:5], null, 0xcd9e8d57, v8, 0
	v_xor3_b32 v6, v20, v10, v6
	s_delay_alu instid0(VALU_DEP_2) | instskip(NEXT) | instid1(VALU_DEP_2)
	v_xor3_b32 v8, v21, v5, v9
	v_mad_u64_u32 v[15:16], null, 0xd2511f53, v6, 0
	s_delay_alu instid0(VALU_DEP_2) | instskip(NEXT) | instid1(VALU_DEP_2)
	v_mad_u64_u32 v[5:6], null, 0xd2511f53, v8, 0
	v_xor3_b32 v9, v22, v16, v7
	s_delay_alu instid0(VALU_DEP_2) | instskip(NEXT) | instid1(VALU_DEP_2)
	v_xor3_b32 v6, v23, v6, v15
	v_mad_u64_u32 v[7:8], null, 0xcd9e8d57, v9, 0
	s_delay_alu instid0(VALU_DEP_1) | instskip(NEXT) | instid1(VALU_DEP_3)
	v_xor3_b32 v4, v24, v8, v4
	v_mad_u64_u32 v[8:9], null, 0xcd9e8d57, v6, 0
	s_delay_alu instid0(VALU_DEP_2) | instskip(NEXT) | instid1(VALU_DEP_2)
	v_mad_u64_u32 v[15:16], null, 0xd2511f53, v4, 0
	v_xor3_b32 v6, v25, v9, v7
	s_delay_alu instid0(VALU_DEP_2) | instskip(NEXT) | instid1(VALU_DEP_2)
	v_xor3_b32 v9, v26, v16, v5
	v_mad_u64_u32 v[4:5], null, 0xd2511f53, v6, 0
	s_delay_alu instid0(VALU_DEP_2) | instskip(NEXT) | instid1(VALU_DEP_2)
	v_mad_u64_u32 v[6:7], null, 0xcd9e8d57, v9, 0
	v_xor3_b32 v5, v29, v5, v15
	s_delay_alu instid0(VALU_DEP_2) | instskip(NEXT) | instid1(VALU_DEP_2)
	;; [unrolled: 6-line block ×6, first 2 shown]
	v_xor3_b32 v4, v6, v7, v28
	v_mov_b32_e32 v6, v10
	v_cmpx_lt_i32_e32 1, v27
	s_xor_b32 s13, exec_lo, s13
	s_cbranch_execnz .LBB131_18
; %bb.9:                                ;   in Loop: Header=BB131_8 Depth=1
	s_and_not1_saveexec_b32 s13, s13
	s_cbranch_execnz .LBB131_23
.LBB131_10:                             ;   in Loop: Header=BB131_8 Depth=1
	s_or_b32 exec_lo, exec_lo, s13
	s_delay_alu instid0(SALU_CYCLE_1)
	s_mov_b32 s13, exec_lo
	v_cmpx_gt_i64_e64 s[4:5], v[13:14]
	s_cbranch_execz .LBB131_12
.LBB131_11:                             ;   in Loop: Header=BB131_8 Depth=1
	v_add_nc_u32_e32 v7, s12, v40
	v_cvt_f32_u32_e32 v0, v0
	s_delay_alu instid0(VALU_DEP_2) | instskip(NEXT) | instid1(VALU_DEP_2)
	v_ashrrev_i32_e32 v8, 31, v7
	v_fmaak_f32 v0, 0x2f800000, v0, 0x2f800000
	v_add_co_u32 v7, vcc_lo, s6, v7
	s_delay_alu instid0(VALU_DEP_3) | instskip(NEXT) | instid1(VALU_DEP_3)
	v_add_co_ci_u32_e32 v8, vcc_lo, s7, v8, vcc_lo
	v_cmp_lt_f32_e32 vcc_lo, v0, v37
	v_cndmask_b32_e64 v0, 0, 1, vcc_lo
	global_store_b32 v[7:8], v0, off
.LBB131_12:                             ;   in Loop: Header=BB131_8 Depth=1
	s_or_b32 exec_lo, exec_lo, s13
	v_add_co_u32 v7, vcc_lo, s8, v13
	v_add_co_ci_u32_e32 v8, vcc_lo, 0, v14, vcc_lo
	s_mov_b32 s13, exec_lo
	s_delay_alu instid0(VALU_DEP_1)
	v_cmpx_gt_i64_e64 s[4:5], v[7:8]
	s_cbranch_execz .LBB131_14
; %bb.13:                               ;   in Loop: Header=BB131_8 Depth=1
	v_add_nc_u32_e32 v0, s12, v43
	v_cvt_f32_u32_e32 v1, v1
	s_delay_alu instid0(VALU_DEP_2) | instskip(NEXT) | instid1(VALU_DEP_2)
	v_ashrrev_i32_e32 v7, 31, v0
	v_fmaak_f32 v8, 0x2f800000, v1, 0x2f800000
	v_add_co_u32 v0, vcc_lo, s6, v0
	s_delay_alu instid0(VALU_DEP_3) | instskip(NEXT) | instid1(VALU_DEP_3)
	v_add_co_ci_u32_e32 v1, vcc_lo, s7, v7, vcc_lo
	v_cmp_lt_f32_e32 vcc_lo, v8, v37
	v_cndmask_b32_e64 v7, 0, 1, vcc_lo
	global_store_b32 v[0:1], v7, off
.LBB131_14:                             ;   in Loop: Header=BB131_8 Depth=1
	s_or_b32 exec_lo, exec_lo, s13
	v_add_co_u32 v0, vcc_lo, s1, v13
	v_add_co_ci_u32_e32 v1, vcc_lo, 0, v14, vcc_lo
	s_mov_b32 s13, exec_lo
	s_delay_alu instid0(VALU_DEP_1)
	v_cmpx_gt_i64_e64 s[4:5], v[0:1]
	s_cbranch_execz .LBB131_16
; %bb.15:                               ;   in Loop: Header=BB131_8 Depth=1
	v_cvt_f32_u32_e32 v1, v2
	s_delay_alu instid0(VALU_DEP_1) | instskip(NEXT) | instid1(VALU_DEP_1)
	v_dual_fmaak_f32 v7, 0x2f800000, v1, 0x2f800000 :: v_dual_add_nc_u32 v0, s12, v42
	v_ashrrev_i32_e32 v2, 31, v0
	v_add_co_u32 v0, vcc_lo, s6, v0
	s_delay_alu instid0(VALU_DEP_2) | instskip(NEXT) | instid1(VALU_DEP_4)
	v_add_co_ci_u32_e32 v1, vcc_lo, s7, v2, vcc_lo
	v_cmp_lt_f32_e32 vcc_lo, v7, v37
	v_cndmask_b32_e64 v2, 0, 1, vcc_lo
	global_store_b32 v[0:1], v2, off
.LBB131_16:                             ;   in Loop: Header=BB131_8 Depth=1
	s_or_b32 exec_lo, exec_lo, s13
	v_add_co_u32 v0, vcc_lo, s10, v13
	v_add_co_ci_u32_e32 v1, vcc_lo, 0, v14, vcc_lo
	s_mov_b32 s13, exec_lo
	s_delay_alu instid0(VALU_DEP_1)
	v_cmpx_gt_i64_e64 s[4:5], v[0:1]
	s_cbranch_execz .LBB131_7
; %bb.17:                               ;   in Loop: Header=BB131_8 Depth=1
	v_add_nc_u32_e32 v0, s12, v41
	v_cvt_f32_u32_e32 v1, v3
	s_delay_alu instid0(VALU_DEP_2) | instskip(NEXT) | instid1(VALU_DEP_2)
	v_ashrrev_i32_e32 v2, 31, v0
	v_fmaak_f32 v3, 0x2f800000, v1, 0x2f800000
	v_add_co_u32 v0, vcc_lo, s6, v0
	s_delay_alu instid0(VALU_DEP_3) | instskip(NEXT) | instid1(VALU_DEP_3)
	v_add_co_ci_u32_e32 v1, vcc_lo, s7, v2, vcc_lo
	v_cmp_lt_f32_e32 vcc_lo, v3, v37
	v_cndmask_b32_e64 v2, 0, 1, vcc_lo
	global_store_b32 v[0:1], v2, off
	s_branch .LBB131_7
.LBB131_18:                             ;   in Loop: Header=BB131_8 Depth=1
	s_mov_b32 s14, exec_lo
	v_cmpx_lt_i32_e32 2, v27
	s_xor_b32 s14, exec_lo, s14
; %bb.19:                               ;   in Loop: Header=BB131_8 Depth=1
	v_dual_mov_b32 v7, v3 :: v_dual_mov_b32 v8, v4
	v_mov_b32_e32 v9, v5
	s_delay_alu instid0(VALU_DEP_2) | instskip(NEXT) | instid1(VALU_DEP_2)
	v_dual_mov_b32 v0, v7 :: v_dual_mov_b32 v1, v8
	v_dual_mov_b32 v2, v9 :: v_dual_mov_b32 v3, v10
; %bb.20:                               ;   in Loop: Header=BB131_8 Depth=1
	s_and_not1_saveexec_b32 s14, s14
; %bb.21:                               ;   in Loop: Header=BB131_8 Depth=1
	s_delay_alu instid0(VALU_DEP_1)
	v_dual_mov_b32 v0, v2 :: v_dual_mov_b32 v1, v3
	v_dual_mov_b32 v2, v4 :: v_dual_mov_b32 v3, v5
; %bb.22:                               ;   in Loop: Header=BB131_8 Depth=1
	s_or_b32 exec_lo, exec_lo, s14
	s_and_not1_saveexec_b32 s13, s13
	s_cbranch_execz .LBB131_10
.LBB131_23:                             ;   in Loop: Header=BB131_8 Depth=1
	s_mov_b32 s14, exec_lo
	v_cmpx_eq_u32_e32 1, v27
; %bb.24:                               ;   in Loop: Header=BB131_8 Depth=1
	v_dual_mov_b32 v0, v1 :: v_dual_mov_b32 v1, v2
	v_dual_mov_b32 v2, v3 :: v_dual_mov_b32 v3, v4
; %bb.25:                               ;   in Loop: Header=BB131_8 Depth=1
	s_or_b32 exec_lo, exec_lo, s14
	s_delay_alu instid0(SALU_CYCLE_1) | instskip(NEXT) | instid1(SALU_CYCLE_1)
	s_or_b32 exec_lo, exec_lo, s13
	s_mov_b32 s13, exec_lo
	v_cmpx_gt_i64_e64 s[4:5], v[13:14]
	s_cbranch_execnz .LBB131_11
	s_branch .LBB131_12
.LBB131_26:
	s_endpgm
.LBB131_27:
                                        ; implicit-def: $sgpr2_sgpr3
	s_branch .LBB131_4
	.section	.rodata,"a",@progbits
	.p2align	6, 0x0
	.amdhsa_kernel _ZN2at6native12_GLOBAL__N_143distribution_elementwise_grid_stride_kernelIfLi4EZNS0_9templates4cuda21uniform_and_transformIifPNS_17CUDAGeneratorImplEZZZNS4_16bernoulli_kernelIS7_EEvRNS_18TensorIteratorBaseEdT_ENKUlvE_clEvENKUlvE1_clEvEUlfE_EEvSA_T1_T2_EUlP25hiprandStatePhilox4_32_10E0_ZNS1_27distribution_nullary_kernelIif15HIP_vector_typeIfLj4EES7_SJ_SE_EEvSA_SG_RKT3_T4_EUlifE_EEvlNS_15PhiloxCudaStateESF_SG_
		.amdhsa_group_segment_fixed_size 0
		.amdhsa_private_segment_fixed_size 0
		.amdhsa_kernarg_size 328
		.amdhsa_user_sgpr_count 15
		.amdhsa_user_sgpr_dispatch_ptr 0
		.amdhsa_user_sgpr_queue_ptr 0
		.amdhsa_user_sgpr_kernarg_segment_ptr 1
		.amdhsa_user_sgpr_dispatch_id 0
		.amdhsa_user_sgpr_private_segment_size 0
		.amdhsa_wavefront_size32 1
		.amdhsa_uses_dynamic_stack 0
		.amdhsa_enable_private_segment 0
		.amdhsa_system_sgpr_workgroup_id_x 1
		.amdhsa_system_sgpr_workgroup_id_y 0
		.amdhsa_system_sgpr_workgroup_id_z 0
		.amdhsa_system_sgpr_workgroup_info 0
		.amdhsa_system_vgpr_workitem_id 0
		.amdhsa_next_free_vgpr 45
		.amdhsa_next_free_sgpr 23
		.amdhsa_reserve_vcc 1
		.amdhsa_float_round_mode_32 0
		.amdhsa_float_round_mode_16_64 0
		.amdhsa_float_denorm_mode_32 3
		.amdhsa_float_denorm_mode_16_64 3
		.amdhsa_dx10_clamp 1
		.amdhsa_ieee_mode 1
		.amdhsa_fp16_overflow 0
		.amdhsa_workgroup_processor_mode 1
		.amdhsa_memory_ordered 1
		.amdhsa_forward_progress 0
		.amdhsa_shared_vgpr_count 0
		.amdhsa_exception_fp_ieee_invalid_op 0
		.amdhsa_exception_fp_denorm_src 0
		.amdhsa_exception_fp_ieee_div_zero 0
		.amdhsa_exception_fp_ieee_overflow 0
		.amdhsa_exception_fp_ieee_underflow 0
		.amdhsa_exception_fp_ieee_inexact 0
		.amdhsa_exception_int_div_zero 0
	.end_amdhsa_kernel
	.section	.text._ZN2at6native12_GLOBAL__N_143distribution_elementwise_grid_stride_kernelIfLi4EZNS0_9templates4cuda21uniform_and_transformIifPNS_17CUDAGeneratorImplEZZZNS4_16bernoulli_kernelIS7_EEvRNS_18TensorIteratorBaseEdT_ENKUlvE_clEvENKUlvE1_clEvEUlfE_EEvSA_T1_T2_EUlP25hiprandStatePhilox4_32_10E0_ZNS1_27distribution_nullary_kernelIif15HIP_vector_typeIfLj4EES7_SJ_SE_EEvSA_SG_RKT3_T4_EUlifE_EEvlNS_15PhiloxCudaStateESF_SG_,"axG",@progbits,_ZN2at6native12_GLOBAL__N_143distribution_elementwise_grid_stride_kernelIfLi4EZNS0_9templates4cuda21uniform_and_transformIifPNS_17CUDAGeneratorImplEZZZNS4_16bernoulli_kernelIS7_EEvRNS_18TensorIteratorBaseEdT_ENKUlvE_clEvENKUlvE1_clEvEUlfE_EEvSA_T1_T2_EUlP25hiprandStatePhilox4_32_10E0_ZNS1_27distribution_nullary_kernelIif15HIP_vector_typeIfLj4EES7_SJ_SE_EEvSA_SG_RKT3_T4_EUlifE_EEvlNS_15PhiloxCudaStateESF_SG_,comdat
.Lfunc_end131:
	.size	_ZN2at6native12_GLOBAL__N_143distribution_elementwise_grid_stride_kernelIfLi4EZNS0_9templates4cuda21uniform_and_transformIifPNS_17CUDAGeneratorImplEZZZNS4_16bernoulli_kernelIS7_EEvRNS_18TensorIteratorBaseEdT_ENKUlvE_clEvENKUlvE1_clEvEUlfE_EEvSA_T1_T2_EUlP25hiprandStatePhilox4_32_10E0_ZNS1_27distribution_nullary_kernelIif15HIP_vector_typeIfLj4EES7_SJ_SE_EEvSA_SG_RKT3_T4_EUlifE_EEvlNS_15PhiloxCudaStateESF_SG_, .Lfunc_end131-_ZN2at6native12_GLOBAL__N_143distribution_elementwise_grid_stride_kernelIfLi4EZNS0_9templates4cuda21uniform_and_transformIifPNS_17CUDAGeneratorImplEZZZNS4_16bernoulli_kernelIS7_EEvRNS_18TensorIteratorBaseEdT_ENKUlvE_clEvENKUlvE1_clEvEUlfE_EEvSA_T1_T2_EUlP25hiprandStatePhilox4_32_10E0_ZNS1_27distribution_nullary_kernelIif15HIP_vector_typeIfLj4EES7_SJ_SE_EEvSA_SG_RKT3_T4_EUlifE_EEvlNS_15PhiloxCudaStateESF_SG_
                                        ; -- End function
	.section	.AMDGPU.csdata,"",@progbits
; Kernel info:
; codeLenInByte = 2928
; NumSgprs: 25
; NumVgprs: 45
; ScratchSize: 0
; MemoryBound: 0
; FloatMode: 240
; IeeeMode: 1
; LDSByteSize: 0 bytes/workgroup (compile time only)
; SGPRBlocks: 3
; VGPRBlocks: 5
; NumSGPRsForWavesPerEU: 25
; NumVGPRsForWavesPerEU: 45
; Occupancy: 16
; WaveLimiterHint : 0
; COMPUTE_PGM_RSRC2:SCRATCH_EN: 0
; COMPUTE_PGM_RSRC2:USER_SGPR: 15
; COMPUTE_PGM_RSRC2:TRAP_HANDLER: 0
; COMPUTE_PGM_RSRC2:TGID_X_EN: 1
; COMPUTE_PGM_RSRC2:TGID_Y_EN: 0
; COMPUTE_PGM_RSRC2:TGID_Z_EN: 0
; COMPUTE_PGM_RSRC2:TIDIG_COMP_CNT: 0
	.section	.text._ZN2at6native12_GLOBAL__N_143distribution_elementwise_grid_stride_kernelIfLi4EZNS0_9templates4cuda21uniform_and_transformIifPNS_17CUDAGeneratorImplEZZZNS4_16bernoulli_kernelIS7_EEvRNS_18TensorIteratorBaseEdT_ENKUlvE_clEvENKUlvE1_clEvEUlfE_EEvSA_T1_T2_EUlP25hiprandStatePhilox4_32_10E0_ZNS1_27distribution_nullary_kernelIif15HIP_vector_typeIfLj4EES7_SJ_SE_EEvSA_SG_RKT3_T4_EUlifE0_EEvlNS_15PhiloxCudaStateESF_SG_,"axG",@progbits,_ZN2at6native12_GLOBAL__N_143distribution_elementwise_grid_stride_kernelIfLi4EZNS0_9templates4cuda21uniform_and_transformIifPNS_17CUDAGeneratorImplEZZZNS4_16bernoulli_kernelIS7_EEvRNS_18TensorIteratorBaseEdT_ENKUlvE_clEvENKUlvE1_clEvEUlfE_EEvSA_T1_T2_EUlP25hiprandStatePhilox4_32_10E0_ZNS1_27distribution_nullary_kernelIif15HIP_vector_typeIfLj4EES7_SJ_SE_EEvSA_SG_RKT3_T4_EUlifE0_EEvlNS_15PhiloxCudaStateESF_SG_,comdat
	.globl	_ZN2at6native12_GLOBAL__N_143distribution_elementwise_grid_stride_kernelIfLi4EZNS0_9templates4cuda21uniform_and_transformIifPNS_17CUDAGeneratorImplEZZZNS4_16bernoulli_kernelIS7_EEvRNS_18TensorIteratorBaseEdT_ENKUlvE_clEvENKUlvE1_clEvEUlfE_EEvSA_T1_T2_EUlP25hiprandStatePhilox4_32_10E0_ZNS1_27distribution_nullary_kernelIif15HIP_vector_typeIfLj4EES7_SJ_SE_EEvSA_SG_RKT3_T4_EUlifE0_EEvlNS_15PhiloxCudaStateESF_SG_ ; -- Begin function _ZN2at6native12_GLOBAL__N_143distribution_elementwise_grid_stride_kernelIfLi4EZNS0_9templates4cuda21uniform_and_transformIifPNS_17CUDAGeneratorImplEZZZNS4_16bernoulli_kernelIS7_EEvRNS_18TensorIteratorBaseEdT_ENKUlvE_clEvENKUlvE1_clEvEUlfE_EEvSA_T1_T2_EUlP25hiprandStatePhilox4_32_10E0_ZNS1_27distribution_nullary_kernelIif15HIP_vector_typeIfLj4EES7_SJ_SE_EEvSA_SG_RKT3_T4_EUlifE0_EEvlNS_15PhiloxCudaStateESF_SG_
	.p2align	8
	.type	_ZN2at6native12_GLOBAL__N_143distribution_elementwise_grid_stride_kernelIfLi4EZNS0_9templates4cuda21uniform_and_transformIifPNS_17CUDAGeneratorImplEZZZNS4_16bernoulli_kernelIS7_EEvRNS_18TensorIteratorBaseEdT_ENKUlvE_clEvENKUlvE1_clEvEUlfE_EEvSA_T1_T2_EUlP25hiprandStatePhilox4_32_10E0_ZNS1_27distribution_nullary_kernelIif15HIP_vector_typeIfLj4EES7_SJ_SE_EEvSA_SG_RKT3_T4_EUlifE0_EEvlNS_15PhiloxCudaStateESF_SG_,@function
_ZN2at6native12_GLOBAL__N_143distribution_elementwise_grid_stride_kernelIfLi4EZNS0_9templates4cuda21uniform_and_transformIifPNS_17CUDAGeneratorImplEZZZNS4_16bernoulli_kernelIS7_EEvRNS_18TensorIteratorBaseEdT_ENKUlvE_clEvENKUlvE1_clEvEUlfE_EEvSA_T1_T2_EUlP25hiprandStatePhilox4_32_10E0_ZNS1_27distribution_nullary_kernelIif15HIP_vector_typeIfLj4EES7_SJ_SE_EEvSA_SG_RKT3_T4_EUlifE0_EEvlNS_15PhiloxCudaStateESF_SG_: ; @_ZN2at6native12_GLOBAL__N_143distribution_elementwise_grid_stride_kernelIfLi4EZNS0_9templates4cuda21uniform_and_transformIifPNS_17CUDAGeneratorImplEZZZNS4_16bernoulli_kernelIS7_EEvRNS_18TensorIteratorBaseEdT_ENKUlvE_clEvENKUlvE1_clEvEUlfE_EEvSA_T1_T2_EUlP25hiprandStatePhilox4_32_10E0_ZNS1_27distribution_nullary_kernelIif15HIP_vector_typeIfLj4EES7_SJ_SE_EEvSA_SG_RKT3_T4_EUlifE0_EEvlNS_15PhiloxCudaStateESF_SG_
; %bb.0:
	s_clause 0x2
	s_load_b64 s[4:5], s[0:1], 0x10
	s_load_b128 s[16:19], s[0:1], 0x0
	s_load_b32 s2, s[0:1], 0x20
	s_waitcnt lgkmcnt(0)
	v_dual_mov_b32 v2, s4 :: v_dual_mov_b32 v3, s5
	v_dual_mov_b32 v11, s18 :: v_dual_mov_b32 v12, s19
	s_bitcmp0_b32 s2, 0
	s_mov_b32 s2, 0
	s_cbranch_scc1 .LBB132_2
; %bb.1:
	v_dual_mov_b32 v1, s4 :: v_dual_mov_b32 v2, s5
	v_dual_mov_b32 v4, s18 :: v_dual_mov_b32 v5, s19
	s_load_b64 s[4:5], s[0:1], 0x18
	flat_load_b64 v[2:3], v[1:2]
	flat_load_b64 v[11:12], v[4:5]
	s_waitcnt vmcnt(1) lgkmcnt(0)
	v_add_co_u32 v2, vcc_lo, v2, s4
	v_add_co_ci_u32_e32 v3, vcc_lo, s5, v3, vcc_lo
.LBB132_2:
	s_clause 0x1
	s_load_b32 s3, s[0:1], 0x154
	s_load_b32 s4, s[0:1], 0x148
	s_waitcnt lgkmcnt(0)
	s_and_b32 s5, s3, 0xffff
	s_add_u32 s6, s16, -1
	s_mul_i32 s24, s4, s5
	s_addc_u32 s3, s17, -1
	s_lshl_b32 s25, s24, 2
	s_cmp_lg_u64 s[2:3], 0
	s_cbranch_scc0 .LBB132_79
; %bb.3:
	v_cvt_f32_ubyte0_e32 v1, 0
	v_cvt_f32_u32_e32 v4, s25
	s_sub_u32 s8, 0, s25
	s_subb_u32 s9, 0, 0
	s_delay_alu instid0(VALU_DEP_1) | instskip(NEXT) | instid1(VALU_DEP_1)
	v_fmamk_f32 v1, v1, 0x4f800000, v4
	v_rcp_f32_e32 v1, v1
	s_waitcnt_depctr 0xfff
	v_mul_f32_e32 v1, 0x5f7ffffc, v1
	s_delay_alu instid0(VALU_DEP_1) | instskip(NEXT) | instid1(VALU_DEP_1)
	v_mul_f32_e32 v4, 0x2f800000, v1
	v_trunc_f32_e32 v4, v4
	s_delay_alu instid0(VALU_DEP_1) | instskip(SKIP_1) | instid1(VALU_DEP_2)
	v_fmamk_f32 v1, v4, 0xcf800000, v1
	v_cvt_u32_f32_e32 v4, v4
	v_cvt_u32_f32_e32 v1, v1
	s_delay_alu instid0(VALU_DEP_2) | instskip(NEXT) | instid1(VALU_DEP_2)
	v_readfirstlane_b32 s2, v4
	v_readfirstlane_b32 s7, v1
	s_delay_alu instid0(VALU_DEP_2) | instskip(NEXT) | instid1(VALU_DEP_1)
	s_mul_i32 s10, s8, s2
	s_mul_hi_u32 s12, s8, s7
	s_mul_i32 s11, s9, s7
	s_add_i32 s10, s12, s10
	s_mul_i32 s13, s8, s7
	s_add_i32 s10, s10, s11
	s_mul_hi_u32 s12, s7, s13
	s_mul_hi_u32 s14, s2, s13
	s_mul_i32 s11, s2, s13
	s_mul_hi_u32 s13, s7, s10
	s_mul_i32 s7, s7, s10
	s_mul_hi_u32 s18, s2, s10
	s_add_u32 s7, s12, s7
	s_addc_u32 s12, 0, s13
	s_add_u32 s7, s7, s11
	s_mul_i32 s10, s2, s10
	s_addc_u32 s7, s12, s14
	s_addc_u32 s11, s18, 0
	s_add_u32 s7, s7, s10
	s_addc_u32 s10, 0, s11
	v_add_co_u32 v1, s7, v1, s7
	s_delay_alu instid0(VALU_DEP_1) | instskip(SKIP_1) | instid1(VALU_DEP_1)
	s_cmp_lg_u32 s7, 0
	s_addc_u32 s2, s2, s10
	v_readfirstlane_b32 s7, v1
	s_mul_i32 s10, s8, s2
	s_delay_alu instid0(VALU_DEP_1)
	s_mul_hi_u32 s11, s8, s7
	s_mul_i32 s9, s9, s7
	s_add_i32 s10, s11, s10
	s_mul_i32 s8, s8, s7
	s_add_i32 s10, s10, s9
	s_mul_hi_u32 s11, s2, s8
	s_mul_i32 s12, s2, s8
	s_mul_hi_u32 s8, s7, s8
	s_mul_hi_u32 s13, s7, s10
	s_mul_i32 s7, s7, s10
	s_mul_hi_u32 s9, s2, s10
	s_add_u32 s7, s8, s7
	s_addc_u32 s8, 0, s13
	s_add_u32 s7, s7, s12
	s_mul_i32 s10, s2, s10
	s_addc_u32 s7, s8, s11
	s_addc_u32 s8, s9, 0
	s_add_u32 s7, s7, s10
	s_addc_u32 s8, 0, s8
	v_add_co_u32 v1, s7, v1, s7
	s_delay_alu instid0(VALU_DEP_1) | instskip(SKIP_2) | instid1(VALU_DEP_1)
	s_cmp_lg_u32 s7, 0
	s_addc_u32 s7, s2, s8
	s_ashr_i32 s8, s3, 31
	v_readfirstlane_b32 s10, v1
	s_add_u32 s2, s6, s8
	s_mov_b32 s9, s8
	s_addc_u32 s3, s3, s8
	s_delay_alu instid0(SALU_CYCLE_1) | instskip(NEXT) | instid1(SALU_CYCLE_1)
	s_xor_b64 s[2:3], s[2:3], s[8:9]
	s_mul_i32 s12, s2, s7
	s_mul_hi_u32 s13, s2, s10
	s_mul_hi_u32 s11, s2, s7
	s_mul_hi_u32 s18, s3, s10
	s_mul_i32 s10, s3, s10
	s_add_u32 s12, s13, s12
	s_addc_u32 s11, 0, s11
	s_mul_hi_u32 s14, s3, s7
	s_add_u32 s10, s12, s10
	s_mul_i32 s7, s3, s7
	s_addc_u32 s10, s11, s18
	s_addc_u32 s11, s14, 0
	s_add_u32 s7, s10, s7
	s_addc_u32 s10, 0, s11
	s_mul_i32 s12, s25, s7
	s_add_u32 s11, s7, 1
	v_sub_co_u32 v1, s2, s2, s12
	s_mul_hi_u32 s12, s25, s7
	s_addc_u32 s13, s10, 0
	s_mul_i32 s14, s25, s10
	s_delay_alu instid0(VALU_DEP_1)
	v_sub_co_u32 v4, s18, v1, s25
	s_add_u32 s19, s7, 2
	s_addc_u32 s20, s10, 0
	s_add_i32 s12, s12, s14
	s_cmp_lg_u32 s2, 0
	v_readfirstlane_b32 s2, v4
	s_subb_u32 s3, s3, s12
	s_cmp_lg_u32 s18, 0
	s_subb_u32 s12, s3, 0
	s_delay_alu instid0(VALU_DEP_1) | instskip(SKIP_4) | instid1(SALU_CYCLE_1)
	s_cmp_ge_u32 s2, s25
	s_cselect_b32 s2, -1, 0
	s_cmp_eq_u32 s12, 0
	v_readfirstlane_b32 s12, v1
	s_cselect_b32 s2, s2, -1
	s_cmp_lg_u32 s2, 0
	s_cselect_b32 s2, s19, s11
	s_cselect_b32 s11, s20, s13
	s_cmp_ge_u32 s12, s25
	s_cselect_b32 s12, -1, 0
	s_cmp_eq_u32 s3, 0
	s_cselect_b32 s3, s12, -1
	s_delay_alu instid0(SALU_CYCLE_1) | instskip(SKIP_2) | instid1(SALU_CYCLE_1)
	s_cmp_lg_u32 s3, 0
	s_cselect_b32 s3, s11, s10
	s_cselect_b32 s2, s2, s7
	s_xor_b64 s[2:3], s[2:3], s[8:9]
	s_delay_alu instid0(SALU_CYCLE_1)
	s_sub_u32 s2, s2, s8
	s_subb_u32 s3, s3, s8
	s_cbranch_execnz .LBB132_5
.LBB132_4:
	v_cvt_f32_u32_e32 v1, s25
	s_sub_i32 s3, 0, s25
	s_delay_alu instid0(VALU_DEP_1) | instskip(SKIP_2) | instid1(VALU_DEP_1)
	v_rcp_iflag_f32_e32 v1, v1
	s_waitcnt_depctr 0xfff
	v_mul_f32_e32 v1, 0x4f7ffffe, v1
	v_cvt_u32_f32_e32 v1, v1
	s_delay_alu instid0(VALU_DEP_1) | instskip(NEXT) | instid1(VALU_DEP_1)
	v_readfirstlane_b32 s2, v1
	s_mul_i32 s3, s3, s2
	s_delay_alu instid0(SALU_CYCLE_1) | instskip(NEXT) | instid1(SALU_CYCLE_1)
	s_mul_hi_u32 s3, s2, s3
	s_add_i32 s2, s2, s3
	s_delay_alu instid0(SALU_CYCLE_1) | instskip(NEXT) | instid1(SALU_CYCLE_1)
	s_mul_hi_u32 s2, s6, s2
	s_mul_i32 s3, s2, s25
	s_delay_alu instid0(SALU_CYCLE_1)
	s_sub_i32 s3, s6, s3
	s_add_i32 s6, s2, 1
	s_sub_i32 s7, s3, s25
	s_cmp_ge_u32 s3, s25
	s_cselect_b32 s2, s6, s2
	s_cselect_b32 s3, s7, s3
	s_add_i32 s6, s2, 1
	s_cmp_ge_u32 s3, s25
	s_mov_b32 s3, 0
	s_cselect_b32 s2, s6, s2
.LBB132_5:
	v_mov_b32_e32 v1, 0
	s_add_u32 s2, s2, 1
	s_addc_u32 s3, s3, 0
	s_mul_hi_u32 s6, s24, s2
	s_mul_i32 s3, s24, s3
	v_mad_u64_u32 v[13:14], null, s5, s15, v[0:1]
	s_mul_hi_u32 s4, s4, s5
	s_add_i32 s3, s6, s3
	s_mul_i32 s4, s4, s2
	s_mul_i32 s2, s24, s2
	s_add_i32 s3, s3, s4
	s_mov_b32 s4, exec_lo
	s_lshl_b64 s[2:3], s[2:3], 2
	s_delay_alu instid0(SALU_CYCLE_1)
	v_cmpx_gt_i64_e64 s[2:3], v[13:14]
	s_cbranch_execz .LBB132_78
; %bb.6:
	v_alignbit_b32 v17, v3, v2, 2
	v_mad_u64_u32 v[4:5], null, 0xcd9e8d57, v13, 0
	v_lshrrev_b32_e32 v18, 2, v3
	s_waitcnt vmcnt(0)
	v_dual_mov_b32 v9, v12 :: v_dual_add_nc_u32 v28, 0x8ff34781, v11
	v_mad_u64_u32 v[0:1], null, 0xd2511f53, v17, 0
	v_add_co_u32 v20, null, 0x9e3779b9, v11
	v_xor3_b32 v3, v11, v5, v18
	s_delay_alu instid0(VALU_DEP_4) | instskip(SKIP_2) | instid1(VALU_DEP_4)
	v_add_co_u32 v19, null, 0xbb67ae85, v9
	v_add_co_u32 v21, null, 0x3c6ef372, v11
	v_xor_b32_e32 v1, v1, v12
	v_mad_u64_u32 v[5:6], null, 0xd2511f53, v3, 0
	v_add_co_u32 v22, null, 0x76cf5d0a, v9
	s_delay_alu instid0(VALU_DEP_3) | instskip(SKIP_2) | instid1(VALU_DEP_3)
	v_xor_b32_e32 v1, v1, v14
	v_add_co_u32 v23, null, 0x32370b8f, v9
	v_add_co_u32 v24, null, 0xdaa66d2b, v11
	v_mad_u64_u32 v[7:8], null, 0xcd9e8d57, v1, 0
	v_xor3_b32 v3, v19, v6, v0
	v_dual_mov_b32 v36, v13 :: v_dual_and_b32 v25, 3, v2
	v_add_co_u32 v26, null, 0x78dde6e4, v11
	s_delay_alu instid0(VALU_DEP_3) | instskip(SKIP_3) | instid1(VALU_DEP_3)
	v_mad_u64_u32 v[0:1], null, 0xcd9e8d57, v3, 0
	v_xor3_b32 v6, v20, v8, v4
	v_add_co_u32 v27, null, 0xed9eba14, v9
	v_add_co_u32 v31, null, 0xa9066899, v9
	v_mad_u64_u32 v[3:4], null, 0xd2511f53, v6, 0
	v_xor3_b32 v1, v21, v1, v7
	v_add_co_u32 v32, null, 0x1715609d, v11
	s_clause 0x1
	s_load_b64 s[20:21], s[0:1], 0xf4
	s_load_b128 s[12:15], s[0:1], 0x138
	v_add_co_u32 v33, null, 0xb54cda56, v11
	s_delay_alu instid0(VALU_DEP_4) | instskip(SKIP_2) | instid1(VALU_DEP_3)
	v_xor3_b32 v8, v22, v4, v5
	v_mad_u64_u32 v[4:5], null, 0xd2511f53, v1, 0
	v_add_co_u32 v34, null, 0x646e171e, v9
	v_mad_u64_u32 v[6:7], null, 0xcd9e8d57, v8, 0
	s_load_b256 s[4:11], s[0:1], 0x30
	v_add_co_u32 v30, null, 0x5384540f, v11
	s_delay_alu instid0(VALU_DEP_4) | instskip(SKIP_1) | instid1(VALU_DEP_4)
	v_xor3_b32 v3, v23, v5, v3
	v_add_co_u32 v37, null, 0x1fd5c5a3, v9
	v_xor3_b32 v5, v24, v7, v0
	v_add_co_u32 v35, null, 0xf1bbcdc8, v11
	s_delay_alu instid0(VALU_DEP_4) | instskip(NEXT) | instid1(VALU_DEP_3)
	v_mad_u64_u32 v[0:1], null, 0xcd9e8d57, v3, 0
	v_mad_u64_u32 v[2:3], null, 0xd2511f53, v5, 0
	s_waitcnt lgkmcnt(0)
	v_cvt_f32_f64_e32 v38, s[14:15]
	v_add_co_u32 v39, null, 0xdb3d7428, v9
	s_add_u32 s18, s0, 48
	s_delay_alu instid0(VALU_DEP_4) | instskip(SKIP_1) | instid1(VALU_DEP_4)
	v_xor3_b32 v1, v26, v1, v6
	s_addc_u32 s19, s1, 0
	v_xor3_b32 v7, v27, v3, v4
	s_add_i32 s22, s4, -1
	v_dual_mov_b32 v40, v14 :: v_dual_add_nc_u32 v29, 0x96a522ad, v12
	v_mad_u64_u32 v[3:4], null, 0xd2511f53, v1, 0
	s_delay_alu instid0(VALU_DEP_3) | instskip(SKIP_4) | instid1(VALU_DEP_2)
	v_mad_u64_u32 v[5:6], null, 0xcd9e8d57, v7, 0
	s_cmp_gt_u32 s22, 1
	s_mov_b32 s26, 0
	s_cselect_b32 s11, -1, 0
	s_cmp_lg_u32 s4, 0
	v_xor3_b32 v2, v31, v4, v2
	s_cselect_b32 s27, -1, 0
	s_delay_alu instid0(VALU_DEP_2) | instskip(SKIP_3) | instid1(VALU_DEP_2)
	v_xor3_b32 v4, v32, v6, v0
	s_add_u32 s0, s0, 0xf4
	s_addc_u32 s1, s1, 0
	v_mad_u64_u32 v[0:1], null, 0xcd9e8d57, v2, 0
	v_mad_u64_u32 v[6:7], null, 0xd2511f53, v4, 0
	s_min_u32 s14, s22, 15
	s_cmp_gt_u32 s4, 1
	s_mul_i32 s33, s24, 3
	s_cselect_b32 s4, -1, 0
	s_delay_alu instid0(VALU_DEP_2) | instskip(SKIP_1) | instid1(VALU_DEP_2)
	v_xor3_b32 v4, v33, v1, v5
	s_add_i32 s14, s14, 1
	v_xor3_b32 v5, v34, v7, v3
	s_lshl_b32 s28, s24, 1
	s_and_b32 s29, s14, 3
	v_mad_u64_u32 v[1:2], null, 0xd2511f53, v4, 0
	s_delay_alu instid0(VALU_DEP_2) | instskip(SKIP_3) | instid1(VALU_DEP_2)
	v_mad_u64_u32 v[3:4], null, 0xcd9e8d57, v5, 0
	s_cmp_lg_u32 s22, 2
	s_cselect_b32 s30, -1, 0
	s_and_b32 s31, s14, 28
	v_xor3_b32 v2, v37, v2, v6
	s_cmp_lg_u32 s29, 0
	s_delay_alu instid0(VALU_DEP_2) | instskip(SKIP_1) | instid1(VALU_DEP_2)
	v_xor3_b32 v0, v30, v4, v0
	s_cselect_b32 s34, -1, 0
	v_mad_u64_u32 v[4:5], null, 0xcd9e8d57, v2, 0
	s_delay_alu instid0(VALU_DEP_2) | instskip(NEXT) | instid1(VALU_DEP_2)
	v_mad_u64_u32 v[6:7], null, 0xd2511f53, v0, 0
	v_xor3_b32 v0, v35, v5, v3
	s_delay_alu instid0(VALU_DEP_2) | instskip(NEXT) | instid1(VALU_DEP_2)
	v_xor3_b32 v3, v39, v7, v1
	v_mad_u64_u32 v[7:8], null, 0xd2511f53, v0, 0
	s_delay_alu instid0(VALU_DEP_2) | instskip(NEXT) | instid1(VALU_DEP_2)
	v_mad_u64_u32 v[1:2], null, 0xcd9e8d57, v3, 0
	v_mov_b32_e32 v3, v7
	s_delay_alu instid0(VALU_DEP_2) | instskip(NEXT) | instid1(VALU_DEP_4)
	v_xor3_b32 v0, v2, v4, v28
	v_xor3_b32 v2, v8, v6, v29
	s_branch .LBB132_9
.LBB132_7:                              ;   in Loop: Header=BB132_9 Depth=1
	v_cvt_f32_u32_e32 v0, v3
	s_delay_alu instid0(VALU_DEP_1) | instskip(NEXT) | instid1(VALU_DEP_1)
	v_fmaak_f32 v0, 0x2f800000, v0, 0x2f800000
	v_cmp_lt_f32_e32 vcc_lo, v0, v38
	v_cndmask_b32_e64 v0, 0, 1, vcc_lo
	global_store_b32 v1, v0, s[12:13]
.LBB132_8:                              ;   in Loop: Header=BB132_9 Depth=1
	s_or_b32 exec_lo, exec_lo, s35
	v_add_co_u32 v13, vcc_lo, v13, s25
	v_add_co_ci_u32_e32 v14, vcc_lo, 0, v14, vcc_lo
	v_mov_b32_e32 v7, v15
	v_dual_mov_b32 v0, v4 :: v_dual_mov_b32 v1, v5
	s_delay_alu instid0(VALU_DEP_3) | instskip(NEXT) | instid1(VALU_DEP_3)
	v_cmp_le_i64_e32 vcc_lo, s[2:3], v[13:14]
	v_dual_mov_b32 v2, v6 :: v_dual_mov_b32 v3, v7
	s_waitcnt_vscnt null, 0x0
	s_barrier
	buffer_gl0_inv
	s_or_b32 s26, vcc_lo, s26
	s_delay_alu instid0(SALU_CYCLE_1)
	s_and_not1_b32 exec_lo, exec_lo, s26
	s_cbranch_execz .LBB132_78
.LBB132_9:                              ; =>This Loop Header: Depth=1
                                        ;     Child Loop BB132_24 Depth 2
                                        ;     Child Loop BB132_29 Depth 2
	;; [unrolled: 1-line block ×8, first 2 shown]
	v_add_co_u32 v17, vcc_lo, v17, 1
	s_delay_alu instid0(VALU_DEP_1) | instskip(SKIP_2) | instid1(VALU_DEP_1)
	v_cndmask_b32_e64 v4, 0, 1, vcc_lo
	v_add_co_ci_u32_e32 v18, vcc_lo, 0, v18, vcc_lo
	s_mov_b32 s14, exec_lo
	v_cmp_eq_u32_e32 vcc_lo, 0, v18
	s_delay_alu instid0(VALU_DEP_3) | instskip(NEXT) | instid1(VALU_DEP_1)
	v_cndmask_b32_e32 v4, 0, v4, vcc_lo
	v_add_nc_u32_e32 v36, v4, v36
	s_delay_alu instid0(VALU_DEP_1) | instskip(SKIP_2) | instid1(VALU_DEP_2)
	v_cmp_eq_u32_e32 vcc_lo, 0, v36
	v_mad_u64_u32 v[6:7], null, 0xcd9e8d57, v36, 0
	v_cndmask_b32_e32 v4, 0, v4, vcc_lo
	v_xor3_b32 v9, v7, v11, v18
	s_delay_alu instid0(VALU_DEP_2) | instskip(SKIP_1) | instid1(VALU_DEP_3)
	v_add_nc_u32_e32 v40, v4, v40
	v_mad_u64_u32 v[4:5], null, 0xd2511f53, v17, 0
	v_mad_u64_u32 v[7:8], null, 0xd2511f53, v9, 0
	s_delay_alu instid0(VALU_DEP_2) | instskip(NEXT) | instid1(VALU_DEP_2)
	v_xor_b32_e32 v5, v5, v12
	v_xor3_b32 v8, v19, v8, v4
	s_delay_alu instid0(VALU_DEP_2) | instskip(NEXT) | instid1(VALU_DEP_1)
	v_xor_b32_e32 v5, v40, v5
	v_mad_u64_u32 v[9:10], null, 0xcd9e8d57, v5, 0
	s_delay_alu instid0(VALU_DEP_3) | instskip(NEXT) | instid1(VALU_DEP_2)
	v_mad_u64_u32 v[4:5], null, 0xcd9e8d57, v8, 0
	v_xor3_b32 v6, v20, v10, v6
	s_delay_alu instid0(VALU_DEP_2) | instskip(NEXT) | instid1(VALU_DEP_2)
	v_xor3_b32 v8, v21, v5, v9
	v_mad_u64_u32 v[15:16], null, 0xd2511f53, v6, 0
	s_delay_alu instid0(VALU_DEP_2) | instskip(NEXT) | instid1(VALU_DEP_2)
	v_mad_u64_u32 v[5:6], null, 0xd2511f53, v8, 0
	v_xor3_b32 v9, v22, v16, v7
	s_delay_alu instid0(VALU_DEP_2) | instskip(NEXT) | instid1(VALU_DEP_2)
	v_xor3_b32 v6, v23, v6, v15
	v_mad_u64_u32 v[7:8], null, 0xcd9e8d57, v9, 0
	s_delay_alu instid0(VALU_DEP_1) | instskip(NEXT) | instid1(VALU_DEP_3)
	v_xor3_b32 v4, v24, v8, v4
	v_mad_u64_u32 v[8:9], null, 0xcd9e8d57, v6, 0
	s_delay_alu instid0(VALU_DEP_2) | instskip(NEXT) | instid1(VALU_DEP_2)
	v_mad_u64_u32 v[15:16], null, 0xd2511f53, v4, 0
	v_xor3_b32 v6, v26, v9, v7
	s_delay_alu instid0(VALU_DEP_2) | instskip(NEXT) | instid1(VALU_DEP_2)
	v_xor3_b32 v9, v27, v16, v5
	v_mad_u64_u32 v[4:5], null, 0xd2511f53, v6, 0
	s_delay_alu instid0(VALU_DEP_2) | instskip(NEXT) | instid1(VALU_DEP_2)
	v_mad_u64_u32 v[6:7], null, 0xcd9e8d57, v9, 0
	v_xor3_b32 v5, v31, v5, v15
	s_delay_alu instid0(VALU_DEP_2) | instskip(NEXT) | instid1(VALU_DEP_2)
	;; [unrolled: 6-line block ×6, first 2 shown]
	v_xor3_b32 v4, v6, v7, v28
	v_mov_b32_e32 v6, v10
	v_cmpx_lt_i32_e32 1, v25
	s_xor_b32 s14, exec_lo, s14
	s_cbranch_execnz .LBB132_12
; %bb.10:                               ;   in Loop: Header=BB132_9 Depth=1
	s_and_not1_saveexec_b32 s14, s14
	s_cbranch_execnz .LBB132_17
.LBB132_11:                             ;   in Loop: Header=BB132_9 Depth=1
	s_or_b32 exec_lo, exec_lo, s14
	s_delay_alu instid0(SALU_CYCLE_1)
	s_mov_b32 s35, exec_lo
	v_cmpx_gt_i64_e64 s[16:17], v[13:14]
	s_cbranch_execnz .LBB132_20
	s_branch .LBB132_34
.LBB132_12:                             ;   in Loop: Header=BB132_9 Depth=1
	s_mov_b32 s15, exec_lo
	v_cmpx_lt_i32_e32 2, v25
	s_xor_b32 s15, exec_lo, s15
; %bb.13:                               ;   in Loop: Header=BB132_9 Depth=1
	v_dual_mov_b32 v7, v3 :: v_dual_mov_b32 v8, v4
	v_mov_b32_e32 v9, v5
	s_delay_alu instid0(VALU_DEP_2) | instskip(NEXT) | instid1(VALU_DEP_2)
	v_dual_mov_b32 v0, v7 :: v_dual_mov_b32 v1, v8
	v_dual_mov_b32 v2, v9 :: v_dual_mov_b32 v3, v10
; %bb.14:                               ;   in Loop: Header=BB132_9 Depth=1
	s_and_not1_saveexec_b32 s15, s15
; %bb.15:                               ;   in Loop: Header=BB132_9 Depth=1
	s_delay_alu instid0(VALU_DEP_1)
	v_dual_mov_b32 v0, v2 :: v_dual_mov_b32 v1, v3
	v_dual_mov_b32 v2, v4 :: v_dual_mov_b32 v3, v5
; %bb.16:                               ;   in Loop: Header=BB132_9 Depth=1
	s_or_b32 exec_lo, exec_lo, s15
	s_and_not1_saveexec_b32 s14, s14
	s_cbranch_execz .LBB132_11
.LBB132_17:                             ;   in Loop: Header=BB132_9 Depth=1
	s_mov_b32 s15, exec_lo
	v_cmpx_eq_u32_e32 1, v25
; %bb.18:                               ;   in Loop: Header=BB132_9 Depth=1
	v_dual_mov_b32 v0, v1 :: v_dual_mov_b32 v1, v2
	v_dual_mov_b32 v2, v3 :: v_dual_mov_b32 v3, v4
; %bb.19:                               ;   in Loop: Header=BB132_9 Depth=1
	s_or_b32 exec_lo, exec_lo, s15
	s_delay_alu instid0(SALU_CYCLE_1) | instskip(NEXT) | instid1(SALU_CYCLE_1)
	s_or_b32 exec_lo, exec_lo, s14
	s_mov_b32 s35, exec_lo
	v_cmpx_gt_i64_e64 s[16:17], v[13:14]
	s_cbranch_execz .LBB132_34
.LBB132_20:                             ;   in Loop: Header=BB132_9 Depth=1
	s_and_not1_b32 vcc_lo, exec_lo, s11
	s_cbranch_vccnz .LBB132_26
; %bb.21:                               ;   in Loop: Header=BB132_9 Depth=1
	v_mov_b32_e32 v7, 0
	s_and_not1_b32 vcc_lo, exec_lo, s27
	s_cbranch_vccnz .LBB132_30
; %bb.22:                               ;   in Loop: Header=BB132_9 Depth=1
	s_and_not1_b32 vcc_lo, exec_lo, s30
	s_mov_b32 s14, 0
	s_cbranch_vccnz .LBB132_27
; %bb.23:                               ;   in Loop: Header=BB132_9 Depth=1
	v_dual_mov_b32 v7, 0 :: v_dual_mov_b32 v8, v13
	s_mov_b32 s36, 0
	s_mov_b64 s[14:15], s[18:19]
	s_mov_b64 s[22:23], s[0:1]
.LBB132_24:                             ;   Parent Loop BB132_9 Depth=1
                                        ; =>  This Inner Loop Header: Depth=2
	s_clause 0x1
	s_load_b256 s[40:47], s[14:15], 0x4
	s_load_b128 s[48:51], s[14:15], 0x24
	s_load_b128 s[52:55], s[22:23], 0x0
	s_add_u32 s14, s14, 48
	s_addc_u32 s15, s15, 0
	s_add_i32 s36, s36, 4
	s_add_u32 s22, s22, 16
	s_addc_u32 s23, s23, 0
	s_cmp_lg_u32 s31, s36
	s_waitcnt lgkmcnt(0)
	v_mul_hi_u32 v9, s41, v8
	s_delay_alu instid0(VALU_DEP_1) | instskip(NEXT) | instid1(VALU_DEP_1)
	v_add_nc_u32_e32 v9, v8, v9
	v_lshrrev_b32_e32 v9, s42, v9
	s_delay_alu instid0(VALU_DEP_1) | instskip(SKIP_1) | instid1(VALU_DEP_2)
	v_mul_hi_u32 v10, s44, v9
	v_mul_lo_u32 v42, v9, s40
	v_add_nc_u32_e32 v10, v9, v10
	s_delay_alu instid0(VALU_DEP_2) | instskip(NEXT) | instid1(VALU_DEP_2)
	v_sub_nc_u32_e32 v42, v8, v42
	v_lshrrev_b32_e32 v10, s45, v10
	s_delay_alu instid0(VALU_DEP_2) | instskip(NEXT) | instid1(VALU_DEP_2)
	v_mul_lo_u32 v42, v42, s52
	v_mul_hi_u32 v16, s47, v10
	v_mul_lo_u32 v43, v10, s43
	s_delay_alu instid0(VALU_DEP_2) | instskip(NEXT) | instid1(VALU_DEP_2)
	v_add_nc_u32_e32 v16, v10, v16
	v_sub_nc_u32_e32 v9, v9, v43
	s_delay_alu instid0(VALU_DEP_2) | instskip(NEXT) | instid1(VALU_DEP_2)
	v_lshrrev_b32_e32 v16, s48, v16
	v_mul_lo_u32 v9, v9, s53
	s_delay_alu instid0(VALU_DEP_2) | instskip(NEXT) | instid1(VALU_DEP_2)
	v_mul_hi_u32 v41, s50, v16
	v_add3_u32 v7, v42, v7, v9
	s_delay_alu instid0(VALU_DEP_2) | instskip(NEXT) | instid1(VALU_DEP_1)
	v_add_nc_u32_e32 v41, v16, v41
	v_lshrrev_b32_e32 v8, s51, v41
	v_mul_lo_u32 v41, v16, s46
	s_delay_alu instid0(VALU_DEP_2) | instskip(NEXT) | instid1(VALU_DEP_2)
	v_mul_lo_u32 v44, v8, s49
	v_sub_nc_u32_e32 v10, v10, v41
	s_delay_alu instid0(VALU_DEP_2) | instskip(NEXT) | instid1(VALU_DEP_2)
	v_sub_nc_u32_e32 v16, v16, v44
	v_mul_lo_u32 v10, v10, s54
	s_delay_alu instid0(VALU_DEP_2) | instskip(NEXT) | instid1(VALU_DEP_1)
	v_mul_lo_u32 v16, v16, s55
	v_add3_u32 v7, v10, v7, v16
	s_cbranch_scc1 .LBB132_24
; %bb.25:                               ;   in Loop: Header=BB132_9 Depth=1
	s_mov_b32 s14, s31
	s_and_not1_b32 vcc_lo, exec_lo, s34
	s_cbranch_vccz .LBB132_28
	s_branch .LBB132_30
.LBB132_26:                             ;   in Loop: Header=BB132_9 Depth=1
                                        ; implicit-def: $vgpr7
	s_branch .LBB132_31
.LBB132_27:                             ;   in Loop: Header=BB132_9 Depth=1
	v_mov_b32_e32 v8, v13
	s_and_not1_b32 vcc_lo, exec_lo, s34
	s_cbranch_vccnz .LBB132_30
.LBB132_28:                             ;   in Loop: Header=BB132_9 Depth=1
	s_lshl_b32 s15, s14, 2
	s_mul_i32 s22, s14, 12
	s_add_u32 s14, s0, s15
	s_addc_u32 s15, s1, 0
	s_add_u32 s22, s18, s22
	s_addc_u32 s23, s19, 0
	s_mov_b32 s36, s29
	.p2align	6
.LBB132_29:                             ;   Parent Loop BB132_9 Depth=1
                                        ; =>  This Inner Loop Header: Depth=2
	s_clause 0x1
	s_load_b64 s[38:39], s[22:23], 0x4
	s_load_b32 s37, s[22:23], 0xc
	s_add_u32 s22, s22, 12
	s_addc_u32 s23, s23, 0
	s_waitcnt lgkmcnt(0)
	v_mul_hi_u32 v9, s39, v8
	s_load_b32 s39, s[14:15], 0x0
	s_add_u32 s14, s14, 4
	s_addc_u32 s15, s15, 0
	s_add_i32 s36, s36, -1
	s_delay_alu instid0(SALU_CYCLE_1) | instskip(NEXT) | instid1(VALU_DEP_1)
	s_cmp_lg_u32 s36, 0
	v_add_nc_u32_e32 v9, v8, v9
	s_delay_alu instid0(VALU_DEP_1) | instskip(NEXT) | instid1(VALU_DEP_1)
	v_lshrrev_b32_e32 v16, s37, v9
	v_mul_lo_u32 v9, v16, s38
	s_delay_alu instid0(VALU_DEP_1) | instskip(SKIP_1) | instid1(VALU_DEP_1)
	v_sub_nc_u32_e32 v8, v8, v9
	s_waitcnt lgkmcnt(0)
	v_mad_u64_u32 v[9:10], null, v8, s39, v[7:8]
	s_delay_alu instid0(VALU_DEP_1)
	v_dual_mov_b32 v8, v16 :: v_dual_mov_b32 v7, v9
	s_cbranch_scc1 .LBB132_29
.LBB132_30:                             ;   in Loop: Header=BB132_9 Depth=1
	s_cbranch_execnz .LBB132_33
.LBB132_31:                             ;   in Loop: Header=BB132_9 Depth=1
	v_mul_hi_u32 v7, v13, s6
	s_and_not1_b32 vcc_lo, exec_lo, s4
	s_delay_alu instid0(VALU_DEP_1) | instskip(NEXT) | instid1(VALU_DEP_1)
	v_add_nc_u32_e32 v7, v7, v13
	v_lshrrev_b32_e32 v8, s7, v7
	s_delay_alu instid0(VALU_DEP_1) | instskip(NEXT) | instid1(VALU_DEP_1)
	v_mul_lo_u32 v7, v8, s5
	v_sub_nc_u32_e32 v7, v13, v7
	s_delay_alu instid0(VALU_DEP_1)
	v_mul_lo_u32 v7, v7, s20
	s_cbranch_vccnz .LBB132_33
; %bb.32:                               ;   in Loop: Header=BB132_9 Depth=1
	v_mul_hi_u32 v9, s9, v8
	s_delay_alu instid0(VALU_DEP_1) | instskip(NEXT) | instid1(VALU_DEP_1)
	v_add_nc_u32_e32 v9, v8, v9
	v_lshrrev_b32_e32 v9, s10, v9
	s_delay_alu instid0(VALU_DEP_1) | instskip(NEXT) | instid1(VALU_DEP_1)
	v_mul_lo_u32 v9, v9, s8
	v_sub_nc_u32_e32 v10, v8, v9
	s_delay_alu instid0(VALU_DEP_1) | instskip(NEXT) | instid1(VALU_DEP_1)
	v_mad_u64_u32 v[8:9], null, v10, s21, v[7:8]
	v_mov_b32_e32 v7, v8
.LBB132_33:                             ;   in Loop: Header=BB132_9 Depth=1
	v_cvt_f32_u32_e32 v0, v0
	s_delay_alu instid0(VALU_DEP_1) | instskip(NEXT) | instid1(VALU_DEP_1)
	v_fmaak_f32 v0, 0x2f800000, v0, 0x2f800000
	v_cmp_lt_f32_e32 vcc_lo, v0, v38
	v_cndmask_b32_e64 v0, 0, 1, vcc_lo
	global_store_b32 v7, v0, s[12:13]
.LBB132_34:                             ;   in Loop: Header=BB132_9 Depth=1
	s_or_b32 exec_lo, exec_lo, s35
	v_add_co_u32 v7, vcc_lo, v13, s24
	v_add_co_ci_u32_e32 v8, vcc_lo, 0, v14, vcc_lo
	s_mov_b32 s35, exec_lo
	s_delay_alu instid0(VALU_DEP_1)
	v_cmpx_gt_i64_e64 s[16:17], v[7:8]
	s_cbranch_execz .LBB132_49
; %bb.35:                               ;   in Loop: Header=BB132_9 Depth=1
	s_and_not1_b32 vcc_lo, exec_lo, s11
	s_cbranch_vccnz .LBB132_41
; %bb.36:                               ;   in Loop: Header=BB132_9 Depth=1
	v_mov_b32_e32 v0, 0
	s_and_not1_b32 vcc_lo, exec_lo, s27
	s_cbranch_vccnz .LBB132_45
; %bb.37:                               ;   in Loop: Header=BB132_9 Depth=1
	s_and_not1_b32 vcc_lo, exec_lo, s30
	s_mov_b32 s14, 0
	s_cbranch_vccnz .LBB132_42
; %bb.38:                               ;   in Loop: Header=BB132_9 Depth=1
	v_mov_b32_e32 v0, 0
	v_mov_b32_e32 v8, v7
	s_mov_b32 s36, 0
	s_mov_b64 s[14:15], s[18:19]
	s_mov_b64 s[22:23], s[0:1]
.LBB132_39:                             ;   Parent Loop BB132_9 Depth=1
                                        ; =>  This Inner Loop Header: Depth=2
	s_clause 0x1
	s_load_b256 s[40:47], s[14:15], 0x4
	s_load_b128 s[48:51], s[14:15], 0x24
	s_load_b128 s[52:55], s[22:23], 0x0
	s_add_u32 s14, s14, 48
	s_addc_u32 s15, s15, 0
	s_add_i32 s36, s36, 4
	s_add_u32 s22, s22, 16
	s_addc_u32 s23, s23, 0
	s_cmp_eq_u32 s31, s36
	s_waitcnt lgkmcnt(0)
	v_mul_hi_u32 v9, s41, v8
	s_delay_alu instid0(VALU_DEP_1) | instskip(NEXT) | instid1(VALU_DEP_1)
	v_add_nc_u32_e32 v9, v8, v9
	v_lshrrev_b32_e32 v9, s42, v9
	s_delay_alu instid0(VALU_DEP_1) | instskip(SKIP_1) | instid1(VALU_DEP_2)
	v_mul_hi_u32 v10, s44, v9
	v_mul_lo_u32 v42, v9, s40
	v_add_nc_u32_e32 v10, v9, v10
	s_delay_alu instid0(VALU_DEP_2) | instskip(NEXT) | instid1(VALU_DEP_2)
	v_sub_nc_u32_e32 v42, v8, v42
	v_lshrrev_b32_e32 v10, s45, v10
	s_delay_alu instid0(VALU_DEP_2) | instskip(NEXT) | instid1(VALU_DEP_2)
	v_mul_lo_u32 v42, v42, s52
	v_mul_hi_u32 v16, s47, v10
	v_mul_lo_u32 v43, v10, s43
	s_delay_alu instid0(VALU_DEP_2) | instskip(NEXT) | instid1(VALU_DEP_2)
	v_add_nc_u32_e32 v16, v10, v16
	v_sub_nc_u32_e32 v9, v9, v43
	s_delay_alu instid0(VALU_DEP_2) | instskip(NEXT) | instid1(VALU_DEP_2)
	v_lshrrev_b32_e32 v16, s48, v16
	v_mul_lo_u32 v9, v9, s53
	s_delay_alu instid0(VALU_DEP_2) | instskip(NEXT) | instid1(VALU_DEP_2)
	v_mul_hi_u32 v41, s50, v16
	v_add3_u32 v0, v42, v0, v9
	s_delay_alu instid0(VALU_DEP_2) | instskip(NEXT) | instid1(VALU_DEP_1)
	v_add_nc_u32_e32 v41, v16, v41
	v_lshrrev_b32_e32 v8, s51, v41
	v_mul_lo_u32 v41, v16, s46
	s_delay_alu instid0(VALU_DEP_2) | instskip(NEXT) | instid1(VALU_DEP_2)
	v_mul_lo_u32 v44, v8, s49
	v_sub_nc_u32_e32 v10, v10, v41
	s_delay_alu instid0(VALU_DEP_2) | instskip(NEXT) | instid1(VALU_DEP_2)
	v_sub_nc_u32_e32 v16, v16, v44
	v_mul_lo_u32 v10, v10, s54
	s_delay_alu instid0(VALU_DEP_2) | instskip(NEXT) | instid1(VALU_DEP_1)
	v_mul_lo_u32 v16, v16, s55
	v_add3_u32 v0, v10, v0, v16
	s_cbranch_scc0 .LBB132_39
; %bb.40:                               ;   in Loop: Header=BB132_9 Depth=1
	s_mov_b32 s14, s31
	s_and_not1_b32 vcc_lo, exec_lo, s34
	s_cbranch_vccz .LBB132_43
	s_branch .LBB132_45
.LBB132_41:                             ;   in Loop: Header=BB132_9 Depth=1
                                        ; implicit-def: $vgpr0
	s_branch .LBB132_46
.LBB132_42:                             ;   in Loop: Header=BB132_9 Depth=1
	v_mov_b32_e32 v8, v7
	s_and_not1_b32 vcc_lo, exec_lo, s34
	s_cbranch_vccnz .LBB132_45
.LBB132_43:                             ;   in Loop: Header=BB132_9 Depth=1
	s_lshl_b32 s15, s14, 2
	s_mul_i32 s22, s14, 12
	s_add_u32 s14, s0, s15
	s_addc_u32 s15, s1, 0
	s_add_u32 s22, s18, s22
	s_addc_u32 s23, s19, 0
	s_mov_b32 s36, s29
	.p2align	6
.LBB132_44:                             ;   Parent Loop BB132_9 Depth=1
                                        ; =>  This Inner Loop Header: Depth=2
	s_clause 0x1
	s_load_b64 s[38:39], s[22:23], 0x4
	s_load_b32 s37, s[22:23], 0xc
	s_add_u32 s22, s22, 12
	s_addc_u32 s23, s23, 0
	s_waitcnt lgkmcnt(0)
	v_mul_hi_u32 v9, s39, v8
	s_load_b32 s39, s[14:15], 0x0
	s_add_u32 s14, s14, 4
	s_addc_u32 s15, s15, 0
	s_add_i32 s36, s36, -1
	s_delay_alu instid0(SALU_CYCLE_1) | instskip(NEXT) | instid1(VALU_DEP_1)
	s_cmp_lg_u32 s36, 0
	v_add_nc_u32_e32 v9, v8, v9
	s_delay_alu instid0(VALU_DEP_1) | instskip(NEXT) | instid1(VALU_DEP_1)
	v_lshrrev_b32_e32 v16, s37, v9
	v_mul_lo_u32 v9, v16, s38
	s_delay_alu instid0(VALU_DEP_1) | instskip(SKIP_1) | instid1(VALU_DEP_1)
	v_sub_nc_u32_e32 v8, v8, v9
	s_waitcnt lgkmcnt(0)
	v_mad_u64_u32 v[9:10], null, v8, s39, v[0:1]
	v_mov_b32_e32 v8, v16
	s_delay_alu instid0(VALU_DEP_2)
	v_mov_b32_e32 v0, v9
	s_cbranch_scc1 .LBB132_44
.LBB132_45:                             ;   in Loop: Header=BB132_9 Depth=1
	s_cbranch_execnz .LBB132_48
.LBB132_46:                             ;   in Loop: Header=BB132_9 Depth=1
	v_mul_hi_u32 v0, v7, s6
	s_and_not1_b32 vcc_lo, exec_lo, s4
	s_delay_alu instid0(VALU_DEP_1) | instskip(NEXT) | instid1(VALU_DEP_1)
	v_add_nc_u32_e32 v0, v0, v7
	v_lshrrev_b32_e32 v8, s7, v0
	s_delay_alu instid0(VALU_DEP_1) | instskip(NEXT) | instid1(VALU_DEP_1)
	v_mul_lo_u32 v0, v8, s5
	v_sub_nc_u32_e32 v0, v7, v0
	s_delay_alu instid0(VALU_DEP_1)
	v_mul_lo_u32 v0, v0, s20
	s_cbranch_vccnz .LBB132_48
; %bb.47:                               ;   in Loop: Header=BB132_9 Depth=1
	v_mul_hi_u32 v7, s9, v8
	s_delay_alu instid0(VALU_DEP_1) | instskip(NEXT) | instid1(VALU_DEP_1)
	v_add_nc_u32_e32 v7, v8, v7
	v_lshrrev_b32_e32 v7, s10, v7
	s_delay_alu instid0(VALU_DEP_1) | instskip(NEXT) | instid1(VALU_DEP_1)
	v_mul_lo_u32 v7, v7, s8
	v_sub_nc_u32_e32 v9, v8, v7
	s_delay_alu instid0(VALU_DEP_1) | instskip(NEXT) | instid1(VALU_DEP_1)
	v_mad_u64_u32 v[7:8], null, v9, s21, v[0:1]
	v_mov_b32_e32 v0, v7
.LBB132_48:                             ;   in Loop: Header=BB132_9 Depth=1
	v_cvt_f32_u32_e32 v1, v1
	s_delay_alu instid0(VALU_DEP_1) | instskip(NEXT) | instid1(VALU_DEP_1)
	v_fmaak_f32 v1, 0x2f800000, v1, 0x2f800000
	v_cmp_lt_f32_e32 vcc_lo, v1, v38
	v_cndmask_b32_e64 v1, 0, 1, vcc_lo
	global_store_b32 v0, v1, s[12:13]
.LBB132_49:                             ;   in Loop: Header=BB132_9 Depth=1
	s_or_b32 exec_lo, exec_lo, s35
	v_add_co_u32 v0, vcc_lo, v13, s28
	v_add_co_ci_u32_e32 v1, vcc_lo, 0, v14, vcc_lo
	s_mov_b32 s35, exec_lo
	s_delay_alu instid0(VALU_DEP_1)
	v_cmpx_gt_i64_e64 s[16:17], v[0:1]
	s_cbranch_execz .LBB132_64
; %bb.50:                               ;   in Loop: Header=BB132_9 Depth=1
	s_and_not1_b32 vcc_lo, exec_lo, s11
	s_cbranch_vccnz .LBB132_56
; %bb.51:                               ;   in Loop: Header=BB132_9 Depth=1
	v_mov_b32_e32 v1, 0
	s_and_not1_b32 vcc_lo, exec_lo, s27
	s_cbranch_vccnz .LBB132_60
; %bb.52:                               ;   in Loop: Header=BB132_9 Depth=1
	s_and_not1_b32 vcc_lo, exec_lo, s30
	s_mov_b32 s14, 0
	s_cbranch_vccnz .LBB132_57
; %bb.53:                               ;   in Loop: Header=BB132_9 Depth=1
	v_mov_b32_e32 v1, 0
	v_mov_b32_e32 v7, v0
	s_mov_b32 s36, 0
	s_mov_b64 s[14:15], s[18:19]
	s_mov_b64 s[22:23], s[0:1]
.LBB132_54:                             ;   Parent Loop BB132_9 Depth=1
                                        ; =>  This Inner Loop Header: Depth=2
	s_clause 0x1
	s_load_b256 s[40:47], s[14:15], 0x4
	s_load_b128 s[48:51], s[14:15], 0x24
	s_load_b128 s[52:55], s[22:23], 0x0
	s_add_u32 s14, s14, 48
	s_addc_u32 s15, s15, 0
	s_add_i32 s36, s36, 4
	s_add_u32 s22, s22, 16
	s_addc_u32 s23, s23, 0
	s_cmp_eq_u32 s31, s36
	s_waitcnt lgkmcnt(0)
	v_mul_hi_u32 v8, s41, v7
	s_delay_alu instid0(VALU_DEP_1) | instskip(NEXT) | instid1(VALU_DEP_1)
	v_add_nc_u32_e32 v8, v7, v8
	v_lshrrev_b32_e32 v8, s42, v8
	s_delay_alu instid0(VALU_DEP_1) | instskip(SKIP_1) | instid1(VALU_DEP_2)
	v_mul_hi_u32 v9, s44, v8
	v_mul_lo_u32 v41, v8, s40
	v_add_nc_u32_e32 v9, v8, v9
	s_delay_alu instid0(VALU_DEP_2) | instskip(NEXT) | instid1(VALU_DEP_2)
	v_sub_nc_u32_e32 v41, v7, v41
	v_lshrrev_b32_e32 v9, s45, v9
	s_delay_alu instid0(VALU_DEP_2) | instskip(NEXT) | instid1(VALU_DEP_2)
	v_mul_lo_u32 v41, v41, s52
	v_mul_hi_u32 v10, s47, v9
	v_mul_lo_u32 v42, v9, s43
	s_delay_alu instid0(VALU_DEP_2) | instskip(NEXT) | instid1(VALU_DEP_2)
	v_add_nc_u32_e32 v10, v9, v10
	v_sub_nc_u32_e32 v8, v8, v42
	s_delay_alu instid0(VALU_DEP_2) | instskip(NEXT) | instid1(VALU_DEP_2)
	v_lshrrev_b32_e32 v10, s48, v10
	v_mul_lo_u32 v8, v8, s53
	s_delay_alu instid0(VALU_DEP_2) | instskip(NEXT) | instid1(VALU_DEP_2)
	v_mul_hi_u32 v16, s50, v10
	v_add3_u32 v1, v41, v1, v8
	s_delay_alu instid0(VALU_DEP_2) | instskip(NEXT) | instid1(VALU_DEP_1)
	v_add_nc_u32_e32 v16, v10, v16
	v_lshrrev_b32_e32 v7, s51, v16
	v_mul_lo_u32 v16, v10, s46
	s_delay_alu instid0(VALU_DEP_2) | instskip(NEXT) | instid1(VALU_DEP_2)
	v_mul_lo_u32 v43, v7, s49
	v_sub_nc_u32_e32 v9, v9, v16
	s_delay_alu instid0(VALU_DEP_2) | instskip(NEXT) | instid1(VALU_DEP_2)
	v_sub_nc_u32_e32 v10, v10, v43
	v_mul_lo_u32 v9, v9, s54
	s_delay_alu instid0(VALU_DEP_2) | instskip(NEXT) | instid1(VALU_DEP_1)
	v_mul_lo_u32 v10, v10, s55
	v_add3_u32 v1, v9, v1, v10
	s_cbranch_scc0 .LBB132_54
; %bb.55:                               ;   in Loop: Header=BB132_9 Depth=1
	s_mov_b32 s14, s31
	s_and_not1_b32 vcc_lo, exec_lo, s34
	s_cbranch_vccz .LBB132_58
	s_branch .LBB132_60
.LBB132_56:                             ;   in Loop: Header=BB132_9 Depth=1
                                        ; implicit-def: $vgpr1
	s_branch .LBB132_61
.LBB132_57:                             ;   in Loop: Header=BB132_9 Depth=1
	v_mov_b32_e32 v7, v0
	s_and_not1_b32 vcc_lo, exec_lo, s34
	s_cbranch_vccnz .LBB132_60
.LBB132_58:                             ;   in Loop: Header=BB132_9 Depth=1
	s_lshl_b32 s15, s14, 2
	s_mul_i32 s22, s14, 12
	s_add_u32 s14, s0, s15
	s_addc_u32 s15, s1, 0
	s_add_u32 s22, s18, s22
	s_addc_u32 s23, s19, 0
	s_mov_b32 s36, s29
	.p2align	6
.LBB132_59:                             ;   Parent Loop BB132_9 Depth=1
                                        ; =>  This Inner Loop Header: Depth=2
	s_clause 0x1
	s_load_b64 s[38:39], s[22:23], 0x4
	s_load_b32 s37, s[22:23], 0xc
	s_add_u32 s22, s22, 12
	s_addc_u32 s23, s23, 0
	s_waitcnt lgkmcnt(0)
	v_mul_hi_u32 v8, s39, v7
	s_load_b32 s39, s[14:15], 0x0
	s_add_u32 s14, s14, 4
	s_addc_u32 s15, s15, 0
	s_add_i32 s36, s36, -1
	s_delay_alu instid0(SALU_CYCLE_1) | instskip(NEXT) | instid1(VALU_DEP_1)
	s_cmp_lg_u32 s36, 0
	v_add_nc_u32_e32 v8, v7, v8
	s_delay_alu instid0(VALU_DEP_1) | instskip(NEXT) | instid1(VALU_DEP_1)
	v_lshrrev_b32_e32 v10, s37, v8
	v_mul_lo_u32 v8, v10, s38
	s_delay_alu instid0(VALU_DEP_1) | instskip(SKIP_1) | instid1(VALU_DEP_1)
	v_sub_nc_u32_e32 v7, v7, v8
	s_waitcnt lgkmcnt(0)
	v_mad_u64_u32 v[8:9], null, v7, s39, v[1:2]
	v_mov_b32_e32 v7, v10
	s_delay_alu instid0(VALU_DEP_2)
	v_mov_b32_e32 v1, v8
	s_cbranch_scc1 .LBB132_59
.LBB132_60:                             ;   in Loop: Header=BB132_9 Depth=1
	s_cbranch_execnz .LBB132_63
.LBB132_61:                             ;   in Loop: Header=BB132_9 Depth=1
	v_mul_hi_u32 v1, v0, s6
	s_and_not1_b32 vcc_lo, exec_lo, s4
	s_delay_alu instid0(VALU_DEP_1) | instskip(NEXT) | instid1(VALU_DEP_1)
	v_add_nc_u32_e32 v1, v1, v0
	v_lshrrev_b32_e32 v7, s7, v1
	s_delay_alu instid0(VALU_DEP_1) | instskip(NEXT) | instid1(VALU_DEP_1)
	v_mul_lo_u32 v1, v7, s5
	v_sub_nc_u32_e32 v0, v0, v1
	s_delay_alu instid0(VALU_DEP_1)
	v_mul_lo_u32 v1, v0, s20
	s_cbranch_vccnz .LBB132_63
; %bb.62:                               ;   in Loop: Header=BB132_9 Depth=1
	v_mul_hi_u32 v0, s9, v7
	s_delay_alu instid0(VALU_DEP_1) | instskip(NEXT) | instid1(VALU_DEP_1)
	v_add_nc_u32_e32 v0, v7, v0
	v_lshrrev_b32_e32 v0, s10, v0
	s_delay_alu instid0(VALU_DEP_1) | instskip(NEXT) | instid1(VALU_DEP_1)
	v_mul_lo_u32 v0, v0, s8
	v_sub_nc_u32_e32 v0, v7, v0
	s_delay_alu instid0(VALU_DEP_1) | instskip(NEXT) | instid1(VALU_DEP_1)
	v_mad_u64_u32 v[7:8], null, v0, s21, v[1:2]
	v_mov_b32_e32 v1, v7
.LBB132_63:                             ;   in Loop: Header=BB132_9 Depth=1
	v_cvt_f32_u32_e32 v0, v2
	s_delay_alu instid0(VALU_DEP_1) | instskip(NEXT) | instid1(VALU_DEP_1)
	v_fmaak_f32 v0, 0x2f800000, v0, 0x2f800000
	v_cmp_lt_f32_e32 vcc_lo, v0, v38
	v_cndmask_b32_e64 v0, 0, 1, vcc_lo
	global_store_b32 v1, v0, s[12:13]
.LBB132_64:                             ;   in Loop: Header=BB132_9 Depth=1
	s_or_b32 exec_lo, exec_lo, s35
	v_add_co_u32 v0, vcc_lo, v13, s33
	v_add_co_ci_u32_e32 v1, vcc_lo, 0, v14, vcc_lo
	s_mov_b32 s35, exec_lo
	s_delay_alu instid0(VALU_DEP_1)
	v_cmpx_gt_i64_e64 s[16:17], v[0:1]
	s_cbranch_execz .LBB132_8
; %bb.65:                               ;   in Loop: Header=BB132_9 Depth=1
	s_and_not1_b32 vcc_lo, exec_lo, s11
	s_cbranch_vccnz .LBB132_71
; %bb.66:                               ;   in Loop: Header=BB132_9 Depth=1
	v_mov_b32_e32 v1, 0
	s_and_not1_b32 vcc_lo, exec_lo, s27
	s_cbranch_vccnz .LBB132_75
; %bb.67:                               ;   in Loop: Header=BB132_9 Depth=1
	s_and_not1_b32 vcc_lo, exec_lo, s30
	s_mov_b32 s14, 0
	s_cbranch_vccnz .LBB132_72
; %bb.68:                               ;   in Loop: Header=BB132_9 Depth=1
	v_dual_mov_b32 v1, 0 :: v_dual_mov_b32 v2, v0
	s_mov_b32 s36, 0
	s_mov_b64 s[14:15], s[18:19]
	s_mov_b64 s[22:23], s[0:1]
.LBB132_69:                             ;   Parent Loop BB132_9 Depth=1
                                        ; =>  This Inner Loop Header: Depth=2
	s_clause 0x1
	s_load_b256 s[40:47], s[14:15], 0x4
	s_load_b128 s[48:51], s[14:15], 0x24
	s_load_b128 s[52:55], s[22:23], 0x0
	s_add_u32 s14, s14, 48
	s_addc_u32 s15, s15, 0
	s_add_i32 s36, s36, 4
	s_add_u32 s22, s22, 16
	s_addc_u32 s23, s23, 0
	s_cmp_eq_u32 s31, s36
	s_waitcnt lgkmcnt(0)
	v_mul_hi_u32 v7, s41, v2
	s_delay_alu instid0(VALU_DEP_1) | instskip(NEXT) | instid1(VALU_DEP_1)
	v_add_nc_u32_e32 v7, v2, v7
	v_lshrrev_b32_e32 v7, s42, v7
	s_delay_alu instid0(VALU_DEP_1) | instskip(SKIP_1) | instid1(VALU_DEP_2)
	v_mul_hi_u32 v8, s44, v7
	v_mul_lo_u32 v16, v7, s40
	v_add_nc_u32_e32 v8, v7, v8
	s_delay_alu instid0(VALU_DEP_2) | instskip(NEXT) | instid1(VALU_DEP_2)
	v_sub_nc_u32_e32 v16, v2, v16
	v_lshrrev_b32_e32 v8, s45, v8
	s_delay_alu instid0(VALU_DEP_2) | instskip(NEXT) | instid1(VALU_DEP_2)
	v_mul_lo_u32 v16, v16, s52
	v_mul_hi_u32 v9, s47, v8
	v_mul_lo_u32 v41, v8, s43
	s_delay_alu instid0(VALU_DEP_2) | instskip(NEXT) | instid1(VALU_DEP_2)
	v_add_nc_u32_e32 v9, v8, v9
	v_sub_nc_u32_e32 v7, v7, v41
	s_delay_alu instid0(VALU_DEP_2) | instskip(NEXT) | instid1(VALU_DEP_2)
	v_lshrrev_b32_e32 v9, s48, v9
	v_mul_lo_u32 v7, v7, s53
	s_delay_alu instid0(VALU_DEP_2) | instskip(NEXT) | instid1(VALU_DEP_2)
	v_mul_hi_u32 v10, s50, v9
	v_add3_u32 v1, v16, v1, v7
	s_delay_alu instid0(VALU_DEP_2) | instskip(NEXT) | instid1(VALU_DEP_1)
	v_add_nc_u32_e32 v10, v9, v10
	v_lshrrev_b32_e32 v2, s51, v10
	v_mul_lo_u32 v10, v9, s46
	s_delay_alu instid0(VALU_DEP_2) | instskip(NEXT) | instid1(VALU_DEP_2)
	v_mul_lo_u32 v42, v2, s49
	v_sub_nc_u32_e32 v8, v8, v10
	s_delay_alu instid0(VALU_DEP_2) | instskip(NEXT) | instid1(VALU_DEP_2)
	v_sub_nc_u32_e32 v9, v9, v42
	v_mul_lo_u32 v8, v8, s54
	s_delay_alu instid0(VALU_DEP_2) | instskip(NEXT) | instid1(VALU_DEP_1)
	v_mul_lo_u32 v9, v9, s55
	v_add3_u32 v1, v8, v1, v9
	s_cbranch_scc0 .LBB132_69
; %bb.70:                               ;   in Loop: Header=BB132_9 Depth=1
	s_mov_b32 s14, s31
	s_and_not1_b32 vcc_lo, exec_lo, s34
	s_cbranch_vccz .LBB132_73
	s_branch .LBB132_75
.LBB132_71:                             ;   in Loop: Header=BB132_9 Depth=1
                                        ; implicit-def: $vgpr1
	s_branch .LBB132_76
.LBB132_72:                             ;   in Loop: Header=BB132_9 Depth=1
	v_mov_b32_e32 v2, v0
	s_and_not1_b32 vcc_lo, exec_lo, s34
	s_cbranch_vccnz .LBB132_75
.LBB132_73:                             ;   in Loop: Header=BB132_9 Depth=1
	s_lshl_b32 s15, s14, 2
	s_mul_i32 s22, s14, 12
	s_add_u32 s14, s0, s15
	s_addc_u32 s15, s1, 0
	s_add_u32 s22, s18, s22
	s_addc_u32 s23, s19, 0
	s_mov_b32 s36, s29
	.p2align	6
.LBB132_74:                             ;   Parent Loop BB132_9 Depth=1
                                        ; =>  This Inner Loop Header: Depth=2
	s_clause 0x1
	s_load_b64 s[38:39], s[22:23], 0x4
	s_load_b32 s37, s[22:23], 0xc
	s_add_u32 s22, s22, 12
	s_addc_u32 s23, s23, 0
	s_waitcnt lgkmcnt(0)
	v_mul_hi_u32 v7, s39, v2
	s_load_b32 s39, s[14:15], 0x0
	s_add_u32 s14, s14, 4
	s_addc_u32 s15, s15, 0
	s_add_i32 s36, s36, -1
	s_delay_alu instid0(SALU_CYCLE_1) | instskip(NEXT) | instid1(VALU_DEP_1)
	s_cmp_lg_u32 s36, 0
	v_add_nc_u32_e32 v7, v2, v7
	s_delay_alu instid0(VALU_DEP_1) | instskip(NEXT) | instid1(VALU_DEP_1)
	v_lshrrev_b32_e32 v9, s37, v7
	v_mul_lo_u32 v7, v9, s38
	s_delay_alu instid0(VALU_DEP_1) | instskip(SKIP_1) | instid1(VALU_DEP_1)
	v_sub_nc_u32_e32 v2, v2, v7
	s_waitcnt lgkmcnt(0)
	v_mad_u64_u32 v[7:8], null, v2, s39, v[1:2]
	s_delay_alu instid0(VALU_DEP_1)
	v_dual_mov_b32 v2, v9 :: v_dual_mov_b32 v1, v7
	s_cbranch_scc1 .LBB132_74
.LBB132_75:                             ;   in Loop: Header=BB132_9 Depth=1
	s_cbranch_execnz .LBB132_7
.LBB132_76:                             ;   in Loop: Header=BB132_9 Depth=1
	v_mul_hi_u32 v1, v0, s6
	s_and_not1_b32 vcc_lo, exec_lo, s4
	s_delay_alu instid0(VALU_DEP_1) | instskip(NEXT) | instid1(VALU_DEP_1)
	v_add_nc_u32_e32 v1, v1, v0
	v_lshrrev_b32_e32 v2, s7, v1
	s_delay_alu instid0(VALU_DEP_1) | instskip(NEXT) | instid1(VALU_DEP_1)
	v_mul_lo_u32 v1, v2, s5
	v_sub_nc_u32_e32 v0, v0, v1
	s_delay_alu instid0(VALU_DEP_1)
	v_mul_lo_u32 v1, v0, s20
	s_cbranch_vccnz .LBB132_7
; %bb.77:                               ;   in Loop: Header=BB132_9 Depth=1
	v_mul_hi_u32 v0, s9, v2
	s_delay_alu instid0(VALU_DEP_1) | instskip(NEXT) | instid1(VALU_DEP_1)
	v_add_nc_u32_e32 v0, v2, v0
	v_lshrrev_b32_e32 v0, s10, v0
	s_delay_alu instid0(VALU_DEP_1) | instskip(NEXT) | instid1(VALU_DEP_1)
	v_mul_lo_u32 v0, v0, s8
	v_sub_nc_u32_e32 v0, v2, v0
	s_delay_alu instid0(VALU_DEP_1) | instskip(NEXT) | instid1(VALU_DEP_1)
	v_mad_u64_u32 v[7:8], null, v0, s21, v[1:2]
	v_mov_b32_e32 v1, v7
	s_branch .LBB132_7
.LBB132_78:
	s_endpgm
.LBB132_79:
                                        ; implicit-def: $sgpr2_sgpr3
	s_branch .LBB132_4
	.section	.rodata,"a",@progbits
	.p2align	6, 0x0
	.amdhsa_kernel _ZN2at6native12_GLOBAL__N_143distribution_elementwise_grid_stride_kernelIfLi4EZNS0_9templates4cuda21uniform_and_transformIifPNS_17CUDAGeneratorImplEZZZNS4_16bernoulli_kernelIS7_EEvRNS_18TensorIteratorBaseEdT_ENKUlvE_clEvENKUlvE1_clEvEUlfE_EEvSA_T1_T2_EUlP25hiprandStatePhilox4_32_10E0_ZNS1_27distribution_nullary_kernelIif15HIP_vector_typeIfLj4EES7_SJ_SE_EEvSA_SG_RKT3_T4_EUlifE0_EEvlNS_15PhiloxCudaStateESF_SG_
		.amdhsa_group_segment_fixed_size 0
		.amdhsa_private_segment_fixed_size 0
		.amdhsa_kernarg_size 584
		.amdhsa_user_sgpr_count 15
		.amdhsa_user_sgpr_dispatch_ptr 0
		.amdhsa_user_sgpr_queue_ptr 0
		.amdhsa_user_sgpr_kernarg_segment_ptr 1
		.amdhsa_user_sgpr_dispatch_id 0
		.amdhsa_user_sgpr_private_segment_size 0
		.amdhsa_wavefront_size32 1
		.amdhsa_uses_dynamic_stack 0
		.amdhsa_enable_private_segment 0
		.amdhsa_system_sgpr_workgroup_id_x 1
		.amdhsa_system_sgpr_workgroup_id_y 0
		.amdhsa_system_sgpr_workgroup_id_z 0
		.amdhsa_system_sgpr_workgroup_info 0
		.amdhsa_system_vgpr_workitem_id 0
		.amdhsa_next_free_vgpr 45
		.amdhsa_next_free_sgpr 56
		.amdhsa_reserve_vcc 1
		.amdhsa_float_round_mode_32 0
		.amdhsa_float_round_mode_16_64 0
		.amdhsa_float_denorm_mode_32 3
		.amdhsa_float_denorm_mode_16_64 3
		.amdhsa_dx10_clamp 1
		.amdhsa_ieee_mode 1
		.amdhsa_fp16_overflow 0
		.amdhsa_workgroup_processor_mode 1
		.amdhsa_memory_ordered 1
		.amdhsa_forward_progress 0
		.amdhsa_shared_vgpr_count 0
		.amdhsa_exception_fp_ieee_invalid_op 0
		.amdhsa_exception_fp_denorm_src 0
		.amdhsa_exception_fp_ieee_div_zero 0
		.amdhsa_exception_fp_ieee_overflow 0
		.amdhsa_exception_fp_ieee_underflow 0
		.amdhsa_exception_fp_ieee_inexact 0
		.amdhsa_exception_int_div_zero 0
	.end_amdhsa_kernel
	.section	.text._ZN2at6native12_GLOBAL__N_143distribution_elementwise_grid_stride_kernelIfLi4EZNS0_9templates4cuda21uniform_and_transformIifPNS_17CUDAGeneratorImplEZZZNS4_16bernoulli_kernelIS7_EEvRNS_18TensorIteratorBaseEdT_ENKUlvE_clEvENKUlvE1_clEvEUlfE_EEvSA_T1_T2_EUlP25hiprandStatePhilox4_32_10E0_ZNS1_27distribution_nullary_kernelIif15HIP_vector_typeIfLj4EES7_SJ_SE_EEvSA_SG_RKT3_T4_EUlifE0_EEvlNS_15PhiloxCudaStateESF_SG_,"axG",@progbits,_ZN2at6native12_GLOBAL__N_143distribution_elementwise_grid_stride_kernelIfLi4EZNS0_9templates4cuda21uniform_and_transformIifPNS_17CUDAGeneratorImplEZZZNS4_16bernoulli_kernelIS7_EEvRNS_18TensorIteratorBaseEdT_ENKUlvE_clEvENKUlvE1_clEvEUlfE_EEvSA_T1_T2_EUlP25hiprandStatePhilox4_32_10E0_ZNS1_27distribution_nullary_kernelIif15HIP_vector_typeIfLj4EES7_SJ_SE_EEvSA_SG_RKT3_T4_EUlifE0_EEvlNS_15PhiloxCudaStateESF_SG_,comdat
.Lfunc_end132:
	.size	_ZN2at6native12_GLOBAL__N_143distribution_elementwise_grid_stride_kernelIfLi4EZNS0_9templates4cuda21uniform_and_transformIifPNS_17CUDAGeneratorImplEZZZNS4_16bernoulli_kernelIS7_EEvRNS_18TensorIteratorBaseEdT_ENKUlvE_clEvENKUlvE1_clEvEUlfE_EEvSA_T1_T2_EUlP25hiprandStatePhilox4_32_10E0_ZNS1_27distribution_nullary_kernelIif15HIP_vector_typeIfLj4EES7_SJ_SE_EEvSA_SG_RKT3_T4_EUlifE0_EEvlNS_15PhiloxCudaStateESF_SG_, .Lfunc_end132-_ZN2at6native12_GLOBAL__N_143distribution_elementwise_grid_stride_kernelIfLi4EZNS0_9templates4cuda21uniform_and_transformIifPNS_17CUDAGeneratorImplEZZZNS4_16bernoulli_kernelIS7_EEvRNS_18TensorIteratorBaseEdT_ENKUlvE_clEvENKUlvE1_clEvEUlfE_EEvSA_T1_T2_EUlP25hiprandStatePhilox4_32_10E0_ZNS1_27distribution_nullary_kernelIif15HIP_vector_typeIfLj4EES7_SJ_SE_EEvSA_SG_RKT3_T4_EUlifE0_EEvlNS_15PhiloxCudaStateESF_SG_
                                        ; -- End function
	.section	.AMDGPU.csdata,"",@progbits
; Kernel info:
; codeLenInByte = 5256
; NumSgprs: 58
; NumVgprs: 45
; ScratchSize: 0
; MemoryBound: 0
; FloatMode: 240
; IeeeMode: 1
; LDSByteSize: 0 bytes/workgroup (compile time only)
; SGPRBlocks: 7
; VGPRBlocks: 5
; NumSGPRsForWavesPerEU: 58
; NumVGPRsForWavesPerEU: 45
; Occupancy: 16
; WaveLimiterHint : 1
; COMPUTE_PGM_RSRC2:SCRATCH_EN: 0
; COMPUTE_PGM_RSRC2:USER_SGPR: 15
; COMPUTE_PGM_RSRC2:TRAP_HANDLER: 0
; COMPUTE_PGM_RSRC2:TGID_X_EN: 1
; COMPUTE_PGM_RSRC2:TGID_Y_EN: 0
; COMPUTE_PGM_RSRC2:TGID_Z_EN: 0
; COMPUTE_PGM_RSRC2:TIDIG_COMP_CNT: 0
	.section	.text._ZN2at6native12_GLOBAL__N_143distribution_elementwise_grid_stride_kernelIfLi4EZNS0_9templates4cuda21uniform_and_transformIlfPNS_17CUDAGeneratorImplEZZZNS4_16bernoulli_kernelIS7_EEvRNS_18TensorIteratorBaseEdT_ENKUlvE_clEvENKUlvE2_clEvEUlfE_EEvSA_T1_T2_EUlP25hiprandStatePhilox4_32_10E_ZNS1_27distribution_nullary_kernelIlf15HIP_vector_typeIdLj2EES7_SJ_SE_EEvSA_SG_RKT3_T4_EUlifE_EEvlNS_15PhiloxCudaStateESF_SG_,"axG",@progbits,_ZN2at6native12_GLOBAL__N_143distribution_elementwise_grid_stride_kernelIfLi4EZNS0_9templates4cuda21uniform_and_transformIlfPNS_17CUDAGeneratorImplEZZZNS4_16bernoulli_kernelIS7_EEvRNS_18TensorIteratorBaseEdT_ENKUlvE_clEvENKUlvE2_clEvEUlfE_EEvSA_T1_T2_EUlP25hiprandStatePhilox4_32_10E_ZNS1_27distribution_nullary_kernelIlf15HIP_vector_typeIdLj2EES7_SJ_SE_EEvSA_SG_RKT3_T4_EUlifE_EEvlNS_15PhiloxCudaStateESF_SG_,comdat
	.globl	_ZN2at6native12_GLOBAL__N_143distribution_elementwise_grid_stride_kernelIfLi4EZNS0_9templates4cuda21uniform_and_transformIlfPNS_17CUDAGeneratorImplEZZZNS4_16bernoulli_kernelIS7_EEvRNS_18TensorIteratorBaseEdT_ENKUlvE_clEvENKUlvE2_clEvEUlfE_EEvSA_T1_T2_EUlP25hiprandStatePhilox4_32_10E_ZNS1_27distribution_nullary_kernelIlf15HIP_vector_typeIdLj2EES7_SJ_SE_EEvSA_SG_RKT3_T4_EUlifE_EEvlNS_15PhiloxCudaStateESF_SG_ ; -- Begin function _ZN2at6native12_GLOBAL__N_143distribution_elementwise_grid_stride_kernelIfLi4EZNS0_9templates4cuda21uniform_and_transformIlfPNS_17CUDAGeneratorImplEZZZNS4_16bernoulli_kernelIS7_EEvRNS_18TensorIteratorBaseEdT_ENKUlvE_clEvENKUlvE2_clEvEUlfE_EEvSA_T1_T2_EUlP25hiprandStatePhilox4_32_10E_ZNS1_27distribution_nullary_kernelIlf15HIP_vector_typeIdLj2EES7_SJ_SE_EEvSA_SG_RKT3_T4_EUlifE_EEvlNS_15PhiloxCudaStateESF_SG_
	.p2align	8
	.type	_ZN2at6native12_GLOBAL__N_143distribution_elementwise_grid_stride_kernelIfLi4EZNS0_9templates4cuda21uniform_and_transformIlfPNS_17CUDAGeneratorImplEZZZNS4_16bernoulli_kernelIS7_EEvRNS_18TensorIteratorBaseEdT_ENKUlvE_clEvENKUlvE2_clEvEUlfE_EEvSA_T1_T2_EUlP25hiprandStatePhilox4_32_10E_ZNS1_27distribution_nullary_kernelIlf15HIP_vector_typeIdLj2EES7_SJ_SE_EEvSA_SG_RKT3_T4_EUlifE_EEvlNS_15PhiloxCudaStateESF_SG_,@function
_ZN2at6native12_GLOBAL__N_143distribution_elementwise_grid_stride_kernelIfLi4EZNS0_9templates4cuda21uniform_and_transformIlfPNS_17CUDAGeneratorImplEZZZNS4_16bernoulli_kernelIS7_EEvRNS_18TensorIteratorBaseEdT_ENKUlvE_clEvENKUlvE2_clEvEUlfE_EEvSA_T1_T2_EUlP25hiprandStatePhilox4_32_10E_ZNS1_27distribution_nullary_kernelIlf15HIP_vector_typeIdLj2EES7_SJ_SE_EEvSA_SG_RKT3_T4_EUlifE_EEvlNS_15PhiloxCudaStateESF_SG_: ; @_ZN2at6native12_GLOBAL__N_143distribution_elementwise_grid_stride_kernelIfLi4EZNS0_9templates4cuda21uniform_and_transformIlfPNS_17CUDAGeneratorImplEZZZNS4_16bernoulli_kernelIS7_EEvRNS_18TensorIteratorBaseEdT_ENKUlvE_clEvENKUlvE2_clEvEUlfE_EEvSA_T1_T2_EUlP25hiprandStatePhilox4_32_10E_ZNS1_27distribution_nullary_kernelIlf15HIP_vector_typeIdLj2EES7_SJ_SE_EEvSA_SG_RKT3_T4_EUlifE_EEvlNS_15PhiloxCudaStateESF_SG_
; %bb.0:
	s_clause 0x2
	s_load_b64 s[8:9], s[0:1], 0x10
	s_load_b128 s[4:7], s[0:1], 0x0
	s_load_b32 s2, s[0:1], 0x20
	s_waitcnt lgkmcnt(0)
	v_dual_mov_b32 v2, s8 :: v_dual_mov_b32 v3, s9
	v_dual_mov_b32 v12, s7 :: v_dual_mov_b32 v11, s6
	s_bitcmp0_b32 s2, 0
	s_mov_b32 s2, 0
	s_cbranch_scc1 .LBB133_2
; %bb.1:
	v_dual_mov_b32 v1, s8 :: v_dual_mov_b32 v2, s9
	v_dual_mov_b32 v4, s6 :: v_dual_mov_b32 v5, s7
	s_load_b64 s[6:7], s[0:1], 0x18
	flat_load_b64 v[2:3], v[1:2]
	flat_load_b64 v[11:12], v[4:5]
	s_waitcnt vmcnt(1) lgkmcnt(0)
	v_add_co_u32 v2, vcc_lo, v2, s6
	v_add_co_ci_u32_e32 v3, vcc_lo, s7, v3, vcc_lo
.LBB133_2:
	s_clause 0x1
	s_load_b32 s3, s[0:1], 0x54
	s_load_b32 s11, s[0:1], 0x48
	s_waitcnt lgkmcnt(0)
	s_and_b32 s10, s3, 0xffff
	s_add_u32 s6, s4, -1
	s_mul_i32 s8, s11, s10
	s_addc_u32 s3, s5, -1
	s_lshl_b32 s9, s8, 2
	s_cmp_lg_u64 s[2:3], 0
	s_cbranch_scc0 .LBB133_23
; %bb.3:
	v_cvt_f32_ubyte0_e32 v1, 0
	v_cvt_f32_u32_e32 v4, s9
	s_sub_u32 s12, 0, s9
	s_subb_u32 s13, 0, 0
	s_delay_alu instid0(VALU_DEP_1) | instskip(NEXT) | instid1(VALU_DEP_1)
	v_fmamk_f32 v1, v1, 0x4f800000, v4
	v_rcp_f32_e32 v1, v1
	s_waitcnt_depctr 0xfff
	v_mul_f32_e32 v1, 0x5f7ffffc, v1
	s_delay_alu instid0(VALU_DEP_1) | instskip(NEXT) | instid1(VALU_DEP_1)
	v_mul_f32_e32 v4, 0x2f800000, v1
	v_trunc_f32_e32 v4, v4
	s_delay_alu instid0(VALU_DEP_1) | instskip(SKIP_1) | instid1(VALU_DEP_2)
	v_fmamk_f32 v1, v4, 0xcf800000, v1
	v_cvt_u32_f32_e32 v4, v4
	v_cvt_u32_f32_e32 v1, v1
	s_delay_alu instid0(VALU_DEP_2) | instskip(NEXT) | instid1(VALU_DEP_2)
	v_readfirstlane_b32 s2, v4
	v_readfirstlane_b32 s7, v1
	s_delay_alu instid0(VALU_DEP_2) | instskip(NEXT) | instid1(VALU_DEP_1)
	s_mul_i32 s14, s12, s2
	s_mul_hi_u32 s17, s12, s7
	s_mul_i32 s16, s13, s7
	s_add_i32 s14, s17, s14
	s_mul_i32 s18, s12, s7
	s_add_i32 s14, s14, s16
	s_mul_hi_u32 s17, s7, s18
	s_mul_hi_u32 s19, s2, s18
	s_mul_i32 s16, s2, s18
	s_mul_hi_u32 s18, s7, s14
	s_mul_i32 s7, s7, s14
	s_mul_hi_u32 s20, s2, s14
	s_add_u32 s7, s17, s7
	s_addc_u32 s17, 0, s18
	s_add_u32 s7, s7, s16
	s_mul_i32 s14, s2, s14
	s_addc_u32 s7, s17, s19
	s_addc_u32 s16, s20, 0
	s_add_u32 s7, s7, s14
	s_addc_u32 s14, 0, s16
	v_add_co_u32 v1, s7, v1, s7
	s_delay_alu instid0(VALU_DEP_1) | instskip(SKIP_1) | instid1(VALU_DEP_1)
	s_cmp_lg_u32 s7, 0
	s_addc_u32 s2, s2, s14
	v_readfirstlane_b32 s7, v1
	s_mul_i32 s14, s12, s2
	s_delay_alu instid0(VALU_DEP_1)
	s_mul_hi_u32 s16, s12, s7
	s_mul_i32 s13, s13, s7
	s_add_i32 s14, s16, s14
	s_mul_i32 s12, s12, s7
	s_add_i32 s14, s14, s13
	s_mul_hi_u32 s16, s2, s12
	s_mul_i32 s17, s2, s12
	s_mul_hi_u32 s12, s7, s12
	s_mul_hi_u32 s18, s7, s14
	s_mul_i32 s7, s7, s14
	s_mul_hi_u32 s13, s2, s14
	s_add_u32 s7, s12, s7
	s_addc_u32 s12, 0, s18
	s_add_u32 s7, s7, s17
	s_mul_i32 s14, s2, s14
	s_addc_u32 s7, s12, s16
	s_addc_u32 s12, s13, 0
	s_add_u32 s7, s7, s14
	s_addc_u32 s12, 0, s12
	v_add_co_u32 v1, s7, v1, s7
	s_delay_alu instid0(VALU_DEP_1) | instskip(SKIP_2) | instid1(VALU_DEP_1)
	s_cmp_lg_u32 s7, 0
	s_addc_u32 s7, s2, s12
	s_ashr_i32 s12, s3, 31
	v_readfirstlane_b32 s14, v1
	s_add_u32 s2, s6, s12
	s_mov_b32 s13, s12
	s_addc_u32 s3, s3, s12
	s_delay_alu instid0(SALU_CYCLE_1) | instskip(NEXT) | instid1(SALU_CYCLE_1)
	s_xor_b64 s[2:3], s[2:3], s[12:13]
	s_mul_i32 s17, s2, s7
	s_mul_hi_u32 s18, s2, s14
	s_mul_hi_u32 s16, s2, s7
	;; [unrolled: 1-line block ×3, first 2 shown]
	s_mul_i32 s14, s3, s14
	s_add_u32 s17, s18, s17
	s_addc_u32 s16, 0, s16
	s_mul_hi_u32 s19, s3, s7
	s_add_u32 s14, s17, s14
	s_mul_i32 s7, s3, s7
	s_addc_u32 s14, s16, s20
	s_addc_u32 s16, s19, 0
	s_add_u32 s7, s14, s7
	s_addc_u32 s14, 0, s16
	s_mul_i32 s17, s9, s7
	s_add_u32 s16, s7, 1
	v_sub_co_u32 v1, s2, s2, s17
	s_mul_hi_u32 s17, s9, s7
	s_addc_u32 s18, s14, 0
	s_mul_i32 s19, s9, s14
	s_delay_alu instid0(VALU_DEP_1)
	v_sub_co_u32 v4, s20, v1, s9
	s_add_u32 s21, s7, 2
	s_addc_u32 s22, s14, 0
	s_add_i32 s17, s17, s19
	s_cmp_lg_u32 s2, 0
	v_readfirstlane_b32 s2, v4
	s_subb_u32 s3, s3, s17
	s_cmp_lg_u32 s20, 0
	s_subb_u32 s17, s3, 0
	s_delay_alu instid0(VALU_DEP_1) | instskip(SKIP_4) | instid1(SALU_CYCLE_1)
	s_cmp_ge_u32 s2, s9
	s_cselect_b32 s2, -1, 0
	s_cmp_eq_u32 s17, 0
	v_readfirstlane_b32 s17, v1
	s_cselect_b32 s2, s2, -1
	s_cmp_lg_u32 s2, 0
	s_cselect_b32 s2, s21, s16
	s_cselect_b32 s16, s22, s18
	s_cmp_ge_u32 s17, s9
	s_cselect_b32 s17, -1, 0
	s_cmp_eq_u32 s3, 0
	s_cselect_b32 s3, s17, -1
	s_delay_alu instid0(SALU_CYCLE_1) | instskip(SKIP_2) | instid1(SALU_CYCLE_1)
	s_cmp_lg_u32 s3, 0
	s_cselect_b32 s3, s16, s14
	s_cselect_b32 s2, s2, s7
	s_xor_b64 s[2:3], s[2:3], s[12:13]
	s_delay_alu instid0(SALU_CYCLE_1)
	s_sub_u32 s2, s2, s12
	s_subb_u32 s3, s3, s12
	s_cbranch_execnz .LBB133_5
.LBB133_4:
	v_cvt_f32_u32_e32 v1, s9
	s_sub_i32 s3, 0, s9
	s_delay_alu instid0(VALU_DEP_1) | instskip(SKIP_2) | instid1(VALU_DEP_1)
	v_rcp_iflag_f32_e32 v1, v1
	s_waitcnt_depctr 0xfff
	v_mul_f32_e32 v1, 0x4f7ffffe, v1
	v_cvt_u32_f32_e32 v1, v1
	s_delay_alu instid0(VALU_DEP_1) | instskip(NEXT) | instid1(VALU_DEP_1)
	v_readfirstlane_b32 s2, v1
	s_mul_i32 s3, s3, s2
	s_delay_alu instid0(SALU_CYCLE_1) | instskip(NEXT) | instid1(SALU_CYCLE_1)
	s_mul_hi_u32 s3, s2, s3
	s_add_i32 s2, s2, s3
	s_delay_alu instid0(SALU_CYCLE_1) | instskip(NEXT) | instid1(SALU_CYCLE_1)
	s_mul_hi_u32 s2, s6, s2
	s_mul_i32 s3, s2, s9
	s_delay_alu instid0(SALU_CYCLE_1)
	s_sub_i32 s3, s6, s3
	s_add_i32 s6, s2, 1
	s_sub_i32 s7, s3, s9
	s_cmp_ge_u32 s3, s9
	s_cselect_b32 s2, s6, s2
	s_cselect_b32 s3, s7, s3
	s_add_i32 s6, s2, 1
	s_cmp_ge_u32 s3, s9
	s_mov_b32 s3, 0
	s_cselect_b32 s2, s6, s2
.LBB133_5:
	v_mov_b32_e32 v1, 0
	s_add_u32 s2, s2, 1
	s_addc_u32 s3, s3, 0
	s_mul_hi_u32 s6, s8, s2
	s_mul_i32 s3, s8, s3
	v_mad_u64_u32 v[13:14], null, s10, s15, v[0:1]
	s_mul_hi_u32 s7, s11, s10
	s_add_i32 s3, s6, s3
	s_mul_i32 s7, s7, s2
	s_mul_i32 s2, s8, s2
	s_add_i32 s3, s3, s7
	s_mov_b32 s6, exec_lo
	s_lshl_b64 s[2:3], s[2:3], 2
	s_delay_alu instid0(SALU_CYCLE_1)
	v_cmpx_gt_i64_e64 s[2:3], v[13:14]
	s_cbranch_execz .LBB133_22
; %bb.6:
	v_alignbit_b32 v17, v3, v2, 2
	v_mad_u64_u32 v[6:7], null, 0xcd9e8d57, v13, 0
	v_lshrrev_b32_e32 v18, 2, v3
	s_waitcnt vmcnt(0)
	v_dual_mov_b32 v15, v12 :: v_dual_and_b32 v34, 3, v2
	v_mad_u64_u32 v[4:5], null, 0xd2511f53, v17, 0
	v_add_co_u32 v20, null, 0x9e3779b9, v11
	v_xor3_b32 v3, v11, v7, v18
	s_delay_alu instid0(VALU_DEP_4) | instskip(SKIP_2) | instid1(VALU_DEP_4)
	v_add_co_u32 v19, null, 0xbb67ae85, v15
	v_add_co_u32 v21, null, 0x3c6ef372, v11
	v_xor_b32_e32 v1, v5, v12
	v_mad_u64_u32 v[7:8], null, 0xd2511f53, v3, 0
	v_add_co_u32 v22, null, 0x76cf5d0a, v15
	s_delay_alu instid0(VALU_DEP_3) | instskip(SKIP_2) | instid1(VALU_DEP_3)
	v_xor_b32_e32 v1, v1, v14
	v_add_co_u32 v23, null, 0x32370b8f, v15
	v_add_co_u32 v24, null, 0xdaa66d2b, v11
	v_mad_u64_u32 v[9:10], null, 0xcd9e8d57, v1, 0
	v_xor3_b32 v1, v19, v8, v4
	v_add_co_u32 v25, null, 0x78dde6e4, v11
	v_add_co_u32 v26, null, 0xed9eba14, v15
	s_delay_alu instid0(VALU_DEP_3) | instskip(SKIP_3) | instid1(VALU_DEP_3)
	v_mad_u64_u32 v[3:4], null, 0xcd9e8d57, v1, 0
	v_xor3_b32 v8, v20, v10, v6
	v_add_co_u32 v27, null, 0xa9066899, v15
	v_add_co_u32 v28, null, 0x1715609d, v11
	v_mad_u64_u32 v[5:6], null, 0xd2511f53, v8, 0
	v_xor3_b32 v1, v21, v4, v9
	s_load_b64 s[12:13], s[0:1], 0x40
	v_add_co_u32 v29, null, 0xb54cda56, v11
	v_add_co_u32 v30, null, 0x646e171e, v15
	s_delay_alu instid0(VALU_DEP_4) | instskip(SKIP_2) | instid1(VALU_DEP_3)
	v_xor3_b32 v4, v22, v6, v7
	v_mad_u64_u32 v[6:7], null, 0xd2511f53, v1, 0
	v_add_co_u32 v31, null, 0x1fd5c5a3, v15
	v_mad_u64_u32 v[8:9], null, 0xcd9e8d57, v4, 0
	v_add_co_u32 v32, null, 0x5384540f, v11
	s_delay_alu instid0(VALU_DEP_4) | instskip(SKIP_4) | instid1(VALU_DEP_4)
	v_xor3_b32 v1, v23, v7, v5
	s_clause 0x1
	s_load_b64 s[6:7], s[0:1], 0x30
	s_load_b32 s1, s[0:1], 0x38
	v_add_co_u32 v36, null, 0xf1bbcdc8, v11
	v_xor3_b32 v5, v24, v9, v3
	v_mad_u64_u32 v[3:4], null, 0xcd9e8d57, v1, 0
	s_waitcnt lgkmcnt(0)
	v_cvt_f32_f64_e32 v33, s[12:13]
	v_add_co_u32 v37, null, 0xdb3d7428, v15
	v_mad_u64_u32 v[9:10], null, 0xd2511f53, v5, 0
	v_dual_mov_b32 v42, v14 :: v_dual_add_nc_u32 v35, 0x8ff34781, v11
	v_xor3_b32 v1, v25, v4, v8
	v_dual_mov_b32 v39, v13 :: v_dual_add_nc_u32 v38, 0x96a522ad, v12
	s_mov_b32 s0, 0
	s_delay_alu instid0(VALU_DEP_4) | instskip(NEXT) | instid1(VALU_DEP_3)
	v_xor3_b32 v8, v26, v10, v6
	v_mad_u64_u32 v[4:5], null, 0xd2511f53, v1, 0
	s_delay_alu instid0(VALU_DEP_2) | instskip(NEXT) | instid1(VALU_DEP_2)
	v_mad_u64_u32 v[6:7], null, 0xcd9e8d57, v8, 0
	v_xor3_b32 v1, v27, v5, v9
	s_delay_alu instid0(VALU_DEP_2) | instskip(NEXT) | instid1(VALU_DEP_2)
	v_xor3_b32 v3, v28, v7, v3
	v_mad_u64_u32 v[7:8], null, 0xcd9e8d57, v1, 0
	s_delay_alu instid0(VALU_DEP_2) | instskip(NEXT) | instid1(VALU_DEP_2)
	v_mad_u64_u32 v[9:10], null, 0xd2511f53, v3, 0
	v_xor3_b32 v1, v29, v8, v6
	s_delay_alu instid0(VALU_DEP_2) | instskip(NEXT) | instid1(VALU_DEP_2)
	;; [unrolled: 6-line block ×3, first 2 shown]
	v_xor3_b32 v2, v32, v6, v7
	v_mad_u64_u32 v[6:7], null, 0xcd9e8d57, v1, 0
	v_mad_u64_u32 v[15:16], null, s15, s10, v[0:1]
	s_delay_alu instid0(VALU_DEP_3) | instskip(SKIP_2) | instid1(VALU_DEP_3)
	v_mad_u64_u32 v[8:9], null, 0xd2511f53, v2, 0
	s_add_i32 s15, s15, s11
	s_mul_i32 s11, s11, s1
	v_xor3_b32 v1, v36, v7, v5
	s_mul_i32 s11, s11, s10
	s_delay_alu instid0(VALU_DEP_3) | instskip(NEXT) | instid1(VALU_DEP_3)
	v_mul_lo_u32 v40, s1, v15
	v_xor3_b32 v7, v37, v9, v3
	s_delay_alu instid0(VALU_DEP_3) | instskip(SKIP_1) | instid1(VALU_DEP_3)
	v_mad_u64_u32 v[3:4], null, s15, s10, v[0:1]
	v_mad_u64_u32 v[4:5], null, 0xd2511f53, v1, 0
	;; [unrolled: 1-line block ×3, first 2 shown]
	s_mov_b32 s10, 0
	s_delay_alu instid0(VALU_DEP_3) | instskip(SKIP_1) | instid1(VALU_DEP_3)
	v_mul_lo_u32 v41, s1, v3
	s_lshl_b32 s1, s11, 2
	v_mov_b32_e32 v3, v4
	s_mov_b32 s11, 0
	s_delay_alu instid0(VALU_DEP_3)
	v_xor3_b32 v0, v2, v6, v35
	v_xor3_b32 v2, v5, v8, v38
	s_branch .LBB133_8
.LBB133_7:                              ;   in Loop: Header=BB133_8 Depth=1
	s_or_b32 exec_lo, exec_lo, s12
	v_add_co_u32 v13, vcc_lo, v13, s9
	v_add_co_ci_u32_e32 v14, vcc_lo, 0, v14, vcc_lo
	v_mov_b32_e32 v7, v15
	v_dual_mov_b32 v0, v4 :: v_dual_mov_b32 v1, v5
	s_delay_alu instid0(VALU_DEP_3) | instskip(NEXT) | instid1(VALU_DEP_3)
	v_cmp_le_i64_e32 vcc_lo, s[2:3], v[13:14]
	v_dual_mov_b32 v2, v6 :: v_dual_mov_b32 v3, v7
	s_add_i32 s11, s11, s1
	s_waitcnt_vscnt null, 0x0
	s_barrier
	s_or_b32 s10, vcc_lo, s10
	buffer_gl0_inv
	s_and_not1_b32 exec_lo, exec_lo, s10
	s_cbranch_execz .LBB133_22
.LBB133_8:                              ; =>This Inner Loop Header: Depth=1
	v_add_co_u32 v17, vcc_lo, v17, 1
	s_delay_alu instid0(VALU_DEP_1) | instskip(SKIP_2) | instid1(VALU_DEP_1)
	v_cndmask_b32_e64 v4, 0, 1, vcc_lo
	v_add_co_ci_u32_e32 v18, vcc_lo, 0, v18, vcc_lo
	s_mov_b32 s12, exec_lo
	v_cmp_eq_u32_e32 vcc_lo, 0, v18
	s_delay_alu instid0(VALU_DEP_3) | instskip(NEXT) | instid1(VALU_DEP_1)
	v_cndmask_b32_e32 v4, 0, v4, vcc_lo
	v_add_nc_u32_e32 v39, v4, v39
	s_delay_alu instid0(VALU_DEP_1) | instskip(SKIP_2) | instid1(VALU_DEP_2)
	v_cmp_eq_u32_e32 vcc_lo, 0, v39
	v_cndmask_b32_e32 v4, 0, v4, vcc_lo
	v_mad_u64_u32 v[6:7], null, 0xcd9e8d57, v39, 0
	v_add_nc_u32_e32 v42, v4, v42
	v_mad_u64_u32 v[4:5], null, 0xd2511f53, v17, 0
	s_delay_alu instid0(VALU_DEP_3) | instskip(NEXT) | instid1(VALU_DEP_2)
	v_xor3_b32 v9, v7, v11, v18
	v_xor_b32_e32 v5, v5, v12
	s_delay_alu instid0(VALU_DEP_2) | instskip(NEXT) | instid1(VALU_DEP_2)
	v_mad_u64_u32 v[7:8], null, 0xd2511f53, v9, 0
	v_xor_b32_e32 v5, v42, v5
	s_delay_alu instid0(VALU_DEP_2) | instskip(NEXT) | instid1(VALU_DEP_2)
	v_xor3_b32 v8, v19, v8, v4
	v_mad_u64_u32 v[9:10], null, 0xcd9e8d57, v5, 0
	s_delay_alu instid0(VALU_DEP_2) | instskip(NEXT) | instid1(VALU_DEP_2)
	v_mad_u64_u32 v[4:5], null, 0xcd9e8d57, v8, 0
	v_xor3_b32 v6, v20, v10, v6
	s_delay_alu instid0(VALU_DEP_2) | instskip(NEXT) | instid1(VALU_DEP_2)
	v_xor3_b32 v8, v21, v5, v9
	v_mad_u64_u32 v[15:16], null, 0xd2511f53, v6, 0
	s_delay_alu instid0(VALU_DEP_2) | instskip(NEXT) | instid1(VALU_DEP_2)
	v_mad_u64_u32 v[5:6], null, 0xd2511f53, v8, 0
	v_xor3_b32 v9, v22, v16, v7
	s_delay_alu instid0(VALU_DEP_2) | instskip(NEXT) | instid1(VALU_DEP_2)
	v_xor3_b32 v6, v23, v6, v15
	v_mad_u64_u32 v[7:8], null, 0xcd9e8d57, v9, 0
	s_delay_alu instid0(VALU_DEP_1) | instskip(NEXT) | instid1(VALU_DEP_3)
	v_xor3_b32 v4, v24, v8, v4
	v_mad_u64_u32 v[8:9], null, 0xcd9e8d57, v6, 0
	s_delay_alu instid0(VALU_DEP_2) | instskip(NEXT) | instid1(VALU_DEP_2)
	v_mad_u64_u32 v[15:16], null, 0xd2511f53, v4, 0
	v_xor3_b32 v6, v25, v9, v7
	s_delay_alu instid0(VALU_DEP_2) | instskip(NEXT) | instid1(VALU_DEP_2)
	v_xor3_b32 v9, v26, v16, v5
	v_mad_u64_u32 v[4:5], null, 0xd2511f53, v6, 0
	s_delay_alu instid0(VALU_DEP_2) | instskip(NEXT) | instid1(VALU_DEP_2)
	v_mad_u64_u32 v[6:7], null, 0xcd9e8d57, v9, 0
	v_xor3_b32 v5, v27, v5, v15
	s_delay_alu instid0(VALU_DEP_2) | instskip(NEXT) | instid1(VALU_DEP_2)
	;; [unrolled: 6-line block ×6, first 2 shown]
	v_xor3_b32 v4, v6, v7, v35
	v_mov_b32_e32 v6, v10
	v_cmpx_lt_i32_e32 1, v34
	s_xor_b32 s12, exec_lo, s12
	s_cbranch_execnz .LBB133_14
; %bb.9:                                ;   in Loop: Header=BB133_8 Depth=1
	s_and_not1_saveexec_b32 s12, s12
	s_cbranch_execnz .LBB133_19
.LBB133_10:                             ;   in Loop: Header=BB133_8 Depth=1
	s_or_b32 exec_lo, exec_lo, s12
	s_delay_alu instid0(SALU_CYCLE_1)
	s_mov_b32 s12, exec_lo
	v_cmpx_gt_i64_e64 s[4:5], v[13:14]
	s_cbranch_execz .LBB133_12
.LBB133_11:                             ;   in Loop: Header=BB133_8 Depth=1
	v_lshrrev_b32_e32 v1, 11, v1
	s_delay_alu instid0(VALU_DEP_1) | instskip(SKIP_1) | instid1(VALU_DEP_2)
	v_cvt_f64_u32_e32 v[7:8], v1
	v_cvt_f64_u32_e32 v[0:1], v0
	v_ldexp_f64 v[7:8], v[7:8], 32
	s_delay_alu instid0(VALU_DEP_1) | instskip(SKIP_1) | instid1(VALU_DEP_2)
	v_add_f64 v[0:1], v[7:8], v[0:1]
	v_mov_b32_e32 v8, s0
	v_fma_f64 v[0:1], 0x3ca00000, v[0:1], 0x3ca00000
	s_delay_alu instid0(VALU_DEP_1) | instskip(SKIP_1) | instid1(VALU_DEP_1)
	v_cvt_f32_f64_e32 v7, v[0:1]
	v_add_nc_u32_e32 v0, s11, v40
	v_ashrrev_i32_e32 v1, 31, v0
	v_add_co_u32 v0, vcc_lo, s6, v0
	s_delay_alu instid0(VALU_DEP_2)
	v_add_co_ci_u32_e32 v1, vcc_lo, s7, v1, vcc_lo
	v_cmp_gt_f32_e32 vcc_lo, v33, v7
	v_cndmask_b32_e64 v7, 0, 1, vcc_lo
	global_store_b64 v[0:1], v[7:8], off
.LBB133_12:                             ;   in Loop: Header=BB133_8 Depth=1
	s_or_b32 exec_lo, exec_lo, s12
	v_add_co_u32 v0, vcc_lo, s8, v13
	v_add_co_ci_u32_e32 v1, vcc_lo, 0, v14, vcc_lo
	s_mov_b32 s12, exec_lo
	s_delay_alu instid0(VALU_DEP_1)
	v_cmpx_gt_i64_e64 s[4:5], v[0:1]
	s_cbranch_execz .LBB133_7
; %bb.13:                               ;   in Loop: Header=BB133_8 Depth=1
	v_lshrrev_b32_e32 v0, 11, v3
	v_cvt_f64_u32_e32 v[2:3], v2
	s_delay_alu instid0(VALU_DEP_2) | instskip(NEXT) | instid1(VALU_DEP_1)
	v_cvt_f64_u32_e32 v[0:1], v0
	v_ldexp_f64 v[0:1], v[0:1], 32
	s_delay_alu instid0(VALU_DEP_1) | instskip(SKIP_1) | instid1(VALU_DEP_2)
	v_add_f64 v[0:1], v[0:1], v[2:3]
	v_mov_b32_e32 v3, s0
	v_fma_f64 v[0:1], 0x3ca00000, v[0:1], 0x3ca00000
	s_delay_alu instid0(VALU_DEP_1) | instskip(SKIP_1) | instid1(VALU_DEP_1)
	v_cvt_f32_f64_e32 v2, v[0:1]
	v_add_nc_u32_e32 v0, s11, v41
	v_ashrrev_i32_e32 v1, 31, v0
	v_add_co_u32 v0, vcc_lo, s6, v0
	s_delay_alu instid0(VALU_DEP_2)
	v_add_co_ci_u32_e32 v1, vcc_lo, s7, v1, vcc_lo
	v_cmp_gt_f32_e32 vcc_lo, v33, v2
	v_cndmask_b32_e64 v2, 0, 1, vcc_lo
	global_store_b64 v[0:1], v[2:3], off
	s_branch .LBB133_7
.LBB133_14:                             ;   in Loop: Header=BB133_8 Depth=1
	s_mov_b32 s13, exec_lo
	v_cmpx_lt_i32_e32 2, v34
	s_xor_b32 s13, exec_lo, s13
; %bb.15:                               ;   in Loop: Header=BB133_8 Depth=1
	v_dual_mov_b32 v7, v3 :: v_dual_mov_b32 v8, v4
	v_mov_b32_e32 v9, v5
	s_delay_alu instid0(VALU_DEP_2) | instskip(NEXT) | instid1(VALU_DEP_2)
	v_dual_mov_b32 v0, v7 :: v_dual_mov_b32 v1, v8
	v_dual_mov_b32 v2, v9 :: v_dual_mov_b32 v3, v10
; %bb.16:                               ;   in Loop: Header=BB133_8 Depth=1
	s_and_not1_saveexec_b32 s13, s13
; %bb.17:                               ;   in Loop: Header=BB133_8 Depth=1
	s_delay_alu instid0(VALU_DEP_1)
	v_dual_mov_b32 v0, v2 :: v_dual_mov_b32 v1, v3
	v_dual_mov_b32 v2, v4 :: v_dual_mov_b32 v3, v5
; %bb.18:                               ;   in Loop: Header=BB133_8 Depth=1
	s_or_b32 exec_lo, exec_lo, s13
	s_and_not1_saveexec_b32 s12, s12
	s_cbranch_execz .LBB133_10
.LBB133_19:                             ;   in Loop: Header=BB133_8 Depth=1
	s_mov_b32 s13, exec_lo
	v_cmpx_eq_u32_e32 1, v34
; %bb.20:                               ;   in Loop: Header=BB133_8 Depth=1
	v_dual_mov_b32 v0, v1 :: v_dual_mov_b32 v1, v2
	v_dual_mov_b32 v2, v3 :: v_dual_mov_b32 v3, v4
; %bb.21:                               ;   in Loop: Header=BB133_8 Depth=1
	s_or_b32 exec_lo, exec_lo, s13
	s_delay_alu instid0(SALU_CYCLE_1) | instskip(NEXT) | instid1(SALU_CYCLE_1)
	s_or_b32 exec_lo, exec_lo, s12
	s_mov_b32 s12, exec_lo
	v_cmpx_gt_i64_e64 s[4:5], v[13:14]
	s_cbranch_execnz .LBB133_11
	s_branch .LBB133_12
.LBB133_22:
	s_endpgm
.LBB133_23:
                                        ; implicit-def: $sgpr2_sgpr3
	s_branch .LBB133_4
	.section	.rodata,"a",@progbits
	.p2align	6, 0x0
	.amdhsa_kernel _ZN2at6native12_GLOBAL__N_143distribution_elementwise_grid_stride_kernelIfLi4EZNS0_9templates4cuda21uniform_and_transformIlfPNS_17CUDAGeneratorImplEZZZNS4_16bernoulli_kernelIS7_EEvRNS_18TensorIteratorBaseEdT_ENKUlvE_clEvENKUlvE2_clEvEUlfE_EEvSA_T1_T2_EUlP25hiprandStatePhilox4_32_10E_ZNS1_27distribution_nullary_kernelIlf15HIP_vector_typeIdLj2EES7_SJ_SE_EEvSA_SG_RKT3_T4_EUlifE_EEvlNS_15PhiloxCudaStateESF_SG_
		.amdhsa_group_segment_fixed_size 0
		.amdhsa_private_segment_fixed_size 0
		.amdhsa_kernarg_size 328
		.amdhsa_user_sgpr_count 15
		.amdhsa_user_sgpr_dispatch_ptr 0
		.amdhsa_user_sgpr_queue_ptr 0
		.amdhsa_user_sgpr_kernarg_segment_ptr 1
		.amdhsa_user_sgpr_dispatch_id 0
		.amdhsa_user_sgpr_private_segment_size 0
		.amdhsa_wavefront_size32 1
		.amdhsa_uses_dynamic_stack 0
		.amdhsa_enable_private_segment 0
		.amdhsa_system_sgpr_workgroup_id_x 1
		.amdhsa_system_sgpr_workgroup_id_y 0
		.amdhsa_system_sgpr_workgroup_id_z 0
		.amdhsa_system_sgpr_workgroup_info 0
		.amdhsa_system_vgpr_workitem_id 0
		.amdhsa_next_free_vgpr 43
		.amdhsa_next_free_sgpr 23
		.amdhsa_reserve_vcc 1
		.amdhsa_float_round_mode_32 0
		.amdhsa_float_round_mode_16_64 0
		.amdhsa_float_denorm_mode_32 3
		.amdhsa_float_denorm_mode_16_64 3
		.amdhsa_dx10_clamp 1
		.amdhsa_ieee_mode 1
		.amdhsa_fp16_overflow 0
		.amdhsa_workgroup_processor_mode 1
		.amdhsa_memory_ordered 1
		.amdhsa_forward_progress 0
		.amdhsa_shared_vgpr_count 0
		.amdhsa_exception_fp_ieee_invalid_op 0
		.amdhsa_exception_fp_denorm_src 0
		.amdhsa_exception_fp_ieee_div_zero 0
		.amdhsa_exception_fp_ieee_overflow 0
		.amdhsa_exception_fp_ieee_underflow 0
		.amdhsa_exception_fp_ieee_inexact 0
		.amdhsa_exception_int_div_zero 0
	.end_amdhsa_kernel
	.section	.text._ZN2at6native12_GLOBAL__N_143distribution_elementwise_grid_stride_kernelIfLi4EZNS0_9templates4cuda21uniform_and_transformIlfPNS_17CUDAGeneratorImplEZZZNS4_16bernoulli_kernelIS7_EEvRNS_18TensorIteratorBaseEdT_ENKUlvE_clEvENKUlvE2_clEvEUlfE_EEvSA_T1_T2_EUlP25hiprandStatePhilox4_32_10E_ZNS1_27distribution_nullary_kernelIlf15HIP_vector_typeIdLj2EES7_SJ_SE_EEvSA_SG_RKT3_T4_EUlifE_EEvlNS_15PhiloxCudaStateESF_SG_,"axG",@progbits,_ZN2at6native12_GLOBAL__N_143distribution_elementwise_grid_stride_kernelIfLi4EZNS0_9templates4cuda21uniform_and_transformIlfPNS_17CUDAGeneratorImplEZZZNS4_16bernoulli_kernelIS7_EEvRNS_18TensorIteratorBaseEdT_ENKUlvE_clEvENKUlvE2_clEvEUlfE_EEvSA_T1_T2_EUlP25hiprandStatePhilox4_32_10E_ZNS1_27distribution_nullary_kernelIlf15HIP_vector_typeIdLj2EES7_SJ_SE_EEvSA_SG_RKT3_T4_EUlifE_EEvlNS_15PhiloxCudaStateESF_SG_,comdat
.Lfunc_end133:
	.size	_ZN2at6native12_GLOBAL__N_143distribution_elementwise_grid_stride_kernelIfLi4EZNS0_9templates4cuda21uniform_and_transformIlfPNS_17CUDAGeneratorImplEZZZNS4_16bernoulli_kernelIS7_EEvRNS_18TensorIteratorBaseEdT_ENKUlvE_clEvENKUlvE2_clEvEUlfE_EEvSA_T1_T2_EUlP25hiprandStatePhilox4_32_10E_ZNS1_27distribution_nullary_kernelIlf15HIP_vector_typeIdLj2EES7_SJ_SE_EEvSA_SG_RKT3_T4_EUlifE_EEvlNS_15PhiloxCudaStateESF_SG_, .Lfunc_end133-_ZN2at6native12_GLOBAL__N_143distribution_elementwise_grid_stride_kernelIfLi4EZNS0_9templates4cuda21uniform_and_transformIlfPNS_17CUDAGeneratorImplEZZZNS4_16bernoulli_kernelIS7_EEvRNS_18TensorIteratorBaseEdT_ENKUlvE_clEvENKUlvE2_clEvEUlfE_EEvSA_T1_T2_EUlP25hiprandStatePhilox4_32_10E_ZNS1_27distribution_nullary_kernelIlf15HIP_vector_typeIdLj2EES7_SJ_SE_EEvSA_SG_RKT3_T4_EUlifE_EEvlNS_15PhiloxCudaStateESF_SG_
                                        ; -- End function
	.section	.AMDGPU.csdata,"",@progbits
; Kernel info:
; codeLenInByte = 2772
; NumSgprs: 25
; NumVgprs: 43
; ScratchSize: 0
; MemoryBound: 0
; FloatMode: 240
; IeeeMode: 1
; LDSByteSize: 0 bytes/workgroup (compile time only)
; SGPRBlocks: 3
; VGPRBlocks: 5
; NumSGPRsForWavesPerEU: 25
; NumVGPRsForWavesPerEU: 43
; Occupancy: 16
; WaveLimiterHint : 0
; COMPUTE_PGM_RSRC2:SCRATCH_EN: 0
; COMPUTE_PGM_RSRC2:USER_SGPR: 15
; COMPUTE_PGM_RSRC2:TRAP_HANDLER: 0
; COMPUTE_PGM_RSRC2:TGID_X_EN: 1
; COMPUTE_PGM_RSRC2:TGID_Y_EN: 0
; COMPUTE_PGM_RSRC2:TGID_Z_EN: 0
; COMPUTE_PGM_RSRC2:TIDIG_COMP_CNT: 0
	.section	.text._ZN2at6native12_GLOBAL__N_143distribution_elementwise_grid_stride_kernelIfLi4EZNS0_9templates4cuda21uniform_and_transformIlfPNS_17CUDAGeneratorImplEZZZNS4_16bernoulli_kernelIS7_EEvRNS_18TensorIteratorBaseEdT_ENKUlvE_clEvENKUlvE2_clEvEUlfE_EEvSA_T1_T2_EUlP25hiprandStatePhilox4_32_10E_ZNS1_27distribution_nullary_kernelIlf15HIP_vector_typeIdLj2EES7_SJ_SE_EEvSA_SG_RKT3_T4_EUlifE0_EEvlNS_15PhiloxCudaStateESF_SG_,"axG",@progbits,_ZN2at6native12_GLOBAL__N_143distribution_elementwise_grid_stride_kernelIfLi4EZNS0_9templates4cuda21uniform_and_transformIlfPNS_17CUDAGeneratorImplEZZZNS4_16bernoulli_kernelIS7_EEvRNS_18TensorIteratorBaseEdT_ENKUlvE_clEvENKUlvE2_clEvEUlfE_EEvSA_T1_T2_EUlP25hiprandStatePhilox4_32_10E_ZNS1_27distribution_nullary_kernelIlf15HIP_vector_typeIdLj2EES7_SJ_SE_EEvSA_SG_RKT3_T4_EUlifE0_EEvlNS_15PhiloxCudaStateESF_SG_,comdat
	.globl	_ZN2at6native12_GLOBAL__N_143distribution_elementwise_grid_stride_kernelIfLi4EZNS0_9templates4cuda21uniform_and_transformIlfPNS_17CUDAGeneratorImplEZZZNS4_16bernoulli_kernelIS7_EEvRNS_18TensorIteratorBaseEdT_ENKUlvE_clEvENKUlvE2_clEvEUlfE_EEvSA_T1_T2_EUlP25hiprandStatePhilox4_32_10E_ZNS1_27distribution_nullary_kernelIlf15HIP_vector_typeIdLj2EES7_SJ_SE_EEvSA_SG_RKT3_T4_EUlifE0_EEvlNS_15PhiloxCudaStateESF_SG_ ; -- Begin function _ZN2at6native12_GLOBAL__N_143distribution_elementwise_grid_stride_kernelIfLi4EZNS0_9templates4cuda21uniform_and_transformIlfPNS_17CUDAGeneratorImplEZZZNS4_16bernoulli_kernelIS7_EEvRNS_18TensorIteratorBaseEdT_ENKUlvE_clEvENKUlvE2_clEvEUlfE_EEvSA_T1_T2_EUlP25hiprandStatePhilox4_32_10E_ZNS1_27distribution_nullary_kernelIlf15HIP_vector_typeIdLj2EES7_SJ_SE_EEvSA_SG_RKT3_T4_EUlifE0_EEvlNS_15PhiloxCudaStateESF_SG_
	.p2align	8
	.type	_ZN2at6native12_GLOBAL__N_143distribution_elementwise_grid_stride_kernelIfLi4EZNS0_9templates4cuda21uniform_and_transformIlfPNS_17CUDAGeneratorImplEZZZNS4_16bernoulli_kernelIS7_EEvRNS_18TensorIteratorBaseEdT_ENKUlvE_clEvENKUlvE2_clEvEUlfE_EEvSA_T1_T2_EUlP25hiprandStatePhilox4_32_10E_ZNS1_27distribution_nullary_kernelIlf15HIP_vector_typeIdLj2EES7_SJ_SE_EEvSA_SG_RKT3_T4_EUlifE0_EEvlNS_15PhiloxCudaStateESF_SG_,@function
_ZN2at6native12_GLOBAL__N_143distribution_elementwise_grid_stride_kernelIfLi4EZNS0_9templates4cuda21uniform_and_transformIlfPNS_17CUDAGeneratorImplEZZZNS4_16bernoulli_kernelIS7_EEvRNS_18TensorIteratorBaseEdT_ENKUlvE_clEvENKUlvE2_clEvEUlfE_EEvSA_T1_T2_EUlP25hiprandStatePhilox4_32_10E_ZNS1_27distribution_nullary_kernelIlf15HIP_vector_typeIdLj2EES7_SJ_SE_EEvSA_SG_RKT3_T4_EUlifE0_EEvlNS_15PhiloxCudaStateESF_SG_: ; @_ZN2at6native12_GLOBAL__N_143distribution_elementwise_grid_stride_kernelIfLi4EZNS0_9templates4cuda21uniform_and_transformIlfPNS_17CUDAGeneratorImplEZZZNS4_16bernoulli_kernelIS7_EEvRNS_18TensorIteratorBaseEdT_ENKUlvE_clEvENKUlvE2_clEvEUlfE_EEvSA_T1_T2_EUlP25hiprandStatePhilox4_32_10E_ZNS1_27distribution_nullary_kernelIlf15HIP_vector_typeIdLj2EES7_SJ_SE_EEvSA_SG_RKT3_T4_EUlifE0_EEvlNS_15PhiloxCudaStateESF_SG_
; %bb.0:
	s_clause 0x2
	s_load_b64 s[4:5], s[0:1], 0x10
	s_load_b128 s[16:19], s[0:1], 0x0
	s_load_b32 s2, s[0:1], 0x20
	s_waitcnt lgkmcnt(0)
	v_dual_mov_b32 v2, s4 :: v_dual_mov_b32 v3, s5
	v_dual_mov_b32 v11, s18 :: v_dual_mov_b32 v12, s19
	s_bitcmp0_b32 s2, 0
	s_mov_b32 s2, 0
	s_cbranch_scc1 .LBB134_2
; %bb.1:
	v_dual_mov_b32 v1, s4 :: v_dual_mov_b32 v2, s5
	v_dual_mov_b32 v4, s18 :: v_dual_mov_b32 v5, s19
	s_load_b64 s[4:5], s[0:1], 0x18
	flat_load_b64 v[2:3], v[1:2]
	flat_load_b64 v[11:12], v[4:5]
	s_waitcnt vmcnt(1) lgkmcnt(0)
	v_add_co_u32 v2, vcc_lo, v2, s4
	v_add_co_ci_u32_e32 v3, vcc_lo, s5, v3, vcc_lo
.LBB134_2:
	s_clause 0x1
	s_load_b32 s3, s[0:1], 0x154
	s_load_b32 s4, s[0:1], 0x148
	s_waitcnt lgkmcnt(0)
	s_and_b32 s5, s3, 0xffff
	s_add_u32 s6, s16, -1
	s_mul_i32 s24, s4, s5
	s_addc_u32 s3, s17, -1
	s_lshl_b32 s25, s24, 2
	s_cmp_lg_u64 s[2:3], 0
	s_cbranch_scc0 .LBB134_49
; %bb.3:
	v_cvt_f32_ubyte0_e32 v1, 0
	v_cvt_f32_u32_e32 v4, s25
	s_sub_u32 s8, 0, s25
	s_subb_u32 s9, 0, 0
	s_delay_alu instid0(VALU_DEP_1) | instskip(NEXT) | instid1(VALU_DEP_1)
	v_fmamk_f32 v1, v1, 0x4f800000, v4
	v_rcp_f32_e32 v1, v1
	s_waitcnt_depctr 0xfff
	v_mul_f32_e32 v1, 0x5f7ffffc, v1
	s_delay_alu instid0(VALU_DEP_1) | instskip(NEXT) | instid1(VALU_DEP_1)
	v_mul_f32_e32 v4, 0x2f800000, v1
	v_trunc_f32_e32 v4, v4
	s_delay_alu instid0(VALU_DEP_1) | instskip(SKIP_1) | instid1(VALU_DEP_2)
	v_fmamk_f32 v1, v4, 0xcf800000, v1
	v_cvt_u32_f32_e32 v4, v4
	v_cvt_u32_f32_e32 v1, v1
	s_delay_alu instid0(VALU_DEP_2) | instskip(NEXT) | instid1(VALU_DEP_2)
	v_readfirstlane_b32 s2, v4
	v_readfirstlane_b32 s7, v1
	s_delay_alu instid0(VALU_DEP_2) | instskip(NEXT) | instid1(VALU_DEP_1)
	s_mul_i32 s10, s8, s2
	s_mul_hi_u32 s12, s8, s7
	s_mul_i32 s11, s9, s7
	s_add_i32 s10, s12, s10
	s_mul_i32 s13, s8, s7
	s_add_i32 s10, s10, s11
	s_mul_hi_u32 s12, s7, s13
	s_mul_hi_u32 s14, s2, s13
	s_mul_i32 s11, s2, s13
	s_mul_hi_u32 s13, s7, s10
	s_mul_i32 s7, s7, s10
	s_mul_hi_u32 s18, s2, s10
	s_add_u32 s7, s12, s7
	s_addc_u32 s12, 0, s13
	s_add_u32 s7, s7, s11
	s_mul_i32 s10, s2, s10
	s_addc_u32 s7, s12, s14
	s_addc_u32 s11, s18, 0
	s_add_u32 s7, s7, s10
	s_addc_u32 s10, 0, s11
	v_add_co_u32 v1, s7, v1, s7
	s_delay_alu instid0(VALU_DEP_1) | instskip(SKIP_1) | instid1(VALU_DEP_1)
	s_cmp_lg_u32 s7, 0
	s_addc_u32 s2, s2, s10
	v_readfirstlane_b32 s7, v1
	s_mul_i32 s10, s8, s2
	s_delay_alu instid0(VALU_DEP_1)
	s_mul_hi_u32 s11, s8, s7
	s_mul_i32 s9, s9, s7
	s_add_i32 s10, s11, s10
	s_mul_i32 s8, s8, s7
	s_add_i32 s10, s10, s9
	s_mul_hi_u32 s11, s2, s8
	s_mul_i32 s12, s2, s8
	s_mul_hi_u32 s8, s7, s8
	s_mul_hi_u32 s13, s7, s10
	s_mul_i32 s7, s7, s10
	s_mul_hi_u32 s9, s2, s10
	s_add_u32 s7, s8, s7
	s_addc_u32 s8, 0, s13
	s_add_u32 s7, s7, s12
	s_mul_i32 s10, s2, s10
	s_addc_u32 s7, s8, s11
	s_addc_u32 s8, s9, 0
	s_add_u32 s7, s7, s10
	s_addc_u32 s8, 0, s8
	v_add_co_u32 v1, s7, v1, s7
	s_delay_alu instid0(VALU_DEP_1) | instskip(SKIP_2) | instid1(VALU_DEP_1)
	s_cmp_lg_u32 s7, 0
	s_addc_u32 s7, s2, s8
	s_ashr_i32 s8, s3, 31
	v_readfirstlane_b32 s10, v1
	s_add_u32 s2, s6, s8
	s_mov_b32 s9, s8
	s_addc_u32 s3, s3, s8
	s_delay_alu instid0(SALU_CYCLE_1) | instskip(NEXT) | instid1(SALU_CYCLE_1)
	s_xor_b64 s[2:3], s[2:3], s[8:9]
	s_mul_i32 s12, s2, s7
	s_mul_hi_u32 s13, s2, s10
	s_mul_hi_u32 s11, s2, s7
	;; [unrolled: 1-line block ×3, first 2 shown]
	s_mul_i32 s10, s3, s10
	s_add_u32 s12, s13, s12
	s_addc_u32 s11, 0, s11
	s_mul_hi_u32 s14, s3, s7
	s_add_u32 s10, s12, s10
	s_mul_i32 s7, s3, s7
	s_addc_u32 s10, s11, s18
	s_addc_u32 s11, s14, 0
	s_add_u32 s7, s10, s7
	s_addc_u32 s10, 0, s11
	s_mul_i32 s12, s25, s7
	s_add_u32 s11, s7, 1
	v_sub_co_u32 v1, s2, s2, s12
	s_mul_hi_u32 s12, s25, s7
	s_addc_u32 s13, s10, 0
	s_mul_i32 s14, s25, s10
	s_delay_alu instid0(VALU_DEP_1)
	v_sub_co_u32 v4, s18, v1, s25
	s_add_u32 s19, s7, 2
	s_addc_u32 s20, s10, 0
	s_add_i32 s12, s12, s14
	s_cmp_lg_u32 s2, 0
	v_readfirstlane_b32 s2, v4
	s_subb_u32 s3, s3, s12
	s_cmp_lg_u32 s18, 0
	s_subb_u32 s12, s3, 0
	s_delay_alu instid0(VALU_DEP_1) | instskip(SKIP_4) | instid1(SALU_CYCLE_1)
	s_cmp_ge_u32 s2, s25
	s_cselect_b32 s2, -1, 0
	s_cmp_eq_u32 s12, 0
	v_readfirstlane_b32 s12, v1
	s_cselect_b32 s2, s2, -1
	s_cmp_lg_u32 s2, 0
	s_cselect_b32 s2, s19, s11
	s_cselect_b32 s11, s20, s13
	s_cmp_ge_u32 s12, s25
	s_cselect_b32 s12, -1, 0
	s_cmp_eq_u32 s3, 0
	s_cselect_b32 s3, s12, -1
	s_delay_alu instid0(SALU_CYCLE_1) | instskip(SKIP_2) | instid1(SALU_CYCLE_1)
	s_cmp_lg_u32 s3, 0
	s_cselect_b32 s3, s11, s10
	s_cselect_b32 s2, s2, s7
	s_xor_b64 s[2:3], s[2:3], s[8:9]
	s_delay_alu instid0(SALU_CYCLE_1)
	s_sub_u32 s2, s2, s8
	s_subb_u32 s3, s3, s8
	s_cbranch_execnz .LBB134_5
.LBB134_4:
	v_cvt_f32_u32_e32 v1, s25
	s_sub_i32 s3, 0, s25
	s_delay_alu instid0(VALU_DEP_1) | instskip(SKIP_2) | instid1(VALU_DEP_1)
	v_rcp_iflag_f32_e32 v1, v1
	s_waitcnt_depctr 0xfff
	v_mul_f32_e32 v1, 0x4f7ffffe, v1
	v_cvt_u32_f32_e32 v1, v1
	s_delay_alu instid0(VALU_DEP_1) | instskip(NEXT) | instid1(VALU_DEP_1)
	v_readfirstlane_b32 s2, v1
	s_mul_i32 s3, s3, s2
	s_delay_alu instid0(SALU_CYCLE_1) | instskip(NEXT) | instid1(SALU_CYCLE_1)
	s_mul_hi_u32 s3, s2, s3
	s_add_i32 s2, s2, s3
	s_delay_alu instid0(SALU_CYCLE_1) | instskip(NEXT) | instid1(SALU_CYCLE_1)
	s_mul_hi_u32 s2, s6, s2
	s_mul_i32 s3, s2, s25
	s_delay_alu instid0(SALU_CYCLE_1)
	s_sub_i32 s3, s6, s3
	s_add_i32 s6, s2, 1
	s_sub_i32 s7, s3, s25
	s_cmp_ge_u32 s3, s25
	s_cselect_b32 s2, s6, s2
	s_cselect_b32 s3, s7, s3
	s_add_i32 s6, s2, 1
	s_cmp_ge_u32 s3, s25
	s_mov_b32 s3, 0
	s_cselect_b32 s2, s6, s2
.LBB134_5:
	v_mov_b32_e32 v1, 0
	s_add_u32 s2, s2, 1
	s_addc_u32 s3, s3, 0
	s_mul_hi_u32 s6, s24, s2
	s_mul_i32 s3, s24, s3
	v_mad_u64_u32 v[13:14], null, s5, s15, v[0:1]
	s_mul_hi_u32 s4, s4, s5
	s_add_i32 s3, s6, s3
	s_mul_i32 s4, s4, s2
	s_mul_i32 s2, s24, s2
	s_add_i32 s3, s3, s4
	s_mov_b32 s4, exec_lo
	s_lshl_b64 s[2:3], s[2:3], 2
	s_delay_alu instid0(SALU_CYCLE_1)
	v_cmpx_gt_i64_e64 s[2:3], v[13:14]
	s_cbranch_execz .LBB134_48
; %bb.6:
	v_alignbit_b32 v17, v3, v2, 2
	v_mad_u64_u32 v[4:5], null, 0xcd9e8d57, v13, 0
	v_lshrrev_b32_e32 v18, 2, v3
	s_waitcnt vmcnt(0)
	v_dual_mov_b32 v9, v12 :: v_dual_add_nc_u32 v28, 0x8ff34781, v11
	v_mad_u64_u32 v[0:1], null, 0xd2511f53, v17, 0
	v_add_co_u32 v20, null, 0x9e3779b9, v11
	v_xor3_b32 v3, v11, v5, v18
	s_delay_alu instid0(VALU_DEP_4) | instskip(SKIP_2) | instid1(VALU_DEP_4)
	v_add_co_u32 v19, null, 0xbb67ae85, v9
	v_add_co_u32 v21, null, 0x3c6ef372, v11
	v_xor_b32_e32 v1, v1, v12
	v_mad_u64_u32 v[5:6], null, 0xd2511f53, v3, 0
	v_add_co_u32 v22, null, 0x76cf5d0a, v9
	s_delay_alu instid0(VALU_DEP_3) | instskip(SKIP_2) | instid1(VALU_DEP_3)
	v_xor_b32_e32 v1, v1, v14
	v_add_co_u32 v23, null, 0x32370b8f, v9
	v_add_co_u32 v24, null, 0xdaa66d2b, v11
	v_mad_u64_u32 v[7:8], null, 0xcd9e8d57, v1, 0
	v_xor3_b32 v3, v19, v6, v0
	v_add_co_u32 v25, null, 0x78dde6e4, v11
	v_add_co_u32 v26, null, 0xed9eba14, v9
	s_delay_alu instid0(VALU_DEP_3) | instskip(SKIP_3) | instid1(VALU_DEP_3)
	v_mad_u64_u32 v[0:1], null, 0xcd9e8d57, v3, 0
	v_xor3_b32 v6, v20, v8, v4
	v_dual_mov_b32 v40, v14 :: v_dual_and_b32 v27, 3, v2
	v_add_co_u32 v30, null, 0xa9066899, v9
	v_mad_u64_u32 v[3:4], null, 0xd2511f53, v6, 0
	v_xor3_b32 v1, v21, v1, v7
	v_add_co_u32 v31, null, 0x1715609d, v11
	s_clause 0x1
	s_load_b64 s[20:21], s[0:1], 0xf4
	s_load_b128 s[12:15], s[0:1], 0x138
	v_add_co_u32 v33, null, 0xb54cda56, v11
	s_delay_alu instid0(VALU_DEP_4) | instskip(SKIP_2) | instid1(VALU_DEP_3)
	v_xor3_b32 v8, v22, v4, v5
	v_mad_u64_u32 v[4:5], null, 0xd2511f53, v1, 0
	v_add_co_u32 v34, null, 0x646e171e, v9
	v_mad_u64_u32 v[6:7], null, 0xcd9e8d57, v8, 0
	s_load_b256 s[4:11], s[0:1], 0x30
	v_add_co_u32 v32, null, 0x5384540f, v11
	s_delay_alu instid0(VALU_DEP_4) | instskip(SKIP_1) | instid1(VALU_DEP_4)
	v_xor3_b32 v3, v23, v5, v3
	v_add_co_u32 v36, null, 0x1fd5c5a3, v9
	v_xor3_b32 v5, v24, v7, v0
	v_add_co_u32 v35, null, 0xf1bbcdc8, v11
	s_delay_alu instid0(VALU_DEP_4) | instskip(NEXT) | instid1(VALU_DEP_3)
	v_mad_u64_u32 v[0:1], null, 0xcd9e8d57, v3, 0
	v_mad_u64_u32 v[7:8], null, 0xd2511f53, v5, 0
	s_waitcnt lgkmcnt(0)
	v_cvt_f32_f64_e32 v37, s[14:15]
	v_add_co_u32 v38, null, 0xdb3d7428, v9
	s_add_u32 s18, s0, 48
	s_delay_alu instid0(VALU_DEP_4) | instskip(SKIP_1) | instid1(VALU_DEP_4)
	v_xor3_b32 v3, v25, v1, v6
	s_addc_u32 s19, s1, 0
	v_xor3_b32 v5, v26, v8, v4
	s_add_i32 s22, s4, -1
	v_add_nc_u32_e32 v29, 0x96a522ad, v12
	v_mad_u64_u32 v[1:2], null, 0xd2511f53, v3, 0
	s_delay_alu instid0(VALU_DEP_3) | instskip(SKIP_4) | instid1(VALU_DEP_3)
	v_mad_u64_u32 v[3:4], null, 0xcd9e8d57, v5, 0
	s_cmp_gt_u32 s22, 1
	v_mov_b32_e32 v39, v13
	s_cselect_b32 s11, -1, 0
	s_cmp_lg_u32 s4, 0
	v_xor3_b32 v2, v30, v2, v7
	s_cselect_b32 s27, -1, 0
	s_delay_alu instid0(VALU_DEP_3) | instskip(SKIP_3) | instid1(VALU_DEP_2)
	v_xor3_b32 v0, v31, v4, v0
	s_add_u32 s0, s0, 0xf4
	s_addc_u32 s1, s1, 0
	v_mad_u64_u32 v[4:5], null, 0xcd9e8d57, v2, 0
	v_mad_u64_u32 v[6:7], null, 0xd2511f53, v0, 0
	s_min_u32 s14, s22, 15
	s_cmp_gt_u32 s4, 1
	s_mov_b32 s26, 0
	s_cselect_b32 s4, -1, 0
	s_delay_alu instid0(VALU_DEP_2) | instskip(SKIP_1) | instid1(VALU_DEP_2)
	v_xor3_b32 v2, v33, v5, v3
	s_add_i32 s14, s14, 1
	v_xor3_b32 v5, v34, v7, v1
	s_and_b32 s28, s14, 3
	s_cmp_lg_u32 s22, 2
	v_mad_u64_u32 v[0:1], null, 0xd2511f53, v2, 0
	s_delay_alu instid0(VALU_DEP_2) | instskip(SKIP_4) | instid1(VALU_DEP_2)
	v_mad_u64_u32 v[2:3], null, 0xcd9e8d57, v5, 0
	s_cselect_b32 s29, -1, 0
	s_and_b32 s30, s14, 28
	s_cmp_lg_u32 s28, 0
	s_mov_b32 s33, 0
	v_xor3_b32 v1, v36, v1, v6
	s_cselect_b32 s31, -1, 0
	s_delay_alu instid0(VALU_DEP_2) | instskip(NEXT) | instid1(VALU_DEP_2)
	v_xor3_b32 v3, v32, v3, v4
	v_mad_u64_u32 v[4:5], null, 0xcd9e8d57, v1, 0
	s_delay_alu instid0(VALU_DEP_2) | instskip(NEXT) | instid1(VALU_DEP_2)
	v_mad_u64_u32 v[6:7], null, 0xd2511f53, v3, 0
	v_xor3_b32 v1, v35, v5, v2
	s_delay_alu instid0(VALU_DEP_2) | instskip(NEXT) | instid1(VALU_DEP_2)
	v_xor3_b32 v0, v38, v7, v0
	v_mad_u64_u32 v[7:8], null, 0xd2511f53, v1, 0
	s_delay_alu instid0(VALU_DEP_2) | instskip(NEXT) | instid1(VALU_DEP_2)
	v_mad_u64_u32 v[1:2], null, 0xcd9e8d57, v0, 0
	v_mov_b32_e32 v3, v7
	s_delay_alu instid0(VALU_DEP_2) | instskip(NEXT) | instid1(VALU_DEP_4)
	v_xor3_b32 v0, v2, v4, v28
	v_xor3_b32 v2, v8, v6, v29
	s_branch .LBB134_9
.LBB134_7:                              ;   in Loop: Header=BB134_9 Depth=1
	v_lshrrev_b32_e32 v0, 11, v3
	v_cvt_f64_u32_e32 v[2:3], v2
	s_delay_alu instid0(VALU_DEP_2) | instskip(NEXT) | instid1(VALU_DEP_1)
	v_cvt_f64_u32_e32 v[7:8], v0
	v_ldexp_f64 v[7:8], v[7:8], 32
	s_delay_alu instid0(VALU_DEP_1) | instskip(NEXT) | instid1(VALU_DEP_1)
	v_add_f64 v[2:3], v[7:8], v[2:3]
	v_fma_f64 v[2:3], 0x3ca00000, v[2:3], 0x3ca00000
	s_delay_alu instid0(VALU_DEP_1) | instskip(SKIP_1) | instid1(VALU_DEP_2)
	v_cvt_f32_f64_e32 v0, v[2:3]
	v_mov_b32_e32 v3, s26
	v_cmp_gt_f32_e32 vcc_lo, v37, v0
	v_cndmask_b32_e64 v2, 0, 1, vcc_lo
	global_store_b64 v1, v[2:3], s[12:13]
.LBB134_8:                              ;   in Loop: Header=BB134_9 Depth=1
	s_or_b32 exec_lo, exec_lo, s34
	v_add_co_u32 v13, vcc_lo, v13, s25
	v_add_co_ci_u32_e32 v14, vcc_lo, 0, v14, vcc_lo
	v_mov_b32_e32 v7, v15
	v_dual_mov_b32 v0, v4 :: v_dual_mov_b32 v1, v5
	s_delay_alu instid0(VALU_DEP_3) | instskip(NEXT) | instid1(VALU_DEP_3)
	v_cmp_le_i64_e32 vcc_lo, s[2:3], v[13:14]
	v_dual_mov_b32 v2, v6 :: v_dual_mov_b32 v3, v7
	s_waitcnt_vscnt null, 0x0
	s_barrier
	buffer_gl0_inv
	s_or_b32 s33, vcc_lo, s33
	s_delay_alu instid0(SALU_CYCLE_1)
	s_and_not1_b32 exec_lo, exec_lo, s33
	s_cbranch_execz .LBB134_48
.LBB134_9:                              ; =>This Loop Header: Depth=1
                                        ;     Child Loop BB134_24 Depth 2
                                        ;     Child Loop BB134_29 Depth 2
	;; [unrolled: 1-line block ×4, first 2 shown]
	v_add_co_u32 v17, vcc_lo, v17, 1
	s_delay_alu instid0(VALU_DEP_1) | instskip(SKIP_2) | instid1(VALU_DEP_1)
	v_cndmask_b32_e64 v4, 0, 1, vcc_lo
	v_add_co_ci_u32_e32 v18, vcc_lo, 0, v18, vcc_lo
	s_mov_b32 s14, exec_lo
	v_cmp_eq_u32_e32 vcc_lo, 0, v18
	s_delay_alu instid0(VALU_DEP_3) | instskip(NEXT) | instid1(VALU_DEP_1)
	v_cndmask_b32_e32 v4, 0, v4, vcc_lo
	v_add_nc_u32_e32 v39, v4, v39
	s_delay_alu instid0(VALU_DEP_1) | instskip(SKIP_2) | instid1(VALU_DEP_2)
	v_cmp_eq_u32_e32 vcc_lo, 0, v39
	v_cndmask_b32_e32 v4, 0, v4, vcc_lo
	v_mad_u64_u32 v[6:7], null, 0xcd9e8d57, v39, 0
	v_add_nc_u32_e32 v40, v4, v40
	v_mad_u64_u32 v[4:5], null, 0xd2511f53, v17, 0
	s_delay_alu instid0(VALU_DEP_3) | instskip(NEXT) | instid1(VALU_DEP_2)
	v_xor3_b32 v9, v7, v11, v18
	v_xor_b32_e32 v5, v5, v12
	s_delay_alu instid0(VALU_DEP_2) | instskip(NEXT) | instid1(VALU_DEP_2)
	v_mad_u64_u32 v[7:8], null, 0xd2511f53, v9, 0
	v_xor_b32_e32 v5, v40, v5
	s_delay_alu instid0(VALU_DEP_2) | instskip(NEXT) | instid1(VALU_DEP_2)
	v_xor3_b32 v8, v19, v8, v4
	v_mad_u64_u32 v[9:10], null, 0xcd9e8d57, v5, 0
	s_delay_alu instid0(VALU_DEP_2) | instskip(NEXT) | instid1(VALU_DEP_2)
	v_mad_u64_u32 v[4:5], null, 0xcd9e8d57, v8, 0
	v_xor3_b32 v6, v20, v10, v6
	s_delay_alu instid0(VALU_DEP_2) | instskip(NEXT) | instid1(VALU_DEP_2)
	v_xor3_b32 v8, v21, v5, v9
	v_mad_u64_u32 v[15:16], null, 0xd2511f53, v6, 0
	s_delay_alu instid0(VALU_DEP_2) | instskip(NEXT) | instid1(VALU_DEP_2)
	v_mad_u64_u32 v[5:6], null, 0xd2511f53, v8, 0
	v_xor3_b32 v9, v22, v16, v7
	s_delay_alu instid0(VALU_DEP_2) | instskip(NEXT) | instid1(VALU_DEP_2)
	v_xor3_b32 v6, v23, v6, v15
	v_mad_u64_u32 v[7:8], null, 0xcd9e8d57, v9, 0
	s_delay_alu instid0(VALU_DEP_1) | instskip(NEXT) | instid1(VALU_DEP_3)
	v_xor3_b32 v4, v24, v8, v4
	v_mad_u64_u32 v[8:9], null, 0xcd9e8d57, v6, 0
	s_delay_alu instid0(VALU_DEP_2) | instskip(NEXT) | instid1(VALU_DEP_2)
	v_mad_u64_u32 v[15:16], null, 0xd2511f53, v4, 0
	v_xor3_b32 v6, v25, v9, v7
	s_delay_alu instid0(VALU_DEP_2) | instskip(NEXT) | instid1(VALU_DEP_2)
	v_xor3_b32 v9, v26, v16, v5
	v_mad_u64_u32 v[4:5], null, 0xd2511f53, v6, 0
	s_delay_alu instid0(VALU_DEP_2) | instskip(NEXT) | instid1(VALU_DEP_2)
	v_mad_u64_u32 v[6:7], null, 0xcd9e8d57, v9, 0
	v_xor3_b32 v5, v30, v5, v15
	s_delay_alu instid0(VALU_DEP_2) | instskip(NEXT) | instid1(VALU_DEP_2)
	;; [unrolled: 6-line block ×6, first 2 shown]
	v_xor3_b32 v4, v6, v7, v28
	v_mov_b32_e32 v6, v10
	v_cmpx_lt_i32_e32 1, v27
	s_xor_b32 s14, exec_lo, s14
	s_cbranch_execnz .LBB134_12
; %bb.10:                               ;   in Loop: Header=BB134_9 Depth=1
	s_and_not1_saveexec_b32 s14, s14
	s_cbranch_execnz .LBB134_17
.LBB134_11:                             ;   in Loop: Header=BB134_9 Depth=1
	s_or_b32 exec_lo, exec_lo, s14
	s_delay_alu instid0(SALU_CYCLE_1)
	s_mov_b32 s34, exec_lo
	v_cmpx_gt_i64_e64 s[16:17], v[13:14]
	s_cbranch_execnz .LBB134_20
	s_branch .LBB134_34
.LBB134_12:                             ;   in Loop: Header=BB134_9 Depth=1
	s_mov_b32 s15, exec_lo
	v_cmpx_lt_i32_e32 2, v27
	s_xor_b32 s15, exec_lo, s15
; %bb.13:                               ;   in Loop: Header=BB134_9 Depth=1
	v_dual_mov_b32 v7, v3 :: v_dual_mov_b32 v8, v4
	v_mov_b32_e32 v9, v5
	s_delay_alu instid0(VALU_DEP_2) | instskip(NEXT) | instid1(VALU_DEP_2)
	v_dual_mov_b32 v0, v7 :: v_dual_mov_b32 v1, v8
	v_dual_mov_b32 v2, v9 :: v_dual_mov_b32 v3, v10
; %bb.14:                               ;   in Loop: Header=BB134_9 Depth=1
	s_and_not1_saveexec_b32 s15, s15
; %bb.15:                               ;   in Loop: Header=BB134_9 Depth=1
	s_delay_alu instid0(VALU_DEP_1)
	v_dual_mov_b32 v0, v2 :: v_dual_mov_b32 v1, v3
	v_dual_mov_b32 v2, v4 :: v_dual_mov_b32 v3, v5
; %bb.16:                               ;   in Loop: Header=BB134_9 Depth=1
	s_or_b32 exec_lo, exec_lo, s15
	s_and_not1_saveexec_b32 s14, s14
	s_cbranch_execz .LBB134_11
.LBB134_17:                             ;   in Loop: Header=BB134_9 Depth=1
	s_mov_b32 s15, exec_lo
	v_cmpx_eq_u32_e32 1, v27
; %bb.18:                               ;   in Loop: Header=BB134_9 Depth=1
	v_dual_mov_b32 v0, v1 :: v_dual_mov_b32 v1, v2
	v_dual_mov_b32 v2, v3 :: v_dual_mov_b32 v3, v4
; %bb.19:                               ;   in Loop: Header=BB134_9 Depth=1
	s_or_b32 exec_lo, exec_lo, s15
	s_delay_alu instid0(SALU_CYCLE_1) | instskip(NEXT) | instid1(SALU_CYCLE_1)
	s_or_b32 exec_lo, exec_lo, s14
	s_mov_b32 s34, exec_lo
	v_cmpx_gt_i64_e64 s[16:17], v[13:14]
	s_cbranch_execz .LBB134_34
.LBB134_20:                             ;   in Loop: Header=BB134_9 Depth=1
	s_and_not1_b32 vcc_lo, exec_lo, s11
	s_cbranch_vccnz .LBB134_26
; %bb.21:                               ;   in Loop: Header=BB134_9 Depth=1
	v_mov_b32_e32 v7, 0
	s_and_not1_b32 vcc_lo, exec_lo, s27
	s_cbranch_vccnz .LBB134_30
; %bb.22:                               ;   in Loop: Header=BB134_9 Depth=1
	s_and_not1_b32 vcc_lo, exec_lo, s29
	s_mov_b32 s14, 0
	s_cbranch_vccnz .LBB134_27
; %bb.23:                               ;   in Loop: Header=BB134_9 Depth=1
	v_dual_mov_b32 v7, 0 :: v_dual_mov_b32 v8, v13
	s_mov_b32 s35, 0
	s_mov_b64 s[14:15], s[18:19]
	s_mov_b64 s[22:23], s[0:1]
.LBB134_24:                             ;   Parent Loop BB134_9 Depth=1
                                        ; =>  This Inner Loop Header: Depth=2
	s_clause 0x1
	s_load_b256 s[36:43], s[14:15], 0x4
	s_load_b128 s[44:47], s[14:15], 0x24
	s_load_b128 s[48:51], s[22:23], 0x0
	s_add_u32 s14, s14, 48
	s_addc_u32 s15, s15, 0
	s_add_i32 s35, s35, 4
	s_add_u32 s22, s22, 16
	s_addc_u32 s23, s23, 0
	s_cmp_lg_u32 s30, s35
	s_waitcnt lgkmcnt(0)
	v_mul_hi_u32 v9, s37, v8
	s_delay_alu instid0(VALU_DEP_1) | instskip(NEXT) | instid1(VALU_DEP_1)
	v_add_nc_u32_e32 v9, v8, v9
	v_lshrrev_b32_e32 v9, s38, v9
	s_delay_alu instid0(VALU_DEP_1) | instskip(SKIP_1) | instid1(VALU_DEP_2)
	v_mul_hi_u32 v10, s40, v9
	v_mul_lo_u32 v42, v9, s36
	v_add_nc_u32_e32 v10, v9, v10
	s_delay_alu instid0(VALU_DEP_2) | instskip(NEXT) | instid1(VALU_DEP_2)
	v_sub_nc_u32_e32 v42, v8, v42
	v_lshrrev_b32_e32 v10, s41, v10
	s_delay_alu instid0(VALU_DEP_2) | instskip(NEXT) | instid1(VALU_DEP_2)
	v_mul_lo_u32 v42, v42, s48
	v_mul_hi_u32 v16, s43, v10
	v_mul_lo_u32 v43, v10, s39
	s_delay_alu instid0(VALU_DEP_2) | instskip(NEXT) | instid1(VALU_DEP_2)
	v_add_nc_u32_e32 v16, v10, v16
	v_sub_nc_u32_e32 v9, v9, v43
	s_delay_alu instid0(VALU_DEP_2) | instskip(NEXT) | instid1(VALU_DEP_2)
	v_lshrrev_b32_e32 v16, s44, v16
	v_mul_lo_u32 v9, v9, s49
	s_delay_alu instid0(VALU_DEP_2) | instskip(NEXT) | instid1(VALU_DEP_2)
	v_mul_hi_u32 v41, s46, v16
	v_add3_u32 v7, v42, v7, v9
	s_delay_alu instid0(VALU_DEP_2) | instskip(NEXT) | instid1(VALU_DEP_1)
	v_add_nc_u32_e32 v41, v16, v41
	v_lshrrev_b32_e32 v8, s47, v41
	v_mul_lo_u32 v41, v16, s42
	s_delay_alu instid0(VALU_DEP_2) | instskip(NEXT) | instid1(VALU_DEP_2)
	v_mul_lo_u32 v44, v8, s45
	v_sub_nc_u32_e32 v10, v10, v41
	s_delay_alu instid0(VALU_DEP_2) | instskip(NEXT) | instid1(VALU_DEP_2)
	v_sub_nc_u32_e32 v16, v16, v44
	v_mul_lo_u32 v10, v10, s50
	s_delay_alu instid0(VALU_DEP_2) | instskip(NEXT) | instid1(VALU_DEP_1)
	v_mul_lo_u32 v16, v16, s51
	v_add3_u32 v7, v10, v7, v16
	s_cbranch_scc1 .LBB134_24
; %bb.25:                               ;   in Loop: Header=BB134_9 Depth=1
	s_mov_b32 s14, s30
	s_and_not1_b32 vcc_lo, exec_lo, s31
	s_cbranch_vccz .LBB134_28
	s_branch .LBB134_30
.LBB134_26:                             ;   in Loop: Header=BB134_9 Depth=1
                                        ; implicit-def: $vgpr7
	s_branch .LBB134_31
.LBB134_27:                             ;   in Loop: Header=BB134_9 Depth=1
	v_mov_b32_e32 v8, v13
	s_and_not1_b32 vcc_lo, exec_lo, s31
	s_cbranch_vccnz .LBB134_30
.LBB134_28:                             ;   in Loop: Header=BB134_9 Depth=1
	s_lshl_b32 s15, s14, 2
	s_mul_i32 s22, s14, 12
	s_add_u32 s14, s0, s15
	s_addc_u32 s15, s1, 0
	s_add_u32 s22, s18, s22
	s_addc_u32 s23, s19, 0
	s_mov_b32 s35, s28
	.p2align	6
.LBB134_29:                             ;   Parent Loop BB134_9 Depth=1
                                        ; =>  This Inner Loop Header: Depth=2
	s_clause 0x1
	s_load_b64 s[36:37], s[22:23], 0x4
	s_load_b32 s38, s[22:23], 0xc
	s_add_u32 s22, s22, 12
	s_addc_u32 s23, s23, 0
	s_waitcnt lgkmcnt(0)
	v_mul_hi_u32 v9, s37, v8
	s_load_b32 s37, s[14:15], 0x0
	s_add_u32 s14, s14, 4
	s_addc_u32 s15, s15, 0
	s_add_i32 s35, s35, -1
	s_delay_alu instid0(SALU_CYCLE_1) | instskip(NEXT) | instid1(VALU_DEP_1)
	s_cmp_lg_u32 s35, 0
	v_add_nc_u32_e32 v9, v8, v9
	s_delay_alu instid0(VALU_DEP_1) | instskip(NEXT) | instid1(VALU_DEP_1)
	v_lshrrev_b32_e32 v16, s38, v9
	v_mul_lo_u32 v9, v16, s36
	s_delay_alu instid0(VALU_DEP_1) | instskip(SKIP_1) | instid1(VALU_DEP_1)
	v_sub_nc_u32_e32 v8, v8, v9
	s_waitcnt lgkmcnt(0)
	v_mad_u64_u32 v[9:10], null, v8, s37, v[7:8]
	s_delay_alu instid0(VALU_DEP_1)
	v_dual_mov_b32 v8, v16 :: v_dual_mov_b32 v7, v9
	s_cbranch_scc1 .LBB134_29
.LBB134_30:                             ;   in Loop: Header=BB134_9 Depth=1
	s_cbranch_execnz .LBB134_33
.LBB134_31:                             ;   in Loop: Header=BB134_9 Depth=1
	v_mul_hi_u32 v7, v13, s6
	s_and_not1_b32 vcc_lo, exec_lo, s4
	s_delay_alu instid0(VALU_DEP_1) | instskip(NEXT) | instid1(VALU_DEP_1)
	v_add_nc_u32_e32 v7, v7, v13
	v_lshrrev_b32_e32 v8, s7, v7
	s_delay_alu instid0(VALU_DEP_1) | instskip(NEXT) | instid1(VALU_DEP_1)
	v_mul_lo_u32 v7, v8, s5
	v_sub_nc_u32_e32 v7, v13, v7
	s_delay_alu instid0(VALU_DEP_1)
	v_mul_lo_u32 v7, v7, s20
	s_cbranch_vccnz .LBB134_33
; %bb.32:                               ;   in Loop: Header=BB134_9 Depth=1
	v_mul_hi_u32 v9, s9, v8
	s_delay_alu instid0(VALU_DEP_1) | instskip(NEXT) | instid1(VALU_DEP_1)
	v_add_nc_u32_e32 v9, v8, v9
	v_lshrrev_b32_e32 v9, s10, v9
	s_delay_alu instid0(VALU_DEP_1) | instskip(NEXT) | instid1(VALU_DEP_1)
	v_mul_lo_u32 v9, v9, s8
	v_sub_nc_u32_e32 v10, v8, v9
	s_delay_alu instid0(VALU_DEP_1) | instskip(NEXT) | instid1(VALU_DEP_1)
	v_mad_u64_u32 v[8:9], null, v10, s21, v[7:8]
	v_mov_b32_e32 v7, v8
.LBB134_33:                             ;   in Loop: Header=BB134_9 Depth=1
	v_lshrrev_b32_e32 v1, 11, v1
	s_delay_alu instid0(VALU_DEP_1) | instskip(SKIP_1) | instid1(VALU_DEP_2)
	v_cvt_f64_u32_e32 v[8:9], v1
	v_cvt_f64_u32_e32 v[0:1], v0
	v_ldexp_f64 v[8:9], v[8:9], 32
	s_delay_alu instid0(VALU_DEP_1) | instskip(NEXT) | instid1(VALU_DEP_1)
	v_add_f64 v[0:1], v[8:9], v[0:1]
	v_fma_f64 v[0:1], 0x3ca00000, v[0:1], 0x3ca00000
	s_delay_alu instid0(VALU_DEP_1) | instskip(SKIP_1) | instid1(VALU_DEP_2)
	v_cvt_f32_f64_e32 v0, v[0:1]
	v_mov_b32_e32 v1, s26
	v_cmp_gt_f32_e32 vcc_lo, v37, v0
	v_cndmask_b32_e64 v0, 0, 1, vcc_lo
	global_store_b64 v7, v[0:1], s[12:13]
.LBB134_34:                             ;   in Loop: Header=BB134_9 Depth=1
	s_or_b32 exec_lo, exec_lo, s34
	v_add_co_u32 v0, vcc_lo, v13, s24
	v_add_co_ci_u32_e32 v1, vcc_lo, 0, v14, vcc_lo
	s_mov_b32 s34, exec_lo
	s_delay_alu instid0(VALU_DEP_1)
	v_cmpx_gt_i64_e64 s[16:17], v[0:1]
	s_cbranch_execz .LBB134_8
; %bb.35:                               ;   in Loop: Header=BB134_9 Depth=1
	s_and_not1_b32 vcc_lo, exec_lo, s11
	s_cbranch_vccnz .LBB134_41
; %bb.36:                               ;   in Loop: Header=BB134_9 Depth=1
	v_mov_b32_e32 v1, 0
	s_and_not1_b32 vcc_lo, exec_lo, s27
	s_cbranch_vccnz .LBB134_45
; %bb.37:                               ;   in Loop: Header=BB134_9 Depth=1
	s_and_not1_b32 vcc_lo, exec_lo, s29
	s_mov_b32 s14, 0
	s_cbranch_vccnz .LBB134_42
; %bb.38:                               ;   in Loop: Header=BB134_9 Depth=1
	v_mov_b32_e32 v1, 0
	v_mov_b32_e32 v7, v0
	s_mov_b32 s35, 0
	s_mov_b64 s[14:15], s[18:19]
	s_mov_b64 s[22:23], s[0:1]
.LBB134_39:                             ;   Parent Loop BB134_9 Depth=1
                                        ; =>  This Inner Loop Header: Depth=2
	s_clause 0x1
	s_load_b256 s[36:43], s[14:15], 0x4
	s_load_b128 s[44:47], s[14:15], 0x24
	s_load_b128 s[48:51], s[22:23], 0x0
	s_add_u32 s14, s14, 48
	s_addc_u32 s15, s15, 0
	s_add_i32 s35, s35, 4
	s_add_u32 s22, s22, 16
	s_addc_u32 s23, s23, 0
	s_cmp_eq_u32 s30, s35
	s_waitcnt lgkmcnt(0)
	v_mul_hi_u32 v8, s37, v7
	s_delay_alu instid0(VALU_DEP_1) | instskip(NEXT) | instid1(VALU_DEP_1)
	v_add_nc_u32_e32 v8, v7, v8
	v_lshrrev_b32_e32 v8, s38, v8
	s_delay_alu instid0(VALU_DEP_1) | instskip(SKIP_1) | instid1(VALU_DEP_2)
	v_mul_hi_u32 v9, s40, v8
	v_mul_lo_u32 v41, v8, s36
	v_add_nc_u32_e32 v9, v8, v9
	s_delay_alu instid0(VALU_DEP_2) | instskip(NEXT) | instid1(VALU_DEP_2)
	v_sub_nc_u32_e32 v41, v7, v41
	v_lshrrev_b32_e32 v9, s41, v9
	s_delay_alu instid0(VALU_DEP_2) | instskip(NEXT) | instid1(VALU_DEP_2)
	v_mul_lo_u32 v41, v41, s48
	v_mul_hi_u32 v10, s43, v9
	v_mul_lo_u32 v42, v9, s39
	s_delay_alu instid0(VALU_DEP_2) | instskip(NEXT) | instid1(VALU_DEP_2)
	v_add_nc_u32_e32 v10, v9, v10
	v_sub_nc_u32_e32 v8, v8, v42
	s_delay_alu instid0(VALU_DEP_2) | instskip(NEXT) | instid1(VALU_DEP_2)
	v_lshrrev_b32_e32 v10, s44, v10
	v_mul_lo_u32 v8, v8, s49
	s_delay_alu instid0(VALU_DEP_2) | instskip(NEXT) | instid1(VALU_DEP_2)
	v_mul_hi_u32 v16, s46, v10
	v_add3_u32 v1, v41, v1, v8
	s_delay_alu instid0(VALU_DEP_2) | instskip(NEXT) | instid1(VALU_DEP_1)
	v_add_nc_u32_e32 v16, v10, v16
	v_lshrrev_b32_e32 v7, s47, v16
	v_mul_lo_u32 v16, v10, s42
	s_delay_alu instid0(VALU_DEP_2) | instskip(NEXT) | instid1(VALU_DEP_2)
	v_mul_lo_u32 v43, v7, s45
	v_sub_nc_u32_e32 v9, v9, v16
	s_delay_alu instid0(VALU_DEP_2) | instskip(NEXT) | instid1(VALU_DEP_2)
	v_sub_nc_u32_e32 v10, v10, v43
	v_mul_lo_u32 v9, v9, s50
	s_delay_alu instid0(VALU_DEP_2) | instskip(NEXT) | instid1(VALU_DEP_1)
	v_mul_lo_u32 v10, v10, s51
	v_add3_u32 v1, v9, v1, v10
	s_cbranch_scc0 .LBB134_39
; %bb.40:                               ;   in Loop: Header=BB134_9 Depth=1
	s_mov_b32 s14, s30
	s_and_not1_b32 vcc_lo, exec_lo, s31
	s_cbranch_vccz .LBB134_43
	s_branch .LBB134_45
.LBB134_41:                             ;   in Loop: Header=BB134_9 Depth=1
                                        ; implicit-def: $vgpr1
	s_branch .LBB134_46
.LBB134_42:                             ;   in Loop: Header=BB134_9 Depth=1
	v_mov_b32_e32 v7, v0
	s_and_not1_b32 vcc_lo, exec_lo, s31
	s_cbranch_vccnz .LBB134_45
.LBB134_43:                             ;   in Loop: Header=BB134_9 Depth=1
	s_lshl_b32 s15, s14, 2
	s_mul_i32 s22, s14, 12
	s_add_u32 s14, s0, s15
	s_addc_u32 s15, s1, 0
	s_add_u32 s22, s18, s22
	s_addc_u32 s23, s19, 0
	s_mov_b32 s35, s28
	.p2align	6
.LBB134_44:                             ;   Parent Loop BB134_9 Depth=1
                                        ; =>  This Inner Loop Header: Depth=2
	s_clause 0x1
	s_load_b64 s[36:37], s[22:23], 0x4
	s_load_b32 s38, s[22:23], 0xc
	s_add_u32 s22, s22, 12
	s_addc_u32 s23, s23, 0
	s_waitcnt lgkmcnt(0)
	v_mul_hi_u32 v8, s37, v7
	s_load_b32 s37, s[14:15], 0x0
	s_add_u32 s14, s14, 4
	s_addc_u32 s15, s15, 0
	s_add_i32 s35, s35, -1
	s_delay_alu instid0(SALU_CYCLE_1) | instskip(NEXT) | instid1(VALU_DEP_1)
	s_cmp_lg_u32 s35, 0
	v_add_nc_u32_e32 v8, v7, v8
	s_delay_alu instid0(VALU_DEP_1) | instskip(NEXT) | instid1(VALU_DEP_1)
	v_lshrrev_b32_e32 v10, s38, v8
	v_mul_lo_u32 v8, v10, s36
	s_delay_alu instid0(VALU_DEP_1) | instskip(SKIP_1) | instid1(VALU_DEP_1)
	v_sub_nc_u32_e32 v7, v7, v8
	s_waitcnt lgkmcnt(0)
	v_mad_u64_u32 v[8:9], null, v7, s37, v[1:2]
	v_mov_b32_e32 v7, v10
	s_delay_alu instid0(VALU_DEP_2)
	v_mov_b32_e32 v1, v8
	s_cbranch_scc1 .LBB134_44
.LBB134_45:                             ;   in Loop: Header=BB134_9 Depth=1
	s_cbranch_execnz .LBB134_7
.LBB134_46:                             ;   in Loop: Header=BB134_9 Depth=1
	v_mul_hi_u32 v1, v0, s6
	s_and_not1_b32 vcc_lo, exec_lo, s4
	s_delay_alu instid0(VALU_DEP_1) | instskip(NEXT) | instid1(VALU_DEP_1)
	v_add_nc_u32_e32 v1, v1, v0
	v_lshrrev_b32_e32 v7, s7, v1
	s_delay_alu instid0(VALU_DEP_1) | instskip(NEXT) | instid1(VALU_DEP_1)
	v_mul_lo_u32 v1, v7, s5
	v_sub_nc_u32_e32 v0, v0, v1
	s_delay_alu instid0(VALU_DEP_1)
	v_mul_lo_u32 v1, v0, s20
	s_cbranch_vccnz .LBB134_7
; %bb.47:                               ;   in Loop: Header=BB134_9 Depth=1
	v_mul_hi_u32 v0, s9, v7
	s_delay_alu instid0(VALU_DEP_1) | instskip(NEXT) | instid1(VALU_DEP_1)
	v_add_nc_u32_e32 v0, v7, v0
	v_lshrrev_b32_e32 v0, s10, v0
	s_delay_alu instid0(VALU_DEP_1) | instskip(NEXT) | instid1(VALU_DEP_1)
	v_mul_lo_u32 v0, v0, s8
	v_sub_nc_u32_e32 v0, v7, v0
	s_delay_alu instid0(VALU_DEP_1) | instskip(NEXT) | instid1(VALU_DEP_1)
	v_mad_u64_u32 v[7:8], null, v0, s21, v[1:2]
	v_mov_b32_e32 v1, v7
	s_branch .LBB134_7
.LBB134_48:
	s_endpgm
.LBB134_49:
                                        ; implicit-def: $sgpr2_sgpr3
	s_branch .LBB134_4
	.section	.rodata,"a",@progbits
	.p2align	6, 0x0
	.amdhsa_kernel _ZN2at6native12_GLOBAL__N_143distribution_elementwise_grid_stride_kernelIfLi4EZNS0_9templates4cuda21uniform_and_transformIlfPNS_17CUDAGeneratorImplEZZZNS4_16bernoulli_kernelIS7_EEvRNS_18TensorIteratorBaseEdT_ENKUlvE_clEvENKUlvE2_clEvEUlfE_EEvSA_T1_T2_EUlP25hiprandStatePhilox4_32_10E_ZNS1_27distribution_nullary_kernelIlf15HIP_vector_typeIdLj2EES7_SJ_SE_EEvSA_SG_RKT3_T4_EUlifE0_EEvlNS_15PhiloxCudaStateESF_SG_
		.amdhsa_group_segment_fixed_size 0
		.amdhsa_private_segment_fixed_size 0
		.amdhsa_kernarg_size 584
		.amdhsa_user_sgpr_count 15
		.amdhsa_user_sgpr_dispatch_ptr 0
		.amdhsa_user_sgpr_queue_ptr 0
		.amdhsa_user_sgpr_kernarg_segment_ptr 1
		.amdhsa_user_sgpr_dispatch_id 0
		.amdhsa_user_sgpr_private_segment_size 0
		.amdhsa_wavefront_size32 1
		.amdhsa_uses_dynamic_stack 0
		.amdhsa_enable_private_segment 0
		.amdhsa_system_sgpr_workgroup_id_x 1
		.amdhsa_system_sgpr_workgroup_id_y 0
		.amdhsa_system_sgpr_workgroup_id_z 0
		.amdhsa_system_sgpr_workgroup_info 0
		.amdhsa_system_vgpr_workitem_id 0
		.amdhsa_next_free_vgpr 45
		.amdhsa_next_free_sgpr 52
		.amdhsa_reserve_vcc 1
		.amdhsa_float_round_mode_32 0
		.amdhsa_float_round_mode_16_64 0
		.amdhsa_float_denorm_mode_32 3
		.amdhsa_float_denorm_mode_16_64 3
		.amdhsa_dx10_clamp 1
		.amdhsa_ieee_mode 1
		.amdhsa_fp16_overflow 0
		.amdhsa_workgroup_processor_mode 1
		.amdhsa_memory_ordered 1
		.amdhsa_forward_progress 0
		.amdhsa_shared_vgpr_count 0
		.amdhsa_exception_fp_ieee_invalid_op 0
		.amdhsa_exception_fp_denorm_src 0
		.amdhsa_exception_fp_ieee_div_zero 0
		.amdhsa_exception_fp_ieee_overflow 0
		.amdhsa_exception_fp_ieee_underflow 0
		.amdhsa_exception_fp_ieee_inexact 0
		.amdhsa_exception_int_div_zero 0
	.end_amdhsa_kernel
	.section	.text._ZN2at6native12_GLOBAL__N_143distribution_elementwise_grid_stride_kernelIfLi4EZNS0_9templates4cuda21uniform_and_transformIlfPNS_17CUDAGeneratorImplEZZZNS4_16bernoulli_kernelIS7_EEvRNS_18TensorIteratorBaseEdT_ENKUlvE_clEvENKUlvE2_clEvEUlfE_EEvSA_T1_T2_EUlP25hiprandStatePhilox4_32_10E_ZNS1_27distribution_nullary_kernelIlf15HIP_vector_typeIdLj2EES7_SJ_SE_EEvSA_SG_RKT3_T4_EUlifE0_EEvlNS_15PhiloxCudaStateESF_SG_,"axG",@progbits,_ZN2at6native12_GLOBAL__N_143distribution_elementwise_grid_stride_kernelIfLi4EZNS0_9templates4cuda21uniform_and_transformIlfPNS_17CUDAGeneratorImplEZZZNS4_16bernoulli_kernelIS7_EEvRNS_18TensorIteratorBaseEdT_ENKUlvE_clEvENKUlvE2_clEvEUlfE_EEvSA_T1_T2_EUlP25hiprandStatePhilox4_32_10E_ZNS1_27distribution_nullary_kernelIlf15HIP_vector_typeIdLj2EES7_SJ_SE_EEvSA_SG_RKT3_T4_EUlifE0_EEvlNS_15PhiloxCudaStateESF_SG_,comdat
.Lfunc_end134:
	.size	_ZN2at6native12_GLOBAL__N_143distribution_elementwise_grid_stride_kernelIfLi4EZNS0_9templates4cuda21uniform_and_transformIlfPNS_17CUDAGeneratorImplEZZZNS4_16bernoulli_kernelIS7_EEvRNS_18TensorIteratorBaseEdT_ENKUlvE_clEvENKUlvE2_clEvEUlfE_EEvSA_T1_T2_EUlP25hiprandStatePhilox4_32_10E_ZNS1_27distribution_nullary_kernelIlf15HIP_vector_typeIdLj2EES7_SJ_SE_EEvSA_SG_RKT3_T4_EUlifE0_EEvlNS_15PhiloxCudaStateESF_SG_, .Lfunc_end134-_ZN2at6native12_GLOBAL__N_143distribution_elementwise_grid_stride_kernelIfLi4EZNS0_9templates4cuda21uniform_and_transformIlfPNS_17CUDAGeneratorImplEZZZNS4_16bernoulli_kernelIS7_EEvRNS_18TensorIteratorBaseEdT_ENKUlvE_clEvENKUlvE2_clEvEUlfE_EEvSA_T1_T2_EUlP25hiprandStatePhilox4_32_10E_ZNS1_27distribution_nullary_kernelIlf15HIP_vector_typeIdLj2EES7_SJ_SE_EEvSA_SG_RKT3_T4_EUlifE0_EEvlNS_15PhiloxCudaStateESF_SG_
                                        ; -- End function
	.section	.AMDGPU.csdata,"",@progbits
; Kernel info:
; codeLenInByte = 3972
; NumSgprs: 54
; NumVgprs: 45
; ScratchSize: 0
; MemoryBound: 0
; FloatMode: 240
; IeeeMode: 1
; LDSByteSize: 0 bytes/workgroup (compile time only)
; SGPRBlocks: 6
; VGPRBlocks: 5
; NumSGPRsForWavesPerEU: 54
; NumVGPRsForWavesPerEU: 45
; Occupancy: 16
; WaveLimiterHint : 1
; COMPUTE_PGM_RSRC2:SCRATCH_EN: 0
; COMPUTE_PGM_RSRC2:USER_SGPR: 15
; COMPUTE_PGM_RSRC2:TRAP_HANDLER: 0
; COMPUTE_PGM_RSRC2:TGID_X_EN: 1
; COMPUTE_PGM_RSRC2:TGID_Y_EN: 0
; COMPUTE_PGM_RSRC2:TGID_Z_EN: 0
; COMPUTE_PGM_RSRC2:TIDIG_COMP_CNT: 0
	.section	.text._ZN2at6native12_GLOBAL__N_143distribution_elementwise_grid_stride_kernelIfLi4EZNS0_9templates4cuda21uniform_and_transformIlfPNS_17CUDAGeneratorImplEZZZNS4_16bernoulli_kernelIS7_EEvRNS_18TensorIteratorBaseEdT_ENKUlvE_clEvENKUlvE2_clEvEUlfE_EEvSA_T1_T2_EUlP25hiprandStatePhilox4_32_10E0_ZNS1_27distribution_nullary_kernelIlf15HIP_vector_typeIfLj4EES7_SJ_SE_EEvSA_SG_RKT3_T4_EUlifE_EEvlNS_15PhiloxCudaStateESF_SG_,"axG",@progbits,_ZN2at6native12_GLOBAL__N_143distribution_elementwise_grid_stride_kernelIfLi4EZNS0_9templates4cuda21uniform_and_transformIlfPNS_17CUDAGeneratorImplEZZZNS4_16bernoulli_kernelIS7_EEvRNS_18TensorIteratorBaseEdT_ENKUlvE_clEvENKUlvE2_clEvEUlfE_EEvSA_T1_T2_EUlP25hiprandStatePhilox4_32_10E0_ZNS1_27distribution_nullary_kernelIlf15HIP_vector_typeIfLj4EES7_SJ_SE_EEvSA_SG_RKT3_T4_EUlifE_EEvlNS_15PhiloxCudaStateESF_SG_,comdat
	.globl	_ZN2at6native12_GLOBAL__N_143distribution_elementwise_grid_stride_kernelIfLi4EZNS0_9templates4cuda21uniform_and_transformIlfPNS_17CUDAGeneratorImplEZZZNS4_16bernoulli_kernelIS7_EEvRNS_18TensorIteratorBaseEdT_ENKUlvE_clEvENKUlvE2_clEvEUlfE_EEvSA_T1_T2_EUlP25hiprandStatePhilox4_32_10E0_ZNS1_27distribution_nullary_kernelIlf15HIP_vector_typeIfLj4EES7_SJ_SE_EEvSA_SG_RKT3_T4_EUlifE_EEvlNS_15PhiloxCudaStateESF_SG_ ; -- Begin function _ZN2at6native12_GLOBAL__N_143distribution_elementwise_grid_stride_kernelIfLi4EZNS0_9templates4cuda21uniform_and_transformIlfPNS_17CUDAGeneratorImplEZZZNS4_16bernoulli_kernelIS7_EEvRNS_18TensorIteratorBaseEdT_ENKUlvE_clEvENKUlvE2_clEvEUlfE_EEvSA_T1_T2_EUlP25hiprandStatePhilox4_32_10E0_ZNS1_27distribution_nullary_kernelIlf15HIP_vector_typeIfLj4EES7_SJ_SE_EEvSA_SG_RKT3_T4_EUlifE_EEvlNS_15PhiloxCudaStateESF_SG_
	.p2align	8
	.type	_ZN2at6native12_GLOBAL__N_143distribution_elementwise_grid_stride_kernelIfLi4EZNS0_9templates4cuda21uniform_and_transformIlfPNS_17CUDAGeneratorImplEZZZNS4_16bernoulli_kernelIS7_EEvRNS_18TensorIteratorBaseEdT_ENKUlvE_clEvENKUlvE2_clEvEUlfE_EEvSA_T1_T2_EUlP25hiprandStatePhilox4_32_10E0_ZNS1_27distribution_nullary_kernelIlf15HIP_vector_typeIfLj4EES7_SJ_SE_EEvSA_SG_RKT3_T4_EUlifE_EEvlNS_15PhiloxCudaStateESF_SG_,@function
_ZN2at6native12_GLOBAL__N_143distribution_elementwise_grid_stride_kernelIfLi4EZNS0_9templates4cuda21uniform_and_transformIlfPNS_17CUDAGeneratorImplEZZZNS4_16bernoulli_kernelIS7_EEvRNS_18TensorIteratorBaseEdT_ENKUlvE_clEvENKUlvE2_clEvEUlfE_EEvSA_T1_T2_EUlP25hiprandStatePhilox4_32_10E0_ZNS1_27distribution_nullary_kernelIlf15HIP_vector_typeIfLj4EES7_SJ_SE_EEvSA_SG_RKT3_T4_EUlifE_EEvlNS_15PhiloxCudaStateESF_SG_: ; @_ZN2at6native12_GLOBAL__N_143distribution_elementwise_grid_stride_kernelIfLi4EZNS0_9templates4cuda21uniform_and_transformIlfPNS_17CUDAGeneratorImplEZZZNS4_16bernoulli_kernelIS7_EEvRNS_18TensorIteratorBaseEdT_ENKUlvE_clEvENKUlvE2_clEvEUlfE_EEvSA_T1_T2_EUlP25hiprandStatePhilox4_32_10E0_ZNS1_27distribution_nullary_kernelIlf15HIP_vector_typeIfLj4EES7_SJ_SE_EEvSA_SG_RKT3_T4_EUlifE_EEvlNS_15PhiloxCudaStateESF_SG_
; %bb.0:
	s_clause 0x2
	s_load_b64 s[8:9], s[0:1], 0x10
	s_load_b128 s[4:7], s[0:1], 0x0
	s_load_b32 s2, s[0:1], 0x20
	s_waitcnt lgkmcnt(0)
	v_dual_mov_b32 v2, s8 :: v_dual_mov_b32 v3, s9
	v_dual_mov_b32 v12, s7 :: v_dual_mov_b32 v11, s6
	s_bitcmp0_b32 s2, 0
	s_mov_b32 s2, 0
	s_cbranch_scc1 .LBB135_2
; %bb.1:
	v_dual_mov_b32 v1, s8 :: v_dual_mov_b32 v2, s9
	v_dual_mov_b32 v4, s6 :: v_dual_mov_b32 v5, s7
	s_load_b64 s[6:7], s[0:1], 0x18
	flat_load_b64 v[2:3], v[1:2]
	flat_load_b64 v[11:12], v[4:5]
	s_waitcnt vmcnt(1) lgkmcnt(0)
	v_add_co_u32 v2, vcc_lo, v2, s6
	v_add_co_ci_u32_e32 v3, vcc_lo, s7, v3, vcc_lo
.LBB135_2:
	s_clause 0x1
	s_load_b32 s3, s[0:1], 0x54
	s_load_b32 s11, s[0:1], 0x48
	s_waitcnt lgkmcnt(0)
	s_and_b32 s10, s3, 0xffff
	s_add_u32 s6, s4, -1
	s_mul_i32 s8, s11, s10
	s_addc_u32 s3, s5, -1
	s_lshl_b32 s9, s8, 2
	s_cmp_lg_u64 s[2:3], 0
	s_cbranch_scc0 .LBB135_27
; %bb.3:
	v_cvt_f32_ubyte0_e32 v1, 0
	v_cvt_f32_u32_e32 v4, s9
	s_sub_u32 s12, 0, s9
	s_subb_u32 s13, 0, 0
	s_delay_alu instid0(VALU_DEP_1) | instskip(NEXT) | instid1(VALU_DEP_1)
	v_fmamk_f32 v1, v1, 0x4f800000, v4
	v_rcp_f32_e32 v1, v1
	s_waitcnt_depctr 0xfff
	v_mul_f32_e32 v1, 0x5f7ffffc, v1
	s_delay_alu instid0(VALU_DEP_1) | instskip(NEXT) | instid1(VALU_DEP_1)
	v_mul_f32_e32 v4, 0x2f800000, v1
	v_trunc_f32_e32 v4, v4
	s_delay_alu instid0(VALU_DEP_1) | instskip(SKIP_1) | instid1(VALU_DEP_2)
	v_fmamk_f32 v1, v4, 0xcf800000, v1
	v_cvt_u32_f32_e32 v4, v4
	v_cvt_u32_f32_e32 v1, v1
	s_delay_alu instid0(VALU_DEP_2) | instskip(NEXT) | instid1(VALU_DEP_2)
	v_readfirstlane_b32 s2, v4
	v_readfirstlane_b32 s7, v1
	s_delay_alu instid0(VALU_DEP_2) | instskip(NEXT) | instid1(VALU_DEP_1)
	s_mul_i32 s14, s12, s2
	s_mul_hi_u32 s17, s12, s7
	s_mul_i32 s16, s13, s7
	s_add_i32 s14, s17, s14
	s_mul_i32 s18, s12, s7
	s_add_i32 s14, s14, s16
	s_mul_hi_u32 s17, s7, s18
	s_mul_hi_u32 s19, s2, s18
	s_mul_i32 s16, s2, s18
	s_mul_hi_u32 s18, s7, s14
	s_mul_i32 s7, s7, s14
	s_mul_hi_u32 s20, s2, s14
	s_add_u32 s7, s17, s7
	s_addc_u32 s17, 0, s18
	s_add_u32 s7, s7, s16
	s_mul_i32 s14, s2, s14
	s_addc_u32 s7, s17, s19
	s_addc_u32 s16, s20, 0
	s_add_u32 s7, s7, s14
	s_addc_u32 s14, 0, s16
	v_add_co_u32 v1, s7, v1, s7
	s_delay_alu instid0(VALU_DEP_1) | instskip(SKIP_1) | instid1(VALU_DEP_1)
	s_cmp_lg_u32 s7, 0
	s_addc_u32 s2, s2, s14
	v_readfirstlane_b32 s7, v1
	s_mul_i32 s14, s12, s2
	s_delay_alu instid0(VALU_DEP_1)
	s_mul_hi_u32 s16, s12, s7
	s_mul_i32 s13, s13, s7
	s_add_i32 s14, s16, s14
	s_mul_i32 s12, s12, s7
	s_add_i32 s14, s14, s13
	s_mul_hi_u32 s16, s2, s12
	s_mul_i32 s17, s2, s12
	s_mul_hi_u32 s12, s7, s12
	s_mul_hi_u32 s18, s7, s14
	s_mul_i32 s7, s7, s14
	s_mul_hi_u32 s13, s2, s14
	s_add_u32 s7, s12, s7
	s_addc_u32 s12, 0, s18
	s_add_u32 s7, s7, s17
	s_mul_i32 s14, s2, s14
	s_addc_u32 s7, s12, s16
	s_addc_u32 s12, s13, 0
	s_add_u32 s7, s7, s14
	s_addc_u32 s12, 0, s12
	v_add_co_u32 v1, s7, v1, s7
	s_delay_alu instid0(VALU_DEP_1) | instskip(SKIP_2) | instid1(VALU_DEP_1)
	s_cmp_lg_u32 s7, 0
	s_addc_u32 s7, s2, s12
	s_ashr_i32 s12, s3, 31
	v_readfirstlane_b32 s14, v1
	s_add_u32 s2, s6, s12
	s_mov_b32 s13, s12
	s_addc_u32 s3, s3, s12
	s_delay_alu instid0(SALU_CYCLE_1) | instskip(NEXT) | instid1(SALU_CYCLE_1)
	s_xor_b64 s[2:3], s[2:3], s[12:13]
	s_mul_i32 s17, s2, s7
	s_mul_hi_u32 s18, s2, s14
	s_mul_hi_u32 s16, s2, s7
	;; [unrolled: 1-line block ×3, first 2 shown]
	s_mul_i32 s14, s3, s14
	s_add_u32 s17, s18, s17
	s_addc_u32 s16, 0, s16
	s_mul_hi_u32 s19, s3, s7
	s_add_u32 s14, s17, s14
	s_mul_i32 s7, s3, s7
	s_addc_u32 s14, s16, s20
	s_addc_u32 s16, s19, 0
	s_add_u32 s7, s14, s7
	s_addc_u32 s14, 0, s16
	s_mul_i32 s17, s9, s7
	s_add_u32 s16, s7, 1
	v_sub_co_u32 v1, s2, s2, s17
	s_mul_hi_u32 s17, s9, s7
	s_addc_u32 s18, s14, 0
	s_mul_i32 s19, s9, s14
	s_delay_alu instid0(VALU_DEP_1)
	v_sub_co_u32 v4, s20, v1, s9
	s_add_u32 s21, s7, 2
	s_addc_u32 s22, s14, 0
	s_add_i32 s17, s17, s19
	s_cmp_lg_u32 s2, 0
	v_readfirstlane_b32 s2, v4
	s_subb_u32 s3, s3, s17
	s_cmp_lg_u32 s20, 0
	s_subb_u32 s17, s3, 0
	s_delay_alu instid0(VALU_DEP_1) | instskip(SKIP_4) | instid1(SALU_CYCLE_1)
	s_cmp_ge_u32 s2, s9
	s_cselect_b32 s2, -1, 0
	s_cmp_eq_u32 s17, 0
	v_readfirstlane_b32 s17, v1
	s_cselect_b32 s2, s2, -1
	s_cmp_lg_u32 s2, 0
	s_cselect_b32 s2, s21, s16
	s_cselect_b32 s16, s22, s18
	s_cmp_ge_u32 s17, s9
	s_cselect_b32 s17, -1, 0
	s_cmp_eq_u32 s3, 0
	s_cselect_b32 s3, s17, -1
	s_delay_alu instid0(SALU_CYCLE_1) | instskip(SKIP_2) | instid1(SALU_CYCLE_1)
	s_cmp_lg_u32 s3, 0
	s_cselect_b32 s3, s16, s14
	s_cselect_b32 s2, s2, s7
	s_xor_b64 s[2:3], s[2:3], s[12:13]
	s_delay_alu instid0(SALU_CYCLE_1)
	s_sub_u32 s2, s2, s12
	s_subb_u32 s3, s3, s12
	s_cbranch_execnz .LBB135_5
.LBB135_4:
	v_cvt_f32_u32_e32 v1, s9
	s_sub_i32 s3, 0, s9
	s_delay_alu instid0(VALU_DEP_1) | instskip(SKIP_2) | instid1(VALU_DEP_1)
	v_rcp_iflag_f32_e32 v1, v1
	s_waitcnt_depctr 0xfff
	v_mul_f32_e32 v1, 0x4f7ffffe, v1
	v_cvt_u32_f32_e32 v1, v1
	s_delay_alu instid0(VALU_DEP_1) | instskip(NEXT) | instid1(VALU_DEP_1)
	v_readfirstlane_b32 s2, v1
	s_mul_i32 s3, s3, s2
	s_delay_alu instid0(SALU_CYCLE_1) | instskip(NEXT) | instid1(SALU_CYCLE_1)
	s_mul_hi_u32 s3, s2, s3
	s_add_i32 s2, s2, s3
	s_delay_alu instid0(SALU_CYCLE_1) | instskip(NEXT) | instid1(SALU_CYCLE_1)
	s_mul_hi_u32 s2, s6, s2
	s_mul_i32 s3, s2, s9
	s_delay_alu instid0(SALU_CYCLE_1)
	s_sub_i32 s3, s6, s3
	s_add_i32 s6, s2, 1
	s_sub_i32 s7, s3, s9
	s_cmp_ge_u32 s3, s9
	s_cselect_b32 s2, s6, s2
	s_cselect_b32 s3, s7, s3
	s_add_i32 s6, s2, 1
	s_cmp_ge_u32 s3, s9
	s_mov_b32 s3, 0
	s_cselect_b32 s2, s6, s2
.LBB135_5:
	v_mov_b32_e32 v1, 0
	s_add_u32 s2, s2, 1
	s_addc_u32 s3, s3, 0
	s_mul_hi_u32 s6, s8, s2
	s_mul_i32 s3, s8, s3
	v_mad_u64_u32 v[13:14], null, s10, s15, v[0:1]
	s_mul_hi_u32 s7, s11, s10
	s_add_i32 s3, s6, s3
	s_mul_i32 s7, s7, s2
	s_mul_i32 s2, s8, s2
	s_add_i32 s3, s3, s7
	s_mov_b32 s6, exec_lo
	s_lshl_b64 s[2:3], s[2:3], 2
	s_delay_alu instid0(SALU_CYCLE_1)
	v_cmpx_gt_i64_e64 s[2:3], v[13:14]
	s_cbranch_execz .LBB135_26
; %bb.6:
	v_alignbit_b32 v17, v3, v2, 2
	v_mad_u64_u32 v[6:7], null, 0xcd9e8d57, v13, 0
	v_lshrrev_b32_e32 v18, 2, v3
	s_waitcnt vmcnt(0)
	v_dual_mov_b32 v15, v12 :: v_dual_add_nc_u32 v28, 0x8ff34781, v11
	v_mad_u64_u32 v[4:5], null, 0xd2511f53, v17, 0
	v_add_co_u32 v20, null, 0x9e3779b9, v11
	v_xor3_b32 v3, v11, v7, v18
	s_delay_alu instid0(VALU_DEP_4) | instskip(SKIP_2) | instid1(VALU_DEP_4)
	v_add_co_u32 v19, null, 0xbb67ae85, v15
	v_add_co_u32 v21, null, 0x3c6ef372, v11
	v_xor_b32_e32 v1, v5, v12
	v_mad_u64_u32 v[7:8], null, 0xd2511f53, v3, 0
	v_add_co_u32 v22, null, 0x76cf5d0a, v15
	s_delay_alu instid0(VALU_DEP_3) | instskip(SKIP_2) | instid1(VALU_DEP_3)
	v_xor_b32_e32 v1, v1, v14
	v_add_co_u32 v23, null, 0x32370b8f, v15
	v_add_co_u32 v24, null, 0xdaa66d2b, v11
	v_mad_u64_u32 v[9:10], null, 0xcd9e8d57, v1, 0
	v_xor3_b32 v1, v19, v8, v4
	v_add_co_u32 v25, null, 0x78dde6e4, v11
	v_add_co_u32 v26, null, 0xed9eba14, v15
	s_delay_alu instid0(VALU_DEP_3) | instskip(SKIP_3) | instid1(VALU_DEP_3)
	v_mad_u64_u32 v[3:4], null, 0xcd9e8d57, v1, 0
	v_xor3_b32 v8, v20, v10, v6
	v_dual_mov_b32 v38, v13 :: v_dual_and_b32 v27, 3, v2
	v_add_co_u32 v30, null, 0xa9066899, v15
	v_mad_u64_u32 v[5:6], null, 0xd2511f53, v8, 0
	v_xor3_b32 v1, v21, v4, v9
	v_add_co_u32 v31, null, 0x1715609d, v11
	s_clause 0x2
	s_load_b64 s[6:7], s[0:1], 0x30
	s_load_b32 s13, s[0:1], 0x38
	s_load_b64 s[16:17], s[0:1], 0x40
	v_add_co_u32 v33, null, 0xb54cda56, v11
	v_xor3_b32 v4, v22, v6, v7
	v_mad_u64_u32 v[6:7], null, 0xd2511f53, v1, 0
	v_add_co_u32 v35, null, 0x646e171e, v15
	s_delay_alu instid0(VALU_DEP_3) | instskip(SKIP_1) | instid1(VALU_DEP_4)
	v_mad_u64_u32 v[8:9], null, 0xcd9e8d57, v4, 0
	v_add_co_u32 v36, null, 0x1fd5c5a3, v15
	v_xor3_b32 v1, v23, v7, v5
	v_add_co_u32 v32, null, 0x5384540f, v11
	v_add_co_u32 v34, null, 0xf1bbcdc8, v11
	v_xor3_b32 v5, v24, v9, v3
	s_delay_alu instid0(VALU_DEP_4)
	v_mad_u64_u32 v[3:4], null, 0xcd9e8d57, v1, 0
	s_waitcnt lgkmcnt(0)
	v_cvt_f32_f64_e32 v37, s[16:17]
	s_mul_i32 s14, s11, 3
	v_mad_u64_u32 v[9:10], null, 0xd2511f53, v5, 0
	s_add_i32 s19, s15, s11
	s_add_i32 s14, s15, s14
	s_delay_alu instid0(VALU_DEP_3) | instskip(SKIP_2) | instid1(VALU_DEP_3)
	v_xor3_b32 v4, v25, v4, v8
	v_add_co_u32 v39, null, 0xdb3d7428, v15
	s_lshl_b32 s18, s11, 1
	v_xor3_b32 v6, v26, v10, v6
	s_delay_alu instid0(VALU_DEP_3) | instskip(SKIP_1) | instid1(VALU_DEP_3)
	v_mad_u64_u32 v[1:2], null, 0xd2511f53, v4, 0
	v_dual_mov_b32 v44, v14 :: v_dual_add_nc_u32 v29, 0x96a522ad, v12
	v_mad_u64_u32 v[4:5], null, 0xcd9e8d57, v6, 0
	s_mul_i32 s11, s11, s13
	s_mov_b32 s0, 0
	s_delay_alu instid0(VALU_DEP_3) | instskip(SKIP_3) | instid1(VALU_DEP_2)
	v_xor3_b32 v6, v30, v2, v9
	s_mul_i32 s11, s11, s10
	s_lshl_b32 s1, s8, 1
	s_mul_i32 s12, s8, 3
	v_xor3_b32 v7, v31, v5, v3
	v_mad_u64_u32 v[2:3], null, 0xcd9e8d57, v6, 0
	s_delay_alu instid0(VALU_DEP_2) | instskip(NEXT) | instid1(VALU_DEP_2)
	v_mad_u64_u32 v[5:6], null, 0xd2511f53, v7, 0
	v_xor3_b32 v8, v33, v3, v4
	v_mad_u64_u32 v[3:4], null, s15, s10, v[0:1]
	s_add_i32 s15, s15, s18
	s_delay_alu instid0(VALU_DEP_3) | instskip(NEXT) | instid1(VALU_DEP_3)
	v_xor3_b32 v1, v35, v6, v1
	v_mad_u64_u32 v[6:7], null, 0xd2511f53, v8, 0
	s_delay_alu instid0(VALU_DEP_2) | instskip(NEXT) | instid1(VALU_DEP_4)
	v_mad_u64_u32 v[8:9], null, 0xcd9e8d57, v1, 0
	v_mul_lo_u32 v40, s13, v3
	s_delay_alu instid0(VALU_DEP_3) | instskip(NEXT) | instid1(VALU_DEP_3)
	v_xor3_b32 v1, v36, v7, v5
	v_xor3_b32 v2, v32, v9, v2
	s_delay_alu instid0(VALU_DEP_2) | instskip(SKIP_1) | instid1(VALU_DEP_3)
	v_mad_u64_u32 v[4:5], null, 0xcd9e8d57, v1, 0
	v_mad_u64_u32 v[15:16], null, s19, s10, v[0:1]
	;; [unrolled: 1-line block ×4, first 2 shown]
	s_delay_alu instid0(VALU_DEP_4) | instskip(NEXT) | instid1(VALU_DEP_4)
	v_xor3_b32 v1, v34, v5, v8
	v_mul_lo_u32 v43, s13, v15
	s_delay_alu instid0(VALU_DEP_4) | instskip(NEXT) | instid1(VALU_DEP_3)
	v_xor3_b32 v8, v39, v10, v6
	v_mad_u64_u32 v[5:6], null, s15, s10, v[0:1]
	v_mad_u64_u32 v[6:7], null, 0xd2511f53, v1, 0
	s_delay_alu instid0(VALU_DEP_3) | instskip(SKIP_2) | instid1(VALU_DEP_4)
	v_mad_u64_u32 v[1:2], null, 0xcd9e8d57, v8, 0
	v_mul_lo_u32 v41, s13, v41
	s_lshl_b32 s10, s11, 2
	v_mul_lo_u32 v42, s13, v5
	s_mov_b32 s11, 0
	s_delay_alu instid0(VALU_DEP_4) | instskip(SKIP_1) | instid1(VALU_DEP_4)
	v_mov_b32_e32 v3, v6
	s_mov_b32 s13, 0
	v_xor3_b32 v0, v2, v4, v28
	v_xor3_b32 v2, v7, v9, v29
	s_branch .LBB135_8
.LBB135_7:                              ;   in Loop: Header=BB135_8 Depth=1
	s_or_b32 exec_lo, exec_lo, s14
	v_add_co_u32 v13, vcc_lo, v13, s9
	v_add_co_ci_u32_e32 v14, vcc_lo, 0, v14, vcc_lo
	v_mov_b32_e32 v7, v15
	v_dual_mov_b32 v0, v4 :: v_dual_mov_b32 v1, v5
	s_delay_alu instid0(VALU_DEP_3) | instskip(NEXT) | instid1(VALU_DEP_3)
	v_cmp_le_i64_e32 vcc_lo, s[2:3], v[13:14]
	v_dual_mov_b32 v2, v6 :: v_dual_mov_b32 v3, v7
	s_add_i32 s13, s13, s10
	s_waitcnt_vscnt null, 0x0
	s_barrier
	s_or_b32 s11, vcc_lo, s11
	buffer_gl0_inv
	s_and_not1_b32 exec_lo, exec_lo, s11
	s_cbranch_execz .LBB135_26
.LBB135_8:                              ; =>This Inner Loop Header: Depth=1
	v_add_co_u32 v17, vcc_lo, v17, 1
	s_delay_alu instid0(VALU_DEP_1) | instskip(SKIP_2) | instid1(VALU_DEP_1)
	v_cndmask_b32_e64 v4, 0, 1, vcc_lo
	v_add_co_ci_u32_e32 v18, vcc_lo, 0, v18, vcc_lo
	s_mov_b32 s14, exec_lo
	v_cmp_eq_u32_e32 vcc_lo, 0, v18
	s_delay_alu instid0(VALU_DEP_3) | instskip(NEXT) | instid1(VALU_DEP_1)
	v_cndmask_b32_e32 v4, 0, v4, vcc_lo
	v_add_nc_u32_e32 v38, v4, v38
	s_delay_alu instid0(VALU_DEP_1) | instskip(SKIP_2) | instid1(VALU_DEP_2)
	v_cmp_eq_u32_e32 vcc_lo, 0, v38
	v_mad_u64_u32 v[6:7], null, 0xcd9e8d57, v38, 0
	v_cndmask_b32_e32 v4, 0, v4, vcc_lo
	v_xor3_b32 v9, v7, v11, v18
	s_delay_alu instid0(VALU_DEP_2) | instskip(SKIP_1) | instid1(VALU_DEP_3)
	v_add_nc_u32_e32 v44, v4, v44
	v_mad_u64_u32 v[4:5], null, 0xd2511f53, v17, 0
	v_mad_u64_u32 v[7:8], null, 0xd2511f53, v9, 0
	s_delay_alu instid0(VALU_DEP_2) | instskip(NEXT) | instid1(VALU_DEP_2)
	v_xor_b32_e32 v5, v5, v12
	v_xor3_b32 v8, v19, v8, v4
	s_delay_alu instid0(VALU_DEP_2) | instskip(NEXT) | instid1(VALU_DEP_1)
	v_xor_b32_e32 v5, v44, v5
	v_mad_u64_u32 v[9:10], null, 0xcd9e8d57, v5, 0
	s_delay_alu instid0(VALU_DEP_3) | instskip(NEXT) | instid1(VALU_DEP_2)
	v_mad_u64_u32 v[4:5], null, 0xcd9e8d57, v8, 0
	v_xor3_b32 v6, v20, v10, v6
	s_delay_alu instid0(VALU_DEP_2) | instskip(NEXT) | instid1(VALU_DEP_2)
	v_xor3_b32 v8, v21, v5, v9
	v_mad_u64_u32 v[15:16], null, 0xd2511f53, v6, 0
	s_delay_alu instid0(VALU_DEP_2) | instskip(NEXT) | instid1(VALU_DEP_2)
	v_mad_u64_u32 v[5:6], null, 0xd2511f53, v8, 0
	v_xor3_b32 v9, v22, v16, v7
	s_delay_alu instid0(VALU_DEP_2) | instskip(NEXT) | instid1(VALU_DEP_2)
	v_xor3_b32 v6, v23, v6, v15
	v_mad_u64_u32 v[7:8], null, 0xcd9e8d57, v9, 0
	s_delay_alu instid0(VALU_DEP_1) | instskip(NEXT) | instid1(VALU_DEP_3)
	v_xor3_b32 v4, v24, v8, v4
	v_mad_u64_u32 v[8:9], null, 0xcd9e8d57, v6, 0
	s_delay_alu instid0(VALU_DEP_2) | instskip(NEXT) | instid1(VALU_DEP_2)
	v_mad_u64_u32 v[15:16], null, 0xd2511f53, v4, 0
	v_xor3_b32 v6, v25, v9, v7
	s_delay_alu instid0(VALU_DEP_2) | instskip(NEXT) | instid1(VALU_DEP_2)
	v_xor3_b32 v9, v26, v16, v5
	v_mad_u64_u32 v[4:5], null, 0xd2511f53, v6, 0
	s_delay_alu instid0(VALU_DEP_2) | instskip(NEXT) | instid1(VALU_DEP_2)
	v_mad_u64_u32 v[6:7], null, 0xcd9e8d57, v9, 0
	v_xor3_b32 v5, v30, v5, v15
	s_delay_alu instid0(VALU_DEP_2) | instskip(NEXT) | instid1(VALU_DEP_2)
	;; [unrolled: 6-line block ×6, first 2 shown]
	v_xor3_b32 v4, v6, v7, v28
	v_mov_b32_e32 v6, v10
	v_cmpx_lt_i32_e32 1, v27
	s_xor_b32 s14, exec_lo, s14
	s_cbranch_execnz .LBB135_18
; %bb.9:                                ;   in Loop: Header=BB135_8 Depth=1
	s_and_not1_saveexec_b32 s14, s14
	s_cbranch_execnz .LBB135_23
.LBB135_10:                             ;   in Loop: Header=BB135_8 Depth=1
	s_or_b32 exec_lo, exec_lo, s14
	s_delay_alu instid0(SALU_CYCLE_1)
	s_mov_b32 s14, exec_lo
	v_cmpx_gt_i64_e64 s[4:5], v[13:14]
	s_cbranch_execz .LBB135_12
.LBB135_11:                             ;   in Loop: Header=BB135_8 Depth=1
	v_dual_mov_b32 v10, s0 :: v_dual_add_nc_u32 v7, s13, v40
	v_cvt_f32_u32_e32 v0, v0
	s_delay_alu instid0(VALU_DEP_2) | instskip(SKIP_1) | instid1(VALU_DEP_3)
	v_ashrrev_i32_e32 v8, 31, v7
	v_add_co_u32 v7, vcc_lo, s6, v7
	v_fmaak_f32 v0, 0x2f800000, v0, 0x2f800000
	s_delay_alu instid0(VALU_DEP_3) | instskip(NEXT) | instid1(VALU_DEP_2)
	v_add_co_ci_u32_e32 v8, vcc_lo, s7, v8, vcc_lo
	v_cmp_lt_f32_e32 vcc_lo, v0, v37
	v_cndmask_b32_e64 v9, 0, 1, vcc_lo
	global_store_b64 v[7:8], v[9:10], off
.LBB135_12:                             ;   in Loop: Header=BB135_8 Depth=1
	s_or_b32 exec_lo, exec_lo, s14
	v_add_co_u32 v7, vcc_lo, s8, v13
	v_add_co_ci_u32_e32 v8, vcc_lo, 0, v14, vcc_lo
	s_mov_b32 s14, exec_lo
	s_delay_alu instid0(VALU_DEP_1)
	v_cmpx_gt_i64_e64 s[4:5], v[7:8]
	s_cbranch_execz .LBB135_14
; %bb.13:                               ;   in Loop: Header=BB135_8 Depth=1
	v_add_nc_u32_e32 v0, s13, v43
	v_cvt_f32_u32_e32 v1, v1
	s_delay_alu instid0(VALU_DEP_2) | instskip(NEXT) | instid1(VALU_DEP_2)
	v_ashrrev_i32_e32 v7, 31, v0
	v_fmaak_f32 v8, 0x2f800000, v1, 0x2f800000
	v_add_co_u32 v0, vcc_lo, s6, v0
	s_delay_alu instid0(VALU_DEP_3) | instskip(NEXT) | instid1(VALU_DEP_3)
	v_add_co_ci_u32_e32 v1, vcc_lo, s7, v7, vcc_lo
	v_cmp_lt_f32_e32 vcc_lo, v8, v37
	v_mov_b32_e32 v8, s0
	v_cndmask_b32_e64 v7, 0, 1, vcc_lo
	global_store_b64 v[0:1], v[7:8], off
.LBB135_14:                             ;   in Loop: Header=BB135_8 Depth=1
	s_or_b32 exec_lo, exec_lo, s14
	v_add_co_u32 v0, vcc_lo, s1, v13
	v_add_co_ci_u32_e32 v1, vcc_lo, 0, v14, vcc_lo
	s_mov_b32 s14, exec_lo
	s_delay_alu instid0(VALU_DEP_1)
	v_cmpx_gt_i64_e64 s[4:5], v[0:1]
	s_cbranch_execz .LBB135_16
; %bb.15:                               ;   in Loop: Header=BB135_8 Depth=1
	v_cvt_f32_u32_e32 v1, v2
	v_add_nc_u32_e32 v0, s13, v42
	s_delay_alu instid0(VALU_DEP_2) | instskip(NEXT) | instid1(VALU_DEP_2)
	v_dual_mov_b32 v8, s0 :: v_dual_fmaak_f32 v7, 0x2f800000, v1, 0x2f800000
	v_ashrrev_i32_e32 v2, 31, v0
	v_add_co_u32 v0, vcc_lo, s6, v0
	s_delay_alu instid0(VALU_DEP_2) | instskip(NEXT) | instid1(VALU_DEP_4)
	v_add_co_ci_u32_e32 v1, vcc_lo, s7, v2, vcc_lo
	v_cmp_lt_f32_e32 vcc_lo, v7, v37
	v_cndmask_b32_e64 v7, 0, 1, vcc_lo
	global_store_b64 v[0:1], v[7:8], off
.LBB135_16:                             ;   in Loop: Header=BB135_8 Depth=1
	s_or_b32 exec_lo, exec_lo, s14
	v_add_co_u32 v0, vcc_lo, s12, v13
	v_add_co_ci_u32_e32 v1, vcc_lo, 0, v14, vcc_lo
	s_mov_b32 s14, exec_lo
	s_delay_alu instid0(VALU_DEP_1)
	v_cmpx_gt_i64_e64 s[4:5], v[0:1]
	s_cbranch_execz .LBB135_7
; %bb.17:                               ;   in Loop: Header=BB135_8 Depth=1
	v_add_nc_u32_e32 v0, s13, v41
	v_cvt_f32_u32_e32 v1, v3
	s_delay_alu instid0(VALU_DEP_2) | instskip(NEXT) | instid1(VALU_DEP_2)
	v_ashrrev_i32_e32 v2, 31, v0
	v_fmaak_f32 v3, 0x2f800000, v1, 0x2f800000
	v_add_co_u32 v0, vcc_lo, s6, v0
	s_delay_alu instid0(VALU_DEP_3) | instskip(NEXT) | instid1(VALU_DEP_3)
	v_add_co_ci_u32_e32 v1, vcc_lo, s7, v2, vcc_lo
	v_cmp_lt_f32_e32 vcc_lo, v3, v37
	v_mov_b32_e32 v3, s0
	v_cndmask_b32_e64 v2, 0, 1, vcc_lo
	global_store_b64 v[0:1], v[2:3], off
	s_branch .LBB135_7
.LBB135_18:                             ;   in Loop: Header=BB135_8 Depth=1
	s_mov_b32 s15, exec_lo
	v_cmpx_lt_i32_e32 2, v27
	s_xor_b32 s15, exec_lo, s15
; %bb.19:                               ;   in Loop: Header=BB135_8 Depth=1
	v_dual_mov_b32 v7, v3 :: v_dual_mov_b32 v8, v4
	v_mov_b32_e32 v9, v5
	s_delay_alu instid0(VALU_DEP_2) | instskip(NEXT) | instid1(VALU_DEP_2)
	v_dual_mov_b32 v0, v7 :: v_dual_mov_b32 v1, v8
	v_dual_mov_b32 v2, v9 :: v_dual_mov_b32 v3, v10
; %bb.20:                               ;   in Loop: Header=BB135_8 Depth=1
	s_and_not1_saveexec_b32 s15, s15
; %bb.21:                               ;   in Loop: Header=BB135_8 Depth=1
	s_delay_alu instid0(VALU_DEP_1)
	v_dual_mov_b32 v0, v2 :: v_dual_mov_b32 v1, v3
	v_dual_mov_b32 v2, v4 :: v_dual_mov_b32 v3, v5
; %bb.22:                               ;   in Loop: Header=BB135_8 Depth=1
	s_or_b32 exec_lo, exec_lo, s15
	s_and_not1_saveexec_b32 s14, s14
	s_cbranch_execz .LBB135_10
.LBB135_23:                             ;   in Loop: Header=BB135_8 Depth=1
	s_mov_b32 s15, exec_lo
	v_cmpx_eq_u32_e32 1, v27
; %bb.24:                               ;   in Loop: Header=BB135_8 Depth=1
	v_dual_mov_b32 v0, v1 :: v_dual_mov_b32 v1, v2
	v_dual_mov_b32 v2, v3 :: v_dual_mov_b32 v3, v4
; %bb.25:                               ;   in Loop: Header=BB135_8 Depth=1
	s_or_b32 exec_lo, exec_lo, s15
	s_delay_alu instid0(SALU_CYCLE_1) | instskip(NEXT) | instid1(SALU_CYCLE_1)
	s_or_b32 exec_lo, exec_lo, s14
	s_mov_b32 s14, exec_lo
	v_cmpx_gt_i64_e64 s[4:5], v[13:14]
	s_cbranch_execnz .LBB135_11
	s_branch .LBB135_12
.LBB135_26:
	s_endpgm
.LBB135_27:
                                        ; implicit-def: $sgpr2_sgpr3
	s_branch .LBB135_4
	.section	.rodata,"a",@progbits
	.p2align	6, 0x0
	.amdhsa_kernel _ZN2at6native12_GLOBAL__N_143distribution_elementwise_grid_stride_kernelIfLi4EZNS0_9templates4cuda21uniform_and_transformIlfPNS_17CUDAGeneratorImplEZZZNS4_16bernoulli_kernelIS7_EEvRNS_18TensorIteratorBaseEdT_ENKUlvE_clEvENKUlvE2_clEvEUlfE_EEvSA_T1_T2_EUlP25hiprandStatePhilox4_32_10E0_ZNS1_27distribution_nullary_kernelIlf15HIP_vector_typeIfLj4EES7_SJ_SE_EEvSA_SG_RKT3_T4_EUlifE_EEvlNS_15PhiloxCudaStateESF_SG_
		.amdhsa_group_segment_fixed_size 0
		.amdhsa_private_segment_fixed_size 0
		.amdhsa_kernarg_size 328
		.amdhsa_user_sgpr_count 15
		.amdhsa_user_sgpr_dispatch_ptr 0
		.amdhsa_user_sgpr_queue_ptr 0
		.amdhsa_user_sgpr_kernarg_segment_ptr 1
		.amdhsa_user_sgpr_dispatch_id 0
		.amdhsa_user_sgpr_private_segment_size 0
		.amdhsa_wavefront_size32 1
		.amdhsa_uses_dynamic_stack 0
		.amdhsa_enable_private_segment 0
		.amdhsa_system_sgpr_workgroup_id_x 1
		.amdhsa_system_sgpr_workgroup_id_y 0
		.amdhsa_system_sgpr_workgroup_id_z 0
		.amdhsa_system_sgpr_workgroup_info 0
		.amdhsa_system_vgpr_workitem_id 0
		.amdhsa_next_free_vgpr 45
		.amdhsa_next_free_sgpr 23
		.amdhsa_reserve_vcc 1
		.amdhsa_float_round_mode_32 0
		.amdhsa_float_round_mode_16_64 0
		.amdhsa_float_denorm_mode_32 3
		.amdhsa_float_denorm_mode_16_64 3
		.amdhsa_dx10_clamp 1
		.amdhsa_ieee_mode 1
		.amdhsa_fp16_overflow 0
		.amdhsa_workgroup_processor_mode 1
		.amdhsa_memory_ordered 1
		.amdhsa_forward_progress 0
		.amdhsa_shared_vgpr_count 0
		.amdhsa_exception_fp_ieee_invalid_op 0
		.amdhsa_exception_fp_denorm_src 0
		.amdhsa_exception_fp_ieee_div_zero 0
		.amdhsa_exception_fp_ieee_overflow 0
		.amdhsa_exception_fp_ieee_underflow 0
		.amdhsa_exception_fp_ieee_inexact 0
		.amdhsa_exception_int_div_zero 0
	.end_amdhsa_kernel
	.section	.text._ZN2at6native12_GLOBAL__N_143distribution_elementwise_grid_stride_kernelIfLi4EZNS0_9templates4cuda21uniform_and_transformIlfPNS_17CUDAGeneratorImplEZZZNS4_16bernoulli_kernelIS7_EEvRNS_18TensorIteratorBaseEdT_ENKUlvE_clEvENKUlvE2_clEvEUlfE_EEvSA_T1_T2_EUlP25hiprandStatePhilox4_32_10E0_ZNS1_27distribution_nullary_kernelIlf15HIP_vector_typeIfLj4EES7_SJ_SE_EEvSA_SG_RKT3_T4_EUlifE_EEvlNS_15PhiloxCudaStateESF_SG_,"axG",@progbits,_ZN2at6native12_GLOBAL__N_143distribution_elementwise_grid_stride_kernelIfLi4EZNS0_9templates4cuda21uniform_and_transformIlfPNS_17CUDAGeneratorImplEZZZNS4_16bernoulli_kernelIS7_EEvRNS_18TensorIteratorBaseEdT_ENKUlvE_clEvENKUlvE2_clEvEUlfE_EEvSA_T1_T2_EUlP25hiprandStatePhilox4_32_10E0_ZNS1_27distribution_nullary_kernelIlf15HIP_vector_typeIfLj4EES7_SJ_SE_EEvSA_SG_RKT3_T4_EUlifE_EEvlNS_15PhiloxCudaStateESF_SG_,comdat
.Lfunc_end135:
	.size	_ZN2at6native12_GLOBAL__N_143distribution_elementwise_grid_stride_kernelIfLi4EZNS0_9templates4cuda21uniform_and_transformIlfPNS_17CUDAGeneratorImplEZZZNS4_16bernoulli_kernelIS7_EEvRNS_18TensorIteratorBaseEdT_ENKUlvE_clEvENKUlvE2_clEvEUlfE_EEvSA_T1_T2_EUlP25hiprandStatePhilox4_32_10E0_ZNS1_27distribution_nullary_kernelIlf15HIP_vector_typeIfLj4EES7_SJ_SE_EEvSA_SG_RKT3_T4_EUlifE_EEvlNS_15PhiloxCudaStateESF_SG_, .Lfunc_end135-_ZN2at6native12_GLOBAL__N_143distribution_elementwise_grid_stride_kernelIfLi4EZNS0_9templates4cuda21uniform_and_transformIlfPNS_17CUDAGeneratorImplEZZZNS4_16bernoulli_kernelIS7_EEvRNS_18TensorIteratorBaseEdT_ENKUlvE_clEvENKUlvE2_clEvEUlfE_EEvSA_T1_T2_EUlP25hiprandStatePhilox4_32_10E0_ZNS1_27distribution_nullary_kernelIlf15HIP_vector_typeIfLj4EES7_SJ_SE_EEvSA_SG_RKT3_T4_EUlifE_EEvlNS_15PhiloxCudaStateESF_SG_
                                        ; -- End function
	.section	.AMDGPU.csdata,"",@progbits
; Kernel info:
; codeLenInByte = 2948
; NumSgprs: 25
; NumVgprs: 45
; ScratchSize: 0
; MemoryBound: 0
; FloatMode: 240
; IeeeMode: 1
; LDSByteSize: 0 bytes/workgroup (compile time only)
; SGPRBlocks: 3
; VGPRBlocks: 5
; NumSGPRsForWavesPerEU: 25
; NumVGPRsForWavesPerEU: 45
; Occupancy: 16
; WaveLimiterHint : 0
; COMPUTE_PGM_RSRC2:SCRATCH_EN: 0
; COMPUTE_PGM_RSRC2:USER_SGPR: 15
; COMPUTE_PGM_RSRC2:TRAP_HANDLER: 0
; COMPUTE_PGM_RSRC2:TGID_X_EN: 1
; COMPUTE_PGM_RSRC2:TGID_Y_EN: 0
; COMPUTE_PGM_RSRC2:TGID_Z_EN: 0
; COMPUTE_PGM_RSRC2:TIDIG_COMP_CNT: 0
	.section	.text._ZN2at6native12_GLOBAL__N_143distribution_elementwise_grid_stride_kernelIfLi4EZNS0_9templates4cuda21uniform_and_transformIlfPNS_17CUDAGeneratorImplEZZZNS4_16bernoulli_kernelIS7_EEvRNS_18TensorIteratorBaseEdT_ENKUlvE_clEvENKUlvE2_clEvEUlfE_EEvSA_T1_T2_EUlP25hiprandStatePhilox4_32_10E0_ZNS1_27distribution_nullary_kernelIlf15HIP_vector_typeIfLj4EES7_SJ_SE_EEvSA_SG_RKT3_T4_EUlifE0_EEvlNS_15PhiloxCudaStateESF_SG_,"axG",@progbits,_ZN2at6native12_GLOBAL__N_143distribution_elementwise_grid_stride_kernelIfLi4EZNS0_9templates4cuda21uniform_and_transformIlfPNS_17CUDAGeneratorImplEZZZNS4_16bernoulli_kernelIS7_EEvRNS_18TensorIteratorBaseEdT_ENKUlvE_clEvENKUlvE2_clEvEUlfE_EEvSA_T1_T2_EUlP25hiprandStatePhilox4_32_10E0_ZNS1_27distribution_nullary_kernelIlf15HIP_vector_typeIfLj4EES7_SJ_SE_EEvSA_SG_RKT3_T4_EUlifE0_EEvlNS_15PhiloxCudaStateESF_SG_,comdat
	.globl	_ZN2at6native12_GLOBAL__N_143distribution_elementwise_grid_stride_kernelIfLi4EZNS0_9templates4cuda21uniform_and_transformIlfPNS_17CUDAGeneratorImplEZZZNS4_16bernoulli_kernelIS7_EEvRNS_18TensorIteratorBaseEdT_ENKUlvE_clEvENKUlvE2_clEvEUlfE_EEvSA_T1_T2_EUlP25hiprandStatePhilox4_32_10E0_ZNS1_27distribution_nullary_kernelIlf15HIP_vector_typeIfLj4EES7_SJ_SE_EEvSA_SG_RKT3_T4_EUlifE0_EEvlNS_15PhiloxCudaStateESF_SG_ ; -- Begin function _ZN2at6native12_GLOBAL__N_143distribution_elementwise_grid_stride_kernelIfLi4EZNS0_9templates4cuda21uniform_and_transformIlfPNS_17CUDAGeneratorImplEZZZNS4_16bernoulli_kernelIS7_EEvRNS_18TensorIteratorBaseEdT_ENKUlvE_clEvENKUlvE2_clEvEUlfE_EEvSA_T1_T2_EUlP25hiprandStatePhilox4_32_10E0_ZNS1_27distribution_nullary_kernelIlf15HIP_vector_typeIfLj4EES7_SJ_SE_EEvSA_SG_RKT3_T4_EUlifE0_EEvlNS_15PhiloxCudaStateESF_SG_
	.p2align	8
	.type	_ZN2at6native12_GLOBAL__N_143distribution_elementwise_grid_stride_kernelIfLi4EZNS0_9templates4cuda21uniform_and_transformIlfPNS_17CUDAGeneratorImplEZZZNS4_16bernoulli_kernelIS7_EEvRNS_18TensorIteratorBaseEdT_ENKUlvE_clEvENKUlvE2_clEvEUlfE_EEvSA_T1_T2_EUlP25hiprandStatePhilox4_32_10E0_ZNS1_27distribution_nullary_kernelIlf15HIP_vector_typeIfLj4EES7_SJ_SE_EEvSA_SG_RKT3_T4_EUlifE0_EEvlNS_15PhiloxCudaStateESF_SG_,@function
_ZN2at6native12_GLOBAL__N_143distribution_elementwise_grid_stride_kernelIfLi4EZNS0_9templates4cuda21uniform_and_transformIlfPNS_17CUDAGeneratorImplEZZZNS4_16bernoulli_kernelIS7_EEvRNS_18TensorIteratorBaseEdT_ENKUlvE_clEvENKUlvE2_clEvEUlfE_EEvSA_T1_T2_EUlP25hiprandStatePhilox4_32_10E0_ZNS1_27distribution_nullary_kernelIlf15HIP_vector_typeIfLj4EES7_SJ_SE_EEvSA_SG_RKT3_T4_EUlifE0_EEvlNS_15PhiloxCudaStateESF_SG_: ; @_ZN2at6native12_GLOBAL__N_143distribution_elementwise_grid_stride_kernelIfLi4EZNS0_9templates4cuda21uniform_and_transformIlfPNS_17CUDAGeneratorImplEZZZNS4_16bernoulli_kernelIS7_EEvRNS_18TensorIteratorBaseEdT_ENKUlvE_clEvENKUlvE2_clEvEUlfE_EEvSA_T1_T2_EUlP25hiprandStatePhilox4_32_10E0_ZNS1_27distribution_nullary_kernelIlf15HIP_vector_typeIfLj4EES7_SJ_SE_EEvSA_SG_RKT3_T4_EUlifE0_EEvlNS_15PhiloxCudaStateESF_SG_
; %bb.0:
	s_clause 0x2
	s_load_b64 s[4:5], s[0:1], 0x10
	s_load_b128 s[16:19], s[0:1], 0x0
	s_load_b32 s2, s[0:1], 0x20
	s_waitcnt lgkmcnt(0)
	v_dual_mov_b32 v2, s4 :: v_dual_mov_b32 v3, s5
	v_dual_mov_b32 v11, s18 :: v_dual_mov_b32 v12, s19
	s_bitcmp0_b32 s2, 0
	s_mov_b32 s2, 0
	s_cbranch_scc1 .LBB136_2
; %bb.1:
	v_dual_mov_b32 v1, s4 :: v_dual_mov_b32 v2, s5
	v_dual_mov_b32 v4, s18 :: v_dual_mov_b32 v5, s19
	s_load_b64 s[4:5], s[0:1], 0x18
	flat_load_b64 v[2:3], v[1:2]
	flat_load_b64 v[11:12], v[4:5]
	s_waitcnt vmcnt(1) lgkmcnt(0)
	v_add_co_u32 v2, vcc_lo, v2, s4
	v_add_co_ci_u32_e32 v3, vcc_lo, s5, v3, vcc_lo
.LBB136_2:
	s_clause 0x1
	s_load_b32 s3, s[0:1], 0x154
	s_load_b32 s4, s[0:1], 0x148
	s_waitcnt lgkmcnt(0)
	s_and_b32 s5, s3, 0xffff
	s_add_u32 s6, s16, -1
	s_mul_i32 s24, s4, s5
	s_addc_u32 s3, s17, -1
	s_lshl_b32 s25, s24, 2
	s_cmp_lg_u64 s[2:3], 0
	s_cbranch_scc0 .LBB136_79
; %bb.3:
	v_cvt_f32_ubyte0_e32 v1, 0
	v_cvt_f32_u32_e32 v4, s25
	s_sub_u32 s8, 0, s25
	s_subb_u32 s9, 0, 0
	s_delay_alu instid0(VALU_DEP_1) | instskip(NEXT) | instid1(VALU_DEP_1)
	v_fmamk_f32 v1, v1, 0x4f800000, v4
	v_rcp_f32_e32 v1, v1
	s_waitcnt_depctr 0xfff
	v_mul_f32_e32 v1, 0x5f7ffffc, v1
	s_delay_alu instid0(VALU_DEP_1) | instskip(NEXT) | instid1(VALU_DEP_1)
	v_mul_f32_e32 v4, 0x2f800000, v1
	v_trunc_f32_e32 v4, v4
	s_delay_alu instid0(VALU_DEP_1) | instskip(SKIP_1) | instid1(VALU_DEP_2)
	v_fmamk_f32 v1, v4, 0xcf800000, v1
	v_cvt_u32_f32_e32 v4, v4
	v_cvt_u32_f32_e32 v1, v1
	s_delay_alu instid0(VALU_DEP_2) | instskip(NEXT) | instid1(VALU_DEP_2)
	v_readfirstlane_b32 s2, v4
	v_readfirstlane_b32 s7, v1
	s_delay_alu instid0(VALU_DEP_2) | instskip(NEXT) | instid1(VALU_DEP_1)
	s_mul_i32 s10, s8, s2
	s_mul_hi_u32 s12, s8, s7
	s_mul_i32 s11, s9, s7
	s_add_i32 s10, s12, s10
	s_mul_i32 s13, s8, s7
	s_add_i32 s10, s10, s11
	s_mul_hi_u32 s12, s7, s13
	s_mul_hi_u32 s14, s2, s13
	s_mul_i32 s11, s2, s13
	s_mul_hi_u32 s13, s7, s10
	s_mul_i32 s7, s7, s10
	s_mul_hi_u32 s18, s2, s10
	s_add_u32 s7, s12, s7
	s_addc_u32 s12, 0, s13
	s_add_u32 s7, s7, s11
	s_mul_i32 s10, s2, s10
	s_addc_u32 s7, s12, s14
	s_addc_u32 s11, s18, 0
	s_add_u32 s7, s7, s10
	s_addc_u32 s10, 0, s11
	v_add_co_u32 v1, s7, v1, s7
	s_delay_alu instid0(VALU_DEP_1) | instskip(SKIP_1) | instid1(VALU_DEP_1)
	s_cmp_lg_u32 s7, 0
	s_addc_u32 s2, s2, s10
	v_readfirstlane_b32 s7, v1
	s_mul_i32 s10, s8, s2
	s_delay_alu instid0(VALU_DEP_1)
	s_mul_hi_u32 s11, s8, s7
	s_mul_i32 s9, s9, s7
	s_add_i32 s10, s11, s10
	s_mul_i32 s8, s8, s7
	s_add_i32 s10, s10, s9
	s_mul_hi_u32 s11, s2, s8
	s_mul_i32 s12, s2, s8
	s_mul_hi_u32 s8, s7, s8
	s_mul_hi_u32 s13, s7, s10
	s_mul_i32 s7, s7, s10
	s_mul_hi_u32 s9, s2, s10
	s_add_u32 s7, s8, s7
	s_addc_u32 s8, 0, s13
	s_add_u32 s7, s7, s12
	s_mul_i32 s10, s2, s10
	s_addc_u32 s7, s8, s11
	s_addc_u32 s8, s9, 0
	s_add_u32 s7, s7, s10
	s_addc_u32 s8, 0, s8
	v_add_co_u32 v1, s7, v1, s7
	s_delay_alu instid0(VALU_DEP_1) | instskip(SKIP_2) | instid1(VALU_DEP_1)
	s_cmp_lg_u32 s7, 0
	s_addc_u32 s7, s2, s8
	s_ashr_i32 s8, s3, 31
	v_readfirstlane_b32 s10, v1
	s_add_u32 s2, s6, s8
	s_mov_b32 s9, s8
	s_addc_u32 s3, s3, s8
	s_delay_alu instid0(SALU_CYCLE_1) | instskip(NEXT) | instid1(SALU_CYCLE_1)
	s_xor_b64 s[2:3], s[2:3], s[8:9]
	s_mul_i32 s12, s2, s7
	s_mul_hi_u32 s13, s2, s10
	s_mul_hi_u32 s11, s2, s7
	;; [unrolled: 1-line block ×3, first 2 shown]
	s_mul_i32 s10, s3, s10
	s_add_u32 s12, s13, s12
	s_addc_u32 s11, 0, s11
	s_mul_hi_u32 s14, s3, s7
	s_add_u32 s10, s12, s10
	s_mul_i32 s7, s3, s7
	s_addc_u32 s10, s11, s18
	s_addc_u32 s11, s14, 0
	s_add_u32 s7, s10, s7
	s_addc_u32 s10, 0, s11
	s_mul_i32 s12, s25, s7
	s_add_u32 s11, s7, 1
	v_sub_co_u32 v1, s2, s2, s12
	s_mul_hi_u32 s12, s25, s7
	s_addc_u32 s13, s10, 0
	s_mul_i32 s14, s25, s10
	s_delay_alu instid0(VALU_DEP_1)
	v_sub_co_u32 v4, s18, v1, s25
	s_add_u32 s19, s7, 2
	s_addc_u32 s20, s10, 0
	s_add_i32 s12, s12, s14
	s_cmp_lg_u32 s2, 0
	v_readfirstlane_b32 s2, v4
	s_subb_u32 s3, s3, s12
	s_cmp_lg_u32 s18, 0
	s_subb_u32 s12, s3, 0
	s_delay_alu instid0(VALU_DEP_1) | instskip(SKIP_4) | instid1(SALU_CYCLE_1)
	s_cmp_ge_u32 s2, s25
	s_cselect_b32 s2, -1, 0
	s_cmp_eq_u32 s12, 0
	v_readfirstlane_b32 s12, v1
	s_cselect_b32 s2, s2, -1
	s_cmp_lg_u32 s2, 0
	s_cselect_b32 s2, s19, s11
	s_cselect_b32 s11, s20, s13
	s_cmp_ge_u32 s12, s25
	s_cselect_b32 s12, -1, 0
	s_cmp_eq_u32 s3, 0
	s_cselect_b32 s3, s12, -1
	s_delay_alu instid0(SALU_CYCLE_1) | instskip(SKIP_2) | instid1(SALU_CYCLE_1)
	s_cmp_lg_u32 s3, 0
	s_cselect_b32 s3, s11, s10
	s_cselect_b32 s2, s2, s7
	s_xor_b64 s[2:3], s[2:3], s[8:9]
	s_delay_alu instid0(SALU_CYCLE_1)
	s_sub_u32 s2, s2, s8
	s_subb_u32 s3, s3, s8
	s_cbranch_execnz .LBB136_5
.LBB136_4:
	v_cvt_f32_u32_e32 v1, s25
	s_sub_i32 s3, 0, s25
	s_delay_alu instid0(VALU_DEP_1) | instskip(SKIP_2) | instid1(VALU_DEP_1)
	v_rcp_iflag_f32_e32 v1, v1
	s_waitcnt_depctr 0xfff
	v_mul_f32_e32 v1, 0x4f7ffffe, v1
	v_cvt_u32_f32_e32 v1, v1
	s_delay_alu instid0(VALU_DEP_1) | instskip(NEXT) | instid1(VALU_DEP_1)
	v_readfirstlane_b32 s2, v1
	s_mul_i32 s3, s3, s2
	s_delay_alu instid0(SALU_CYCLE_1) | instskip(NEXT) | instid1(SALU_CYCLE_1)
	s_mul_hi_u32 s3, s2, s3
	s_add_i32 s2, s2, s3
	s_delay_alu instid0(SALU_CYCLE_1) | instskip(NEXT) | instid1(SALU_CYCLE_1)
	s_mul_hi_u32 s2, s6, s2
	s_mul_i32 s3, s2, s25
	s_delay_alu instid0(SALU_CYCLE_1)
	s_sub_i32 s3, s6, s3
	s_add_i32 s6, s2, 1
	s_sub_i32 s7, s3, s25
	s_cmp_ge_u32 s3, s25
	s_cselect_b32 s2, s6, s2
	s_cselect_b32 s3, s7, s3
	s_add_i32 s6, s2, 1
	s_cmp_ge_u32 s3, s25
	s_mov_b32 s3, 0
	s_cselect_b32 s2, s6, s2
.LBB136_5:
	v_mov_b32_e32 v1, 0
	s_add_u32 s2, s2, 1
	s_addc_u32 s3, s3, 0
	s_mul_hi_u32 s6, s24, s2
	s_mul_i32 s3, s24, s3
	v_mad_u64_u32 v[13:14], null, s5, s15, v[0:1]
	s_mul_hi_u32 s4, s4, s5
	s_add_i32 s3, s6, s3
	s_mul_i32 s4, s4, s2
	s_mul_i32 s2, s24, s2
	s_add_i32 s3, s3, s4
	s_mov_b32 s4, exec_lo
	s_lshl_b64 s[2:3], s[2:3], 2
	s_delay_alu instid0(SALU_CYCLE_1)
	v_cmpx_gt_i64_e64 s[2:3], v[13:14]
	s_cbranch_execz .LBB136_78
; %bb.6:
	v_alignbit_b32 v17, v3, v2, 2
	v_mad_u64_u32 v[4:5], null, 0xcd9e8d57, v13, 0
	v_lshrrev_b32_e32 v18, 2, v3
	s_waitcnt vmcnt(0)
	v_dual_mov_b32 v9, v12 :: v_dual_add_nc_u32 v28, 0x8ff34781, v11
	v_mad_u64_u32 v[0:1], null, 0xd2511f53, v17, 0
	v_add_co_u32 v20, null, 0x9e3779b9, v11
	v_xor3_b32 v3, v11, v5, v18
	s_delay_alu instid0(VALU_DEP_4) | instskip(SKIP_2) | instid1(VALU_DEP_4)
	v_add_co_u32 v19, null, 0xbb67ae85, v9
	v_add_co_u32 v21, null, 0x3c6ef372, v11
	v_xor_b32_e32 v1, v1, v12
	v_mad_u64_u32 v[5:6], null, 0xd2511f53, v3, 0
	v_add_co_u32 v22, null, 0x76cf5d0a, v9
	s_delay_alu instid0(VALU_DEP_3) | instskip(SKIP_2) | instid1(VALU_DEP_3)
	v_xor_b32_e32 v1, v1, v14
	v_add_co_u32 v23, null, 0x32370b8f, v9
	v_add_co_u32 v24, null, 0xdaa66d2b, v11
	v_mad_u64_u32 v[7:8], null, 0xcd9e8d57, v1, 0
	v_xor3_b32 v3, v19, v6, v0
	v_dual_mov_b32 v40, v14 :: v_dual_and_b32 v25, 3, v2
	v_add_co_u32 v26, null, 0x78dde6e4, v11
	s_delay_alu instid0(VALU_DEP_3) | instskip(SKIP_3) | instid1(VALU_DEP_3)
	v_mad_u64_u32 v[0:1], null, 0xcd9e8d57, v3, 0
	v_xor3_b32 v6, v20, v8, v4
	v_add_co_u32 v27, null, 0xed9eba14, v9
	v_add_co_u32 v31, null, 0xa9066899, v9
	v_mad_u64_u32 v[3:4], null, 0xd2511f53, v6, 0
	v_xor3_b32 v1, v21, v1, v7
	v_add_co_u32 v32, null, 0x1715609d, v11
	s_clause 0x1
	s_load_b64 s[20:21], s[0:1], 0xf4
	s_load_b128 s[12:15], s[0:1], 0x138
	v_add_co_u32 v33, null, 0xb54cda56, v11
	s_delay_alu instid0(VALU_DEP_4) | instskip(SKIP_2) | instid1(VALU_DEP_3)
	v_xor3_b32 v8, v22, v4, v5
	v_mad_u64_u32 v[4:5], null, 0xd2511f53, v1, 0
	v_add_co_u32 v35, null, 0x646e171e, v9
	v_mad_u64_u32 v[6:7], null, 0xcd9e8d57, v8, 0
	s_load_b256 s[4:11], s[0:1], 0x30
	v_add_co_u32 v30, null, 0x5384540f, v11
	s_delay_alu instid0(VALU_DEP_4) | instskip(SKIP_1) | instid1(VALU_DEP_4)
	v_xor3_b32 v3, v23, v5, v3
	v_add_co_u32 v37, null, 0x1fd5c5a3, v9
	v_xor3_b32 v5, v24, v7, v0
	v_add_co_u32 v34, null, 0xf1bbcdc8, v11
	s_delay_alu instid0(VALU_DEP_4) | instskip(NEXT) | instid1(VALU_DEP_3)
	v_mad_u64_u32 v[0:1], null, 0xcd9e8d57, v3, 0
	v_mad_u64_u32 v[2:3], null, 0xd2511f53, v5, 0
	s_waitcnt lgkmcnt(0)
	v_cvt_f32_f64_e32 v38, s[14:15]
	v_add_co_u32 v36, null, 0xdb3d7428, v9
	s_add_u32 s18, s0, 48
	s_delay_alu instid0(VALU_DEP_4) | instskip(SKIP_1) | instid1(VALU_DEP_4)
	v_xor3_b32 v1, v26, v1, v6
	s_addc_u32 s19, s1, 0
	v_xor3_b32 v7, v27, v3, v4
	s_add_i32 s22, s4, -1
	v_add_nc_u32_e32 v29, 0x96a522ad, v12
	v_mad_u64_u32 v[3:4], null, 0xd2511f53, v1, 0
	s_delay_alu instid0(VALU_DEP_3) | instskip(SKIP_4) | instid1(VALU_DEP_3)
	v_mad_u64_u32 v[5:6], null, 0xcd9e8d57, v7, 0
	s_cmp_gt_u32 s22, 1
	v_mov_b32_e32 v39, v13
	s_cselect_b32 s11, -1, 0
	s_cmp_lg_u32 s4, 0
	v_xor3_b32 v2, v31, v4, v2
	s_cselect_b32 s27, -1, 0
	s_delay_alu instid0(VALU_DEP_3) | instskip(SKIP_3) | instid1(VALU_DEP_2)
	v_xor3_b32 v4, v32, v6, v0
	s_add_u32 s0, s0, 0xf4
	s_addc_u32 s1, s1, 0
	v_mad_u64_u32 v[0:1], null, 0xcd9e8d57, v2, 0
	v_mad_u64_u32 v[6:7], null, 0xd2511f53, v4, 0
	s_min_u32 s14, s22, 15
	s_cmp_gt_u32 s4, 1
	s_mov_b32 s26, 0
	s_cselect_b32 s4, -1, 0
	s_delay_alu instid0(VALU_DEP_2) | instskip(SKIP_1) | instid1(VALU_DEP_2)
	v_xor3_b32 v4, v33, v1, v5
	s_add_i32 s14, s14, 1
	v_xor3_b32 v5, v35, v7, v3
	s_lshl_b32 s28, s24, 1
	s_and_b32 s29, s14, 3
	v_mad_u64_u32 v[1:2], null, 0xd2511f53, v4, 0
	s_delay_alu instid0(VALU_DEP_2) | instskip(SKIP_4) | instid1(VALU_DEP_2)
	v_mad_u64_u32 v[3:4], null, 0xcd9e8d57, v5, 0
	s_cmp_lg_u32 s22, 2
	s_mul_i32 s33, s24, 3
	s_cselect_b32 s30, -1, 0
	s_and_b32 s31, s14, 28
	v_xor3_b32 v2, v37, v2, v6
	s_cmp_lg_u32 s29, 0
	s_delay_alu instid0(VALU_DEP_2) | instskip(SKIP_3) | instid1(VALU_DEP_2)
	v_xor3_b32 v0, v30, v4, v0
	s_cselect_b32 s34, -1, 0
	s_mov_b32 s35, 0
	v_mad_u64_u32 v[4:5], null, 0xcd9e8d57, v2, 0
	v_mad_u64_u32 v[6:7], null, 0xd2511f53, v0, 0
	s_delay_alu instid0(VALU_DEP_2) | instskip(NEXT) | instid1(VALU_DEP_2)
	v_xor3_b32 v0, v34, v5, v3
	v_xor3_b32 v3, v36, v7, v1
	s_delay_alu instid0(VALU_DEP_2) | instskip(NEXT) | instid1(VALU_DEP_2)
	v_mad_u64_u32 v[7:8], null, 0xd2511f53, v0, 0
	v_mad_u64_u32 v[1:2], null, 0xcd9e8d57, v3, 0
	s_delay_alu instid0(VALU_DEP_2) | instskip(NEXT) | instid1(VALU_DEP_2)
	v_mov_b32_e32 v3, v7
	v_xor3_b32 v0, v2, v4, v28
	s_delay_alu instid0(VALU_DEP_4)
	v_xor3_b32 v2, v8, v6, v29
	s_branch .LBB136_9
.LBB136_7:                              ;   in Loop: Header=BB136_9 Depth=1
	v_cvt_f32_u32_e32 v0, v3
	s_delay_alu instid0(VALU_DEP_1) | instskip(NEXT) | instid1(VALU_DEP_1)
	v_dual_mov_b32 v3, s26 :: v_dual_fmaak_f32 v0, 0x2f800000, v0, 0x2f800000
	v_cmp_lt_f32_e32 vcc_lo, v0, v38
	v_cndmask_b32_e64 v2, 0, 1, vcc_lo
	global_store_b64 v1, v[2:3], s[12:13]
.LBB136_8:                              ;   in Loop: Header=BB136_9 Depth=1
	s_or_b32 exec_lo, exec_lo, s36
	v_add_co_u32 v13, vcc_lo, v13, s25
	v_add_co_ci_u32_e32 v14, vcc_lo, 0, v14, vcc_lo
	v_mov_b32_e32 v7, v15
	v_dual_mov_b32 v0, v4 :: v_dual_mov_b32 v1, v5
	s_delay_alu instid0(VALU_DEP_3) | instskip(NEXT) | instid1(VALU_DEP_3)
	v_cmp_le_i64_e32 vcc_lo, s[2:3], v[13:14]
	v_dual_mov_b32 v2, v6 :: v_dual_mov_b32 v3, v7
	s_waitcnt_vscnt null, 0x0
	s_barrier
	buffer_gl0_inv
	s_or_b32 s35, vcc_lo, s35
	s_delay_alu instid0(SALU_CYCLE_1)
	s_and_not1_b32 exec_lo, exec_lo, s35
	s_cbranch_execz .LBB136_78
.LBB136_9:                              ; =>This Loop Header: Depth=1
                                        ;     Child Loop BB136_24 Depth 2
                                        ;     Child Loop BB136_29 Depth 2
	;; [unrolled: 1-line block ×8, first 2 shown]
	v_add_co_u32 v17, vcc_lo, v17, 1
	s_delay_alu instid0(VALU_DEP_1) | instskip(SKIP_2) | instid1(VALU_DEP_1)
	v_cndmask_b32_e64 v4, 0, 1, vcc_lo
	v_add_co_ci_u32_e32 v18, vcc_lo, 0, v18, vcc_lo
	s_mov_b32 s14, exec_lo
	v_cmp_eq_u32_e32 vcc_lo, 0, v18
	s_delay_alu instid0(VALU_DEP_3) | instskip(NEXT) | instid1(VALU_DEP_1)
	v_cndmask_b32_e32 v4, 0, v4, vcc_lo
	v_add_nc_u32_e32 v39, v4, v39
	s_delay_alu instid0(VALU_DEP_1) | instskip(SKIP_2) | instid1(VALU_DEP_2)
	v_cmp_eq_u32_e32 vcc_lo, 0, v39
	v_cndmask_b32_e32 v4, 0, v4, vcc_lo
	v_mad_u64_u32 v[6:7], null, 0xcd9e8d57, v39, 0
	v_add_nc_u32_e32 v40, v4, v40
	v_mad_u64_u32 v[4:5], null, 0xd2511f53, v17, 0
	s_delay_alu instid0(VALU_DEP_3) | instskip(NEXT) | instid1(VALU_DEP_2)
	v_xor3_b32 v9, v7, v11, v18
	v_xor_b32_e32 v5, v5, v12
	s_delay_alu instid0(VALU_DEP_2) | instskip(NEXT) | instid1(VALU_DEP_2)
	v_mad_u64_u32 v[7:8], null, 0xd2511f53, v9, 0
	v_xor_b32_e32 v5, v40, v5
	s_delay_alu instid0(VALU_DEP_2) | instskip(NEXT) | instid1(VALU_DEP_2)
	v_xor3_b32 v8, v19, v8, v4
	v_mad_u64_u32 v[9:10], null, 0xcd9e8d57, v5, 0
	s_delay_alu instid0(VALU_DEP_2) | instskip(NEXT) | instid1(VALU_DEP_2)
	v_mad_u64_u32 v[4:5], null, 0xcd9e8d57, v8, 0
	v_xor3_b32 v6, v20, v10, v6
	s_delay_alu instid0(VALU_DEP_2) | instskip(NEXT) | instid1(VALU_DEP_2)
	v_xor3_b32 v8, v21, v5, v9
	v_mad_u64_u32 v[15:16], null, 0xd2511f53, v6, 0
	s_delay_alu instid0(VALU_DEP_2) | instskip(NEXT) | instid1(VALU_DEP_2)
	v_mad_u64_u32 v[5:6], null, 0xd2511f53, v8, 0
	v_xor3_b32 v9, v22, v16, v7
	s_delay_alu instid0(VALU_DEP_2) | instskip(NEXT) | instid1(VALU_DEP_2)
	v_xor3_b32 v6, v23, v6, v15
	v_mad_u64_u32 v[7:8], null, 0xcd9e8d57, v9, 0
	s_delay_alu instid0(VALU_DEP_1) | instskip(NEXT) | instid1(VALU_DEP_3)
	v_xor3_b32 v4, v24, v8, v4
	v_mad_u64_u32 v[8:9], null, 0xcd9e8d57, v6, 0
	s_delay_alu instid0(VALU_DEP_2) | instskip(NEXT) | instid1(VALU_DEP_2)
	v_mad_u64_u32 v[15:16], null, 0xd2511f53, v4, 0
	v_xor3_b32 v6, v26, v9, v7
	s_delay_alu instid0(VALU_DEP_2) | instskip(NEXT) | instid1(VALU_DEP_2)
	v_xor3_b32 v9, v27, v16, v5
	v_mad_u64_u32 v[4:5], null, 0xd2511f53, v6, 0
	s_delay_alu instid0(VALU_DEP_2) | instskip(NEXT) | instid1(VALU_DEP_2)
	v_mad_u64_u32 v[6:7], null, 0xcd9e8d57, v9, 0
	v_xor3_b32 v5, v31, v5, v15
	s_delay_alu instid0(VALU_DEP_2) | instskip(NEXT) | instid1(VALU_DEP_2)
	;; [unrolled: 6-line block ×6, first 2 shown]
	v_xor3_b32 v4, v6, v7, v28
	v_mov_b32_e32 v6, v10
	v_cmpx_lt_i32_e32 1, v25
	s_xor_b32 s14, exec_lo, s14
	s_cbranch_execnz .LBB136_12
; %bb.10:                               ;   in Loop: Header=BB136_9 Depth=1
	s_and_not1_saveexec_b32 s14, s14
	s_cbranch_execnz .LBB136_17
.LBB136_11:                             ;   in Loop: Header=BB136_9 Depth=1
	s_or_b32 exec_lo, exec_lo, s14
	s_delay_alu instid0(SALU_CYCLE_1)
	s_mov_b32 s36, exec_lo
	v_cmpx_gt_i64_e64 s[16:17], v[13:14]
	s_cbranch_execnz .LBB136_20
	s_branch .LBB136_34
.LBB136_12:                             ;   in Loop: Header=BB136_9 Depth=1
	s_mov_b32 s15, exec_lo
	v_cmpx_lt_i32_e32 2, v25
	s_xor_b32 s15, exec_lo, s15
; %bb.13:                               ;   in Loop: Header=BB136_9 Depth=1
	v_dual_mov_b32 v7, v3 :: v_dual_mov_b32 v8, v4
	v_mov_b32_e32 v9, v5
	s_delay_alu instid0(VALU_DEP_2) | instskip(NEXT) | instid1(VALU_DEP_2)
	v_dual_mov_b32 v0, v7 :: v_dual_mov_b32 v1, v8
	v_dual_mov_b32 v2, v9 :: v_dual_mov_b32 v3, v10
; %bb.14:                               ;   in Loop: Header=BB136_9 Depth=1
	s_and_not1_saveexec_b32 s15, s15
; %bb.15:                               ;   in Loop: Header=BB136_9 Depth=1
	s_delay_alu instid0(VALU_DEP_1)
	v_dual_mov_b32 v0, v2 :: v_dual_mov_b32 v1, v3
	v_dual_mov_b32 v2, v4 :: v_dual_mov_b32 v3, v5
; %bb.16:                               ;   in Loop: Header=BB136_9 Depth=1
	s_or_b32 exec_lo, exec_lo, s15
	s_and_not1_saveexec_b32 s14, s14
	s_cbranch_execz .LBB136_11
.LBB136_17:                             ;   in Loop: Header=BB136_9 Depth=1
	s_mov_b32 s15, exec_lo
	v_cmpx_eq_u32_e32 1, v25
; %bb.18:                               ;   in Loop: Header=BB136_9 Depth=1
	v_dual_mov_b32 v0, v1 :: v_dual_mov_b32 v1, v2
	v_dual_mov_b32 v2, v3 :: v_dual_mov_b32 v3, v4
; %bb.19:                               ;   in Loop: Header=BB136_9 Depth=1
	s_or_b32 exec_lo, exec_lo, s15
	s_delay_alu instid0(SALU_CYCLE_1) | instskip(NEXT) | instid1(SALU_CYCLE_1)
	s_or_b32 exec_lo, exec_lo, s14
	s_mov_b32 s36, exec_lo
	v_cmpx_gt_i64_e64 s[16:17], v[13:14]
	s_cbranch_execz .LBB136_34
.LBB136_20:                             ;   in Loop: Header=BB136_9 Depth=1
	s_and_not1_b32 vcc_lo, exec_lo, s11
	s_cbranch_vccnz .LBB136_26
; %bb.21:                               ;   in Loop: Header=BB136_9 Depth=1
	v_mov_b32_e32 v7, 0
	s_and_not1_b32 vcc_lo, exec_lo, s27
	s_cbranch_vccnz .LBB136_30
; %bb.22:                               ;   in Loop: Header=BB136_9 Depth=1
	s_and_not1_b32 vcc_lo, exec_lo, s30
	s_mov_b32 s14, 0
	s_cbranch_vccnz .LBB136_27
; %bb.23:                               ;   in Loop: Header=BB136_9 Depth=1
	v_dual_mov_b32 v7, 0 :: v_dual_mov_b32 v8, v13
	s_mov_b32 s37, 0
	s_mov_b64 s[14:15], s[18:19]
	s_mov_b64 s[22:23], s[0:1]
.LBB136_24:                             ;   Parent Loop BB136_9 Depth=1
                                        ; =>  This Inner Loop Header: Depth=2
	s_clause 0x1
	s_load_b256 s[40:47], s[14:15], 0x4
	s_load_b128 s[48:51], s[14:15], 0x24
	s_load_b128 s[52:55], s[22:23], 0x0
	s_add_u32 s14, s14, 48
	s_addc_u32 s15, s15, 0
	s_add_i32 s37, s37, 4
	s_add_u32 s22, s22, 16
	s_addc_u32 s23, s23, 0
	s_cmp_lg_u32 s31, s37
	s_waitcnt lgkmcnt(0)
	v_mul_hi_u32 v9, s41, v8
	s_delay_alu instid0(VALU_DEP_1) | instskip(NEXT) | instid1(VALU_DEP_1)
	v_add_nc_u32_e32 v9, v8, v9
	v_lshrrev_b32_e32 v9, s42, v9
	s_delay_alu instid0(VALU_DEP_1) | instskip(SKIP_1) | instid1(VALU_DEP_2)
	v_mul_hi_u32 v10, s44, v9
	v_mul_lo_u32 v42, v9, s40
	v_add_nc_u32_e32 v10, v9, v10
	s_delay_alu instid0(VALU_DEP_2) | instskip(NEXT) | instid1(VALU_DEP_2)
	v_sub_nc_u32_e32 v42, v8, v42
	v_lshrrev_b32_e32 v10, s45, v10
	s_delay_alu instid0(VALU_DEP_2) | instskip(NEXT) | instid1(VALU_DEP_2)
	v_mul_lo_u32 v42, v42, s52
	v_mul_hi_u32 v16, s47, v10
	v_mul_lo_u32 v43, v10, s43
	s_delay_alu instid0(VALU_DEP_2) | instskip(NEXT) | instid1(VALU_DEP_2)
	v_add_nc_u32_e32 v16, v10, v16
	v_sub_nc_u32_e32 v9, v9, v43
	s_delay_alu instid0(VALU_DEP_2) | instskip(NEXT) | instid1(VALU_DEP_2)
	v_lshrrev_b32_e32 v16, s48, v16
	v_mul_lo_u32 v9, v9, s53
	s_delay_alu instid0(VALU_DEP_2) | instskip(NEXT) | instid1(VALU_DEP_2)
	v_mul_hi_u32 v41, s50, v16
	v_add3_u32 v7, v42, v7, v9
	s_delay_alu instid0(VALU_DEP_2) | instskip(NEXT) | instid1(VALU_DEP_1)
	v_add_nc_u32_e32 v41, v16, v41
	v_lshrrev_b32_e32 v8, s51, v41
	v_mul_lo_u32 v41, v16, s46
	s_delay_alu instid0(VALU_DEP_2) | instskip(NEXT) | instid1(VALU_DEP_2)
	v_mul_lo_u32 v44, v8, s49
	v_sub_nc_u32_e32 v10, v10, v41
	s_delay_alu instid0(VALU_DEP_2) | instskip(NEXT) | instid1(VALU_DEP_2)
	v_sub_nc_u32_e32 v16, v16, v44
	v_mul_lo_u32 v10, v10, s54
	s_delay_alu instid0(VALU_DEP_2) | instskip(NEXT) | instid1(VALU_DEP_1)
	v_mul_lo_u32 v16, v16, s55
	v_add3_u32 v7, v10, v7, v16
	s_cbranch_scc1 .LBB136_24
; %bb.25:                               ;   in Loop: Header=BB136_9 Depth=1
	s_mov_b32 s14, s31
	s_and_not1_b32 vcc_lo, exec_lo, s34
	s_cbranch_vccz .LBB136_28
	s_branch .LBB136_30
.LBB136_26:                             ;   in Loop: Header=BB136_9 Depth=1
                                        ; implicit-def: $vgpr7
	s_branch .LBB136_31
.LBB136_27:                             ;   in Loop: Header=BB136_9 Depth=1
	v_mov_b32_e32 v8, v13
	s_and_not1_b32 vcc_lo, exec_lo, s34
	s_cbranch_vccnz .LBB136_30
.LBB136_28:                             ;   in Loop: Header=BB136_9 Depth=1
	s_lshl_b32 s15, s14, 2
	s_mul_i32 s22, s14, 12
	s_add_u32 s14, s0, s15
	s_addc_u32 s15, s1, 0
	s_add_u32 s22, s18, s22
	s_addc_u32 s23, s19, 0
	s_mov_b32 s37, s29
	.p2align	6
.LBB136_29:                             ;   Parent Loop BB136_9 Depth=1
                                        ; =>  This Inner Loop Header: Depth=2
	s_clause 0x1
	s_load_b64 s[38:39], s[22:23], 0x4
	s_load_b32 s40, s[22:23], 0xc
	s_add_u32 s22, s22, 12
	s_addc_u32 s23, s23, 0
	s_waitcnt lgkmcnt(0)
	v_mul_hi_u32 v9, s39, v8
	s_load_b32 s39, s[14:15], 0x0
	s_add_u32 s14, s14, 4
	s_addc_u32 s15, s15, 0
	s_add_i32 s37, s37, -1
	s_delay_alu instid0(SALU_CYCLE_1) | instskip(NEXT) | instid1(VALU_DEP_1)
	s_cmp_lg_u32 s37, 0
	v_add_nc_u32_e32 v9, v8, v9
	s_delay_alu instid0(VALU_DEP_1) | instskip(NEXT) | instid1(VALU_DEP_1)
	v_lshrrev_b32_e32 v16, s40, v9
	v_mul_lo_u32 v9, v16, s38
	s_delay_alu instid0(VALU_DEP_1) | instskip(SKIP_1) | instid1(VALU_DEP_1)
	v_sub_nc_u32_e32 v8, v8, v9
	s_waitcnt lgkmcnt(0)
	v_mad_u64_u32 v[9:10], null, v8, s39, v[7:8]
	s_delay_alu instid0(VALU_DEP_1)
	v_dual_mov_b32 v8, v16 :: v_dual_mov_b32 v7, v9
	s_cbranch_scc1 .LBB136_29
.LBB136_30:                             ;   in Loop: Header=BB136_9 Depth=1
	s_cbranch_execnz .LBB136_33
.LBB136_31:                             ;   in Loop: Header=BB136_9 Depth=1
	v_mul_hi_u32 v7, v13, s6
	s_and_not1_b32 vcc_lo, exec_lo, s4
	s_delay_alu instid0(VALU_DEP_1) | instskip(NEXT) | instid1(VALU_DEP_1)
	v_add_nc_u32_e32 v7, v7, v13
	v_lshrrev_b32_e32 v8, s7, v7
	s_delay_alu instid0(VALU_DEP_1) | instskip(NEXT) | instid1(VALU_DEP_1)
	v_mul_lo_u32 v7, v8, s5
	v_sub_nc_u32_e32 v7, v13, v7
	s_delay_alu instid0(VALU_DEP_1)
	v_mul_lo_u32 v7, v7, s20
	s_cbranch_vccnz .LBB136_33
; %bb.32:                               ;   in Loop: Header=BB136_9 Depth=1
	v_mul_hi_u32 v9, s9, v8
	s_delay_alu instid0(VALU_DEP_1) | instskip(NEXT) | instid1(VALU_DEP_1)
	v_add_nc_u32_e32 v9, v8, v9
	v_lshrrev_b32_e32 v9, s10, v9
	s_delay_alu instid0(VALU_DEP_1) | instskip(NEXT) | instid1(VALU_DEP_1)
	v_mul_lo_u32 v9, v9, s8
	v_sub_nc_u32_e32 v10, v8, v9
	s_delay_alu instid0(VALU_DEP_1) | instskip(NEXT) | instid1(VALU_DEP_1)
	v_mad_u64_u32 v[8:9], null, v10, s21, v[7:8]
	v_mov_b32_e32 v7, v8
.LBB136_33:                             ;   in Loop: Header=BB136_9 Depth=1
	v_cvt_f32_u32_e32 v0, v0
	s_delay_alu instid0(VALU_DEP_1) | instskip(NEXT) | instid1(VALU_DEP_1)
	v_dual_mov_b32 v9, s26 :: v_dual_fmaak_f32 v0, 0x2f800000, v0, 0x2f800000
	v_cmp_lt_f32_e32 vcc_lo, v0, v38
	v_cndmask_b32_e64 v8, 0, 1, vcc_lo
	global_store_b64 v7, v[8:9], s[12:13]
.LBB136_34:                             ;   in Loop: Header=BB136_9 Depth=1
	s_or_b32 exec_lo, exec_lo, s36
	v_add_co_u32 v7, vcc_lo, v13, s24
	v_add_co_ci_u32_e32 v8, vcc_lo, 0, v14, vcc_lo
	s_mov_b32 s36, exec_lo
	s_delay_alu instid0(VALU_DEP_1)
	v_cmpx_gt_i64_e64 s[16:17], v[7:8]
	s_cbranch_execz .LBB136_49
; %bb.35:                               ;   in Loop: Header=BB136_9 Depth=1
	s_and_not1_b32 vcc_lo, exec_lo, s11
	s_cbranch_vccnz .LBB136_41
; %bb.36:                               ;   in Loop: Header=BB136_9 Depth=1
	v_mov_b32_e32 v0, 0
	s_and_not1_b32 vcc_lo, exec_lo, s27
	s_cbranch_vccnz .LBB136_45
; %bb.37:                               ;   in Loop: Header=BB136_9 Depth=1
	s_and_not1_b32 vcc_lo, exec_lo, s30
	s_mov_b32 s14, 0
	s_cbranch_vccnz .LBB136_42
; %bb.38:                               ;   in Loop: Header=BB136_9 Depth=1
	v_mov_b32_e32 v0, 0
	v_mov_b32_e32 v8, v7
	s_mov_b32 s37, 0
	s_mov_b64 s[14:15], s[18:19]
	s_mov_b64 s[22:23], s[0:1]
.LBB136_39:                             ;   Parent Loop BB136_9 Depth=1
                                        ; =>  This Inner Loop Header: Depth=2
	s_clause 0x1
	s_load_b256 s[40:47], s[14:15], 0x4
	s_load_b128 s[48:51], s[14:15], 0x24
	s_load_b128 s[52:55], s[22:23], 0x0
	s_add_u32 s14, s14, 48
	s_addc_u32 s15, s15, 0
	s_add_i32 s37, s37, 4
	s_add_u32 s22, s22, 16
	s_addc_u32 s23, s23, 0
	s_cmp_eq_u32 s31, s37
	s_waitcnt lgkmcnt(0)
	v_mul_hi_u32 v9, s41, v8
	s_delay_alu instid0(VALU_DEP_1) | instskip(NEXT) | instid1(VALU_DEP_1)
	v_add_nc_u32_e32 v9, v8, v9
	v_lshrrev_b32_e32 v9, s42, v9
	s_delay_alu instid0(VALU_DEP_1) | instskip(SKIP_1) | instid1(VALU_DEP_2)
	v_mul_hi_u32 v10, s44, v9
	v_mul_lo_u32 v42, v9, s40
	v_add_nc_u32_e32 v10, v9, v10
	s_delay_alu instid0(VALU_DEP_2) | instskip(NEXT) | instid1(VALU_DEP_2)
	v_sub_nc_u32_e32 v42, v8, v42
	v_lshrrev_b32_e32 v10, s45, v10
	s_delay_alu instid0(VALU_DEP_2) | instskip(NEXT) | instid1(VALU_DEP_2)
	v_mul_lo_u32 v42, v42, s52
	v_mul_hi_u32 v16, s47, v10
	v_mul_lo_u32 v43, v10, s43
	s_delay_alu instid0(VALU_DEP_2) | instskip(NEXT) | instid1(VALU_DEP_2)
	v_add_nc_u32_e32 v16, v10, v16
	v_sub_nc_u32_e32 v9, v9, v43
	s_delay_alu instid0(VALU_DEP_2) | instskip(NEXT) | instid1(VALU_DEP_2)
	v_lshrrev_b32_e32 v16, s48, v16
	v_mul_lo_u32 v9, v9, s53
	s_delay_alu instid0(VALU_DEP_2) | instskip(NEXT) | instid1(VALU_DEP_2)
	v_mul_hi_u32 v41, s50, v16
	v_add3_u32 v0, v42, v0, v9
	s_delay_alu instid0(VALU_DEP_2) | instskip(NEXT) | instid1(VALU_DEP_1)
	v_add_nc_u32_e32 v41, v16, v41
	v_lshrrev_b32_e32 v8, s51, v41
	v_mul_lo_u32 v41, v16, s46
	s_delay_alu instid0(VALU_DEP_2) | instskip(NEXT) | instid1(VALU_DEP_2)
	v_mul_lo_u32 v44, v8, s49
	v_sub_nc_u32_e32 v10, v10, v41
	s_delay_alu instid0(VALU_DEP_2) | instskip(NEXT) | instid1(VALU_DEP_2)
	v_sub_nc_u32_e32 v16, v16, v44
	v_mul_lo_u32 v10, v10, s54
	s_delay_alu instid0(VALU_DEP_2) | instskip(NEXT) | instid1(VALU_DEP_1)
	v_mul_lo_u32 v16, v16, s55
	v_add3_u32 v0, v10, v0, v16
	s_cbranch_scc0 .LBB136_39
; %bb.40:                               ;   in Loop: Header=BB136_9 Depth=1
	s_mov_b32 s14, s31
	s_and_not1_b32 vcc_lo, exec_lo, s34
	s_cbranch_vccz .LBB136_43
	s_branch .LBB136_45
.LBB136_41:                             ;   in Loop: Header=BB136_9 Depth=1
                                        ; implicit-def: $vgpr0
	s_branch .LBB136_46
.LBB136_42:                             ;   in Loop: Header=BB136_9 Depth=1
	v_mov_b32_e32 v8, v7
	s_and_not1_b32 vcc_lo, exec_lo, s34
	s_cbranch_vccnz .LBB136_45
.LBB136_43:                             ;   in Loop: Header=BB136_9 Depth=1
	s_lshl_b32 s15, s14, 2
	s_mul_i32 s22, s14, 12
	s_add_u32 s14, s0, s15
	s_addc_u32 s15, s1, 0
	s_add_u32 s22, s18, s22
	s_addc_u32 s23, s19, 0
	s_mov_b32 s37, s29
	.p2align	6
.LBB136_44:                             ;   Parent Loop BB136_9 Depth=1
                                        ; =>  This Inner Loop Header: Depth=2
	s_clause 0x1
	s_load_b64 s[38:39], s[22:23], 0x4
	s_load_b32 s40, s[22:23], 0xc
	s_add_u32 s22, s22, 12
	s_addc_u32 s23, s23, 0
	s_waitcnt lgkmcnt(0)
	v_mul_hi_u32 v9, s39, v8
	s_load_b32 s39, s[14:15], 0x0
	s_add_u32 s14, s14, 4
	s_addc_u32 s15, s15, 0
	s_add_i32 s37, s37, -1
	s_delay_alu instid0(SALU_CYCLE_1) | instskip(NEXT) | instid1(VALU_DEP_1)
	s_cmp_lg_u32 s37, 0
	v_add_nc_u32_e32 v9, v8, v9
	s_delay_alu instid0(VALU_DEP_1) | instskip(NEXT) | instid1(VALU_DEP_1)
	v_lshrrev_b32_e32 v16, s40, v9
	v_mul_lo_u32 v9, v16, s38
	s_delay_alu instid0(VALU_DEP_1) | instskip(SKIP_1) | instid1(VALU_DEP_1)
	v_sub_nc_u32_e32 v8, v8, v9
	s_waitcnt lgkmcnt(0)
	v_mad_u64_u32 v[9:10], null, v8, s39, v[0:1]
	v_mov_b32_e32 v8, v16
	s_delay_alu instid0(VALU_DEP_2)
	v_mov_b32_e32 v0, v9
	s_cbranch_scc1 .LBB136_44
.LBB136_45:                             ;   in Loop: Header=BB136_9 Depth=1
	s_cbranch_execnz .LBB136_48
.LBB136_46:                             ;   in Loop: Header=BB136_9 Depth=1
	v_mul_hi_u32 v0, v7, s6
	s_and_not1_b32 vcc_lo, exec_lo, s4
	s_delay_alu instid0(VALU_DEP_1) | instskip(NEXT) | instid1(VALU_DEP_1)
	v_add_nc_u32_e32 v0, v0, v7
	v_lshrrev_b32_e32 v8, s7, v0
	s_delay_alu instid0(VALU_DEP_1) | instskip(NEXT) | instid1(VALU_DEP_1)
	v_mul_lo_u32 v0, v8, s5
	v_sub_nc_u32_e32 v0, v7, v0
	s_delay_alu instid0(VALU_DEP_1)
	v_mul_lo_u32 v0, v0, s20
	s_cbranch_vccnz .LBB136_48
; %bb.47:                               ;   in Loop: Header=BB136_9 Depth=1
	v_mul_hi_u32 v7, s9, v8
	s_delay_alu instid0(VALU_DEP_1) | instskip(NEXT) | instid1(VALU_DEP_1)
	v_add_nc_u32_e32 v7, v8, v7
	v_lshrrev_b32_e32 v7, s10, v7
	s_delay_alu instid0(VALU_DEP_1) | instskip(NEXT) | instid1(VALU_DEP_1)
	v_mul_lo_u32 v7, v7, s8
	v_sub_nc_u32_e32 v9, v8, v7
	s_delay_alu instid0(VALU_DEP_1) | instskip(NEXT) | instid1(VALU_DEP_1)
	v_mad_u64_u32 v[7:8], null, v9, s21, v[0:1]
	v_mov_b32_e32 v0, v7
.LBB136_48:                             ;   in Loop: Header=BB136_9 Depth=1
	v_cvt_f32_u32_e32 v1, v1
	s_delay_alu instid0(VALU_DEP_1) | instskip(NEXT) | instid1(VALU_DEP_1)
	v_dual_mov_b32 v8, s26 :: v_dual_fmaak_f32 v1, 0x2f800000, v1, 0x2f800000
	v_cmp_lt_f32_e32 vcc_lo, v1, v38
	v_cndmask_b32_e64 v7, 0, 1, vcc_lo
	global_store_b64 v0, v[7:8], s[12:13]
.LBB136_49:                             ;   in Loop: Header=BB136_9 Depth=1
	s_or_b32 exec_lo, exec_lo, s36
	v_add_co_u32 v0, vcc_lo, v13, s28
	v_add_co_ci_u32_e32 v1, vcc_lo, 0, v14, vcc_lo
	s_mov_b32 s36, exec_lo
	s_delay_alu instid0(VALU_DEP_1)
	v_cmpx_gt_i64_e64 s[16:17], v[0:1]
	s_cbranch_execz .LBB136_64
; %bb.50:                               ;   in Loop: Header=BB136_9 Depth=1
	s_and_not1_b32 vcc_lo, exec_lo, s11
	s_cbranch_vccnz .LBB136_56
; %bb.51:                               ;   in Loop: Header=BB136_9 Depth=1
	v_mov_b32_e32 v1, 0
	s_and_not1_b32 vcc_lo, exec_lo, s27
	s_cbranch_vccnz .LBB136_60
; %bb.52:                               ;   in Loop: Header=BB136_9 Depth=1
	s_and_not1_b32 vcc_lo, exec_lo, s30
	s_mov_b32 s14, 0
	s_cbranch_vccnz .LBB136_57
; %bb.53:                               ;   in Loop: Header=BB136_9 Depth=1
	v_mov_b32_e32 v1, 0
	v_mov_b32_e32 v7, v0
	s_mov_b32 s37, 0
	s_mov_b64 s[14:15], s[18:19]
	s_mov_b64 s[22:23], s[0:1]
.LBB136_54:                             ;   Parent Loop BB136_9 Depth=1
                                        ; =>  This Inner Loop Header: Depth=2
	s_clause 0x1
	s_load_b256 s[40:47], s[14:15], 0x4
	s_load_b128 s[48:51], s[14:15], 0x24
	s_load_b128 s[52:55], s[22:23], 0x0
	s_add_u32 s14, s14, 48
	s_addc_u32 s15, s15, 0
	s_add_i32 s37, s37, 4
	s_add_u32 s22, s22, 16
	s_addc_u32 s23, s23, 0
	s_cmp_eq_u32 s31, s37
	s_waitcnt lgkmcnt(0)
	v_mul_hi_u32 v8, s41, v7
	s_delay_alu instid0(VALU_DEP_1) | instskip(NEXT) | instid1(VALU_DEP_1)
	v_add_nc_u32_e32 v8, v7, v8
	v_lshrrev_b32_e32 v8, s42, v8
	s_delay_alu instid0(VALU_DEP_1) | instskip(SKIP_1) | instid1(VALU_DEP_2)
	v_mul_hi_u32 v9, s44, v8
	v_mul_lo_u32 v41, v8, s40
	v_add_nc_u32_e32 v9, v8, v9
	s_delay_alu instid0(VALU_DEP_2) | instskip(NEXT) | instid1(VALU_DEP_2)
	v_sub_nc_u32_e32 v41, v7, v41
	v_lshrrev_b32_e32 v9, s45, v9
	s_delay_alu instid0(VALU_DEP_2) | instskip(NEXT) | instid1(VALU_DEP_2)
	v_mul_lo_u32 v41, v41, s52
	v_mul_hi_u32 v10, s47, v9
	v_mul_lo_u32 v42, v9, s43
	s_delay_alu instid0(VALU_DEP_2) | instskip(NEXT) | instid1(VALU_DEP_2)
	v_add_nc_u32_e32 v10, v9, v10
	v_sub_nc_u32_e32 v8, v8, v42
	s_delay_alu instid0(VALU_DEP_2) | instskip(NEXT) | instid1(VALU_DEP_2)
	v_lshrrev_b32_e32 v10, s48, v10
	v_mul_lo_u32 v8, v8, s53
	s_delay_alu instid0(VALU_DEP_2) | instskip(NEXT) | instid1(VALU_DEP_2)
	v_mul_hi_u32 v16, s50, v10
	v_add3_u32 v1, v41, v1, v8
	s_delay_alu instid0(VALU_DEP_2) | instskip(NEXT) | instid1(VALU_DEP_1)
	v_add_nc_u32_e32 v16, v10, v16
	v_lshrrev_b32_e32 v7, s51, v16
	v_mul_lo_u32 v16, v10, s46
	s_delay_alu instid0(VALU_DEP_2) | instskip(NEXT) | instid1(VALU_DEP_2)
	v_mul_lo_u32 v43, v7, s49
	v_sub_nc_u32_e32 v9, v9, v16
	s_delay_alu instid0(VALU_DEP_2) | instskip(NEXT) | instid1(VALU_DEP_2)
	v_sub_nc_u32_e32 v10, v10, v43
	v_mul_lo_u32 v9, v9, s54
	s_delay_alu instid0(VALU_DEP_2) | instskip(NEXT) | instid1(VALU_DEP_1)
	v_mul_lo_u32 v10, v10, s55
	v_add3_u32 v1, v9, v1, v10
	s_cbranch_scc0 .LBB136_54
; %bb.55:                               ;   in Loop: Header=BB136_9 Depth=1
	s_mov_b32 s14, s31
	s_and_not1_b32 vcc_lo, exec_lo, s34
	s_cbranch_vccz .LBB136_58
	s_branch .LBB136_60
.LBB136_56:                             ;   in Loop: Header=BB136_9 Depth=1
                                        ; implicit-def: $vgpr1
	s_branch .LBB136_61
.LBB136_57:                             ;   in Loop: Header=BB136_9 Depth=1
	v_mov_b32_e32 v7, v0
	s_and_not1_b32 vcc_lo, exec_lo, s34
	s_cbranch_vccnz .LBB136_60
.LBB136_58:                             ;   in Loop: Header=BB136_9 Depth=1
	s_lshl_b32 s15, s14, 2
	s_mul_i32 s22, s14, 12
	s_add_u32 s14, s0, s15
	s_addc_u32 s15, s1, 0
	s_add_u32 s22, s18, s22
	s_addc_u32 s23, s19, 0
	s_mov_b32 s37, s29
	.p2align	6
.LBB136_59:                             ;   Parent Loop BB136_9 Depth=1
                                        ; =>  This Inner Loop Header: Depth=2
	s_clause 0x1
	s_load_b64 s[38:39], s[22:23], 0x4
	s_load_b32 s40, s[22:23], 0xc
	s_add_u32 s22, s22, 12
	s_addc_u32 s23, s23, 0
	s_waitcnt lgkmcnt(0)
	v_mul_hi_u32 v8, s39, v7
	s_load_b32 s39, s[14:15], 0x0
	s_add_u32 s14, s14, 4
	s_addc_u32 s15, s15, 0
	s_add_i32 s37, s37, -1
	s_delay_alu instid0(SALU_CYCLE_1) | instskip(NEXT) | instid1(VALU_DEP_1)
	s_cmp_lg_u32 s37, 0
	v_add_nc_u32_e32 v8, v7, v8
	s_delay_alu instid0(VALU_DEP_1) | instskip(NEXT) | instid1(VALU_DEP_1)
	v_lshrrev_b32_e32 v10, s40, v8
	v_mul_lo_u32 v8, v10, s38
	s_delay_alu instid0(VALU_DEP_1) | instskip(SKIP_1) | instid1(VALU_DEP_1)
	v_sub_nc_u32_e32 v7, v7, v8
	s_waitcnt lgkmcnt(0)
	v_mad_u64_u32 v[8:9], null, v7, s39, v[1:2]
	v_mov_b32_e32 v7, v10
	s_delay_alu instid0(VALU_DEP_2)
	v_mov_b32_e32 v1, v8
	s_cbranch_scc1 .LBB136_59
.LBB136_60:                             ;   in Loop: Header=BB136_9 Depth=1
	s_cbranch_execnz .LBB136_63
.LBB136_61:                             ;   in Loop: Header=BB136_9 Depth=1
	v_mul_hi_u32 v1, v0, s6
	s_and_not1_b32 vcc_lo, exec_lo, s4
	s_delay_alu instid0(VALU_DEP_1) | instskip(NEXT) | instid1(VALU_DEP_1)
	v_add_nc_u32_e32 v1, v1, v0
	v_lshrrev_b32_e32 v7, s7, v1
	s_delay_alu instid0(VALU_DEP_1) | instskip(NEXT) | instid1(VALU_DEP_1)
	v_mul_lo_u32 v1, v7, s5
	v_sub_nc_u32_e32 v0, v0, v1
	s_delay_alu instid0(VALU_DEP_1)
	v_mul_lo_u32 v1, v0, s20
	s_cbranch_vccnz .LBB136_63
; %bb.62:                               ;   in Loop: Header=BB136_9 Depth=1
	v_mul_hi_u32 v0, s9, v7
	s_delay_alu instid0(VALU_DEP_1) | instskip(NEXT) | instid1(VALU_DEP_1)
	v_add_nc_u32_e32 v0, v7, v0
	v_lshrrev_b32_e32 v0, s10, v0
	s_delay_alu instid0(VALU_DEP_1) | instskip(NEXT) | instid1(VALU_DEP_1)
	v_mul_lo_u32 v0, v0, s8
	v_sub_nc_u32_e32 v0, v7, v0
	s_delay_alu instid0(VALU_DEP_1) | instskip(NEXT) | instid1(VALU_DEP_1)
	v_mad_u64_u32 v[7:8], null, v0, s21, v[1:2]
	v_mov_b32_e32 v1, v7
.LBB136_63:                             ;   in Loop: Header=BB136_9 Depth=1
	v_cvt_f32_u32_e32 v0, v2
	v_mov_b32_e32 v8, s26
	s_delay_alu instid0(VALU_DEP_2) | instskip(NEXT) | instid1(VALU_DEP_1)
	v_fmaak_f32 v0, 0x2f800000, v0, 0x2f800000
	v_cmp_lt_f32_e32 vcc_lo, v0, v38
	v_cndmask_b32_e64 v7, 0, 1, vcc_lo
	global_store_b64 v1, v[7:8], s[12:13]
.LBB136_64:                             ;   in Loop: Header=BB136_9 Depth=1
	s_or_b32 exec_lo, exec_lo, s36
	v_add_co_u32 v0, vcc_lo, v13, s33
	v_add_co_ci_u32_e32 v1, vcc_lo, 0, v14, vcc_lo
	s_mov_b32 s36, exec_lo
	s_delay_alu instid0(VALU_DEP_1)
	v_cmpx_gt_i64_e64 s[16:17], v[0:1]
	s_cbranch_execz .LBB136_8
; %bb.65:                               ;   in Loop: Header=BB136_9 Depth=1
	s_and_not1_b32 vcc_lo, exec_lo, s11
	s_cbranch_vccnz .LBB136_71
; %bb.66:                               ;   in Loop: Header=BB136_9 Depth=1
	v_mov_b32_e32 v1, 0
	s_and_not1_b32 vcc_lo, exec_lo, s27
	s_cbranch_vccnz .LBB136_75
; %bb.67:                               ;   in Loop: Header=BB136_9 Depth=1
	s_and_not1_b32 vcc_lo, exec_lo, s30
	s_mov_b32 s14, 0
	s_cbranch_vccnz .LBB136_72
; %bb.68:                               ;   in Loop: Header=BB136_9 Depth=1
	v_dual_mov_b32 v1, 0 :: v_dual_mov_b32 v2, v0
	s_mov_b32 s37, 0
	s_mov_b64 s[14:15], s[18:19]
	s_mov_b64 s[22:23], s[0:1]
.LBB136_69:                             ;   Parent Loop BB136_9 Depth=1
                                        ; =>  This Inner Loop Header: Depth=2
	s_clause 0x1
	s_load_b256 s[40:47], s[14:15], 0x4
	s_load_b128 s[48:51], s[14:15], 0x24
	s_load_b128 s[52:55], s[22:23], 0x0
	s_add_u32 s14, s14, 48
	s_addc_u32 s15, s15, 0
	s_add_i32 s37, s37, 4
	s_add_u32 s22, s22, 16
	s_addc_u32 s23, s23, 0
	s_cmp_eq_u32 s31, s37
	s_waitcnt lgkmcnt(0)
	v_mul_hi_u32 v7, s41, v2
	s_delay_alu instid0(VALU_DEP_1) | instskip(NEXT) | instid1(VALU_DEP_1)
	v_add_nc_u32_e32 v7, v2, v7
	v_lshrrev_b32_e32 v7, s42, v7
	s_delay_alu instid0(VALU_DEP_1) | instskip(SKIP_1) | instid1(VALU_DEP_2)
	v_mul_hi_u32 v8, s44, v7
	v_mul_lo_u32 v16, v7, s40
	v_add_nc_u32_e32 v8, v7, v8
	s_delay_alu instid0(VALU_DEP_2) | instskip(NEXT) | instid1(VALU_DEP_2)
	v_sub_nc_u32_e32 v16, v2, v16
	v_lshrrev_b32_e32 v8, s45, v8
	s_delay_alu instid0(VALU_DEP_2) | instskip(NEXT) | instid1(VALU_DEP_2)
	v_mul_lo_u32 v16, v16, s52
	v_mul_hi_u32 v9, s47, v8
	v_mul_lo_u32 v41, v8, s43
	s_delay_alu instid0(VALU_DEP_2) | instskip(NEXT) | instid1(VALU_DEP_2)
	v_add_nc_u32_e32 v9, v8, v9
	v_sub_nc_u32_e32 v7, v7, v41
	s_delay_alu instid0(VALU_DEP_2) | instskip(NEXT) | instid1(VALU_DEP_2)
	v_lshrrev_b32_e32 v9, s48, v9
	v_mul_lo_u32 v7, v7, s53
	s_delay_alu instid0(VALU_DEP_2) | instskip(NEXT) | instid1(VALU_DEP_2)
	v_mul_hi_u32 v10, s50, v9
	v_add3_u32 v1, v16, v1, v7
	s_delay_alu instid0(VALU_DEP_2) | instskip(NEXT) | instid1(VALU_DEP_1)
	v_add_nc_u32_e32 v10, v9, v10
	v_lshrrev_b32_e32 v2, s51, v10
	v_mul_lo_u32 v10, v9, s46
	s_delay_alu instid0(VALU_DEP_2) | instskip(NEXT) | instid1(VALU_DEP_2)
	v_mul_lo_u32 v42, v2, s49
	v_sub_nc_u32_e32 v8, v8, v10
	s_delay_alu instid0(VALU_DEP_2) | instskip(NEXT) | instid1(VALU_DEP_2)
	v_sub_nc_u32_e32 v9, v9, v42
	v_mul_lo_u32 v8, v8, s54
	s_delay_alu instid0(VALU_DEP_2) | instskip(NEXT) | instid1(VALU_DEP_1)
	v_mul_lo_u32 v9, v9, s55
	v_add3_u32 v1, v8, v1, v9
	s_cbranch_scc0 .LBB136_69
; %bb.70:                               ;   in Loop: Header=BB136_9 Depth=1
	s_mov_b32 s14, s31
	s_and_not1_b32 vcc_lo, exec_lo, s34
	s_cbranch_vccz .LBB136_73
	s_branch .LBB136_75
.LBB136_71:                             ;   in Loop: Header=BB136_9 Depth=1
                                        ; implicit-def: $vgpr1
	s_branch .LBB136_76
.LBB136_72:                             ;   in Loop: Header=BB136_9 Depth=1
	v_mov_b32_e32 v2, v0
	s_and_not1_b32 vcc_lo, exec_lo, s34
	s_cbranch_vccnz .LBB136_75
.LBB136_73:                             ;   in Loop: Header=BB136_9 Depth=1
	s_lshl_b32 s15, s14, 2
	s_mul_i32 s22, s14, 12
	s_add_u32 s14, s0, s15
	s_addc_u32 s15, s1, 0
	s_add_u32 s22, s18, s22
	s_addc_u32 s23, s19, 0
	s_mov_b32 s37, s29
	.p2align	6
.LBB136_74:                             ;   Parent Loop BB136_9 Depth=1
                                        ; =>  This Inner Loop Header: Depth=2
	s_clause 0x1
	s_load_b64 s[38:39], s[22:23], 0x4
	s_load_b32 s40, s[22:23], 0xc
	s_add_u32 s22, s22, 12
	s_addc_u32 s23, s23, 0
	s_waitcnt lgkmcnt(0)
	v_mul_hi_u32 v7, s39, v2
	s_load_b32 s39, s[14:15], 0x0
	s_add_u32 s14, s14, 4
	s_addc_u32 s15, s15, 0
	s_add_i32 s37, s37, -1
	s_delay_alu instid0(SALU_CYCLE_1) | instskip(NEXT) | instid1(VALU_DEP_1)
	s_cmp_lg_u32 s37, 0
	v_add_nc_u32_e32 v7, v2, v7
	s_delay_alu instid0(VALU_DEP_1) | instskip(NEXT) | instid1(VALU_DEP_1)
	v_lshrrev_b32_e32 v9, s40, v7
	v_mul_lo_u32 v7, v9, s38
	s_delay_alu instid0(VALU_DEP_1) | instskip(SKIP_1) | instid1(VALU_DEP_1)
	v_sub_nc_u32_e32 v2, v2, v7
	s_waitcnt lgkmcnt(0)
	v_mad_u64_u32 v[7:8], null, v2, s39, v[1:2]
	s_delay_alu instid0(VALU_DEP_1)
	v_dual_mov_b32 v2, v9 :: v_dual_mov_b32 v1, v7
	s_cbranch_scc1 .LBB136_74
.LBB136_75:                             ;   in Loop: Header=BB136_9 Depth=1
	s_cbranch_execnz .LBB136_7
.LBB136_76:                             ;   in Loop: Header=BB136_9 Depth=1
	v_mul_hi_u32 v1, v0, s6
	s_and_not1_b32 vcc_lo, exec_lo, s4
	s_delay_alu instid0(VALU_DEP_1) | instskip(NEXT) | instid1(VALU_DEP_1)
	v_add_nc_u32_e32 v1, v1, v0
	v_lshrrev_b32_e32 v2, s7, v1
	s_delay_alu instid0(VALU_DEP_1) | instskip(NEXT) | instid1(VALU_DEP_1)
	v_mul_lo_u32 v1, v2, s5
	v_sub_nc_u32_e32 v0, v0, v1
	s_delay_alu instid0(VALU_DEP_1)
	v_mul_lo_u32 v1, v0, s20
	s_cbranch_vccnz .LBB136_7
; %bb.77:                               ;   in Loop: Header=BB136_9 Depth=1
	v_mul_hi_u32 v0, s9, v2
	s_delay_alu instid0(VALU_DEP_1) | instskip(NEXT) | instid1(VALU_DEP_1)
	v_add_nc_u32_e32 v0, v2, v0
	v_lshrrev_b32_e32 v0, s10, v0
	s_delay_alu instid0(VALU_DEP_1) | instskip(NEXT) | instid1(VALU_DEP_1)
	v_mul_lo_u32 v0, v0, s8
	v_sub_nc_u32_e32 v0, v2, v0
	s_delay_alu instid0(VALU_DEP_1) | instskip(NEXT) | instid1(VALU_DEP_1)
	v_mad_u64_u32 v[7:8], null, v0, s21, v[1:2]
	v_mov_b32_e32 v1, v7
	s_branch .LBB136_7
.LBB136_78:
	s_endpgm
.LBB136_79:
                                        ; implicit-def: $sgpr2_sgpr3
	s_branch .LBB136_4
	.section	.rodata,"a",@progbits
	.p2align	6, 0x0
	.amdhsa_kernel _ZN2at6native12_GLOBAL__N_143distribution_elementwise_grid_stride_kernelIfLi4EZNS0_9templates4cuda21uniform_and_transformIlfPNS_17CUDAGeneratorImplEZZZNS4_16bernoulli_kernelIS7_EEvRNS_18TensorIteratorBaseEdT_ENKUlvE_clEvENKUlvE2_clEvEUlfE_EEvSA_T1_T2_EUlP25hiprandStatePhilox4_32_10E0_ZNS1_27distribution_nullary_kernelIlf15HIP_vector_typeIfLj4EES7_SJ_SE_EEvSA_SG_RKT3_T4_EUlifE0_EEvlNS_15PhiloxCudaStateESF_SG_
		.amdhsa_group_segment_fixed_size 0
		.amdhsa_private_segment_fixed_size 0
		.amdhsa_kernarg_size 584
		.amdhsa_user_sgpr_count 15
		.amdhsa_user_sgpr_dispatch_ptr 0
		.amdhsa_user_sgpr_queue_ptr 0
		.amdhsa_user_sgpr_kernarg_segment_ptr 1
		.amdhsa_user_sgpr_dispatch_id 0
		.amdhsa_user_sgpr_private_segment_size 0
		.amdhsa_wavefront_size32 1
		.amdhsa_uses_dynamic_stack 0
		.amdhsa_enable_private_segment 0
		.amdhsa_system_sgpr_workgroup_id_x 1
		.amdhsa_system_sgpr_workgroup_id_y 0
		.amdhsa_system_sgpr_workgroup_id_z 0
		.amdhsa_system_sgpr_workgroup_info 0
		.amdhsa_system_vgpr_workitem_id 0
		.amdhsa_next_free_vgpr 45
		.amdhsa_next_free_sgpr 56
		.amdhsa_reserve_vcc 1
		.amdhsa_float_round_mode_32 0
		.amdhsa_float_round_mode_16_64 0
		.amdhsa_float_denorm_mode_32 3
		.amdhsa_float_denorm_mode_16_64 3
		.amdhsa_dx10_clamp 1
		.amdhsa_ieee_mode 1
		.amdhsa_fp16_overflow 0
		.amdhsa_workgroup_processor_mode 1
		.amdhsa_memory_ordered 1
		.amdhsa_forward_progress 0
		.amdhsa_shared_vgpr_count 0
		.amdhsa_exception_fp_ieee_invalid_op 0
		.amdhsa_exception_fp_denorm_src 0
		.amdhsa_exception_fp_ieee_div_zero 0
		.amdhsa_exception_fp_ieee_overflow 0
		.amdhsa_exception_fp_ieee_underflow 0
		.amdhsa_exception_fp_ieee_inexact 0
		.amdhsa_exception_int_div_zero 0
	.end_amdhsa_kernel
	.section	.text._ZN2at6native12_GLOBAL__N_143distribution_elementwise_grid_stride_kernelIfLi4EZNS0_9templates4cuda21uniform_and_transformIlfPNS_17CUDAGeneratorImplEZZZNS4_16bernoulli_kernelIS7_EEvRNS_18TensorIteratorBaseEdT_ENKUlvE_clEvENKUlvE2_clEvEUlfE_EEvSA_T1_T2_EUlP25hiprandStatePhilox4_32_10E0_ZNS1_27distribution_nullary_kernelIlf15HIP_vector_typeIfLj4EES7_SJ_SE_EEvSA_SG_RKT3_T4_EUlifE0_EEvlNS_15PhiloxCudaStateESF_SG_,"axG",@progbits,_ZN2at6native12_GLOBAL__N_143distribution_elementwise_grid_stride_kernelIfLi4EZNS0_9templates4cuda21uniform_and_transformIlfPNS_17CUDAGeneratorImplEZZZNS4_16bernoulli_kernelIS7_EEvRNS_18TensorIteratorBaseEdT_ENKUlvE_clEvENKUlvE2_clEvEUlfE_EEvSA_T1_T2_EUlP25hiprandStatePhilox4_32_10E0_ZNS1_27distribution_nullary_kernelIlf15HIP_vector_typeIfLj4EES7_SJ_SE_EEvSA_SG_RKT3_T4_EUlifE0_EEvlNS_15PhiloxCudaStateESF_SG_,comdat
.Lfunc_end136:
	.size	_ZN2at6native12_GLOBAL__N_143distribution_elementwise_grid_stride_kernelIfLi4EZNS0_9templates4cuda21uniform_and_transformIlfPNS_17CUDAGeneratorImplEZZZNS4_16bernoulli_kernelIS7_EEvRNS_18TensorIteratorBaseEdT_ENKUlvE_clEvENKUlvE2_clEvEUlfE_EEvSA_T1_T2_EUlP25hiprandStatePhilox4_32_10E0_ZNS1_27distribution_nullary_kernelIlf15HIP_vector_typeIfLj4EES7_SJ_SE_EEvSA_SG_RKT3_T4_EUlifE0_EEvlNS_15PhiloxCudaStateESF_SG_, .Lfunc_end136-_ZN2at6native12_GLOBAL__N_143distribution_elementwise_grid_stride_kernelIfLi4EZNS0_9templates4cuda21uniform_and_transformIlfPNS_17CUDAGeneratorImplEZZZNS4_16bernoulli_kernelIS7_EEvRNS_18TensorIteratorBaseEdT_ENKUlvE_clEvENKUlvE2_clEvEUlfE_EEvSA_T1_T2_EUlP25hiprandStatePhilox4_32_10E0_ZNS1_27distribution_nullary_kernelIlf15HIP_vector_typeIfLj4EES7_SJ_SE_EEvSA_SG_RKT3_T4_EUlifE0_EEvlNS_15PhiloxCudaStateESF_SG_
                                        ; -- End function
	.section	.AMDGPU.csdata,"",@progbits
; Kernel info:
; codeLenInByte = 5276
; NumSgprs: 58
; NumVgprs: 45
; ScratchSize: 0
; MemoryBound: 0
; FloatMode: 240
; IeeeMode: 1
; LDSByteSize: 0 bytes/workgroup (compile time only)
; SGPRBlocks: 7
; VGPRBlocks: 5
; NumSGPRsForWavesPerEU: 58
; NumVGPRsForWavesPerEU: 45
; Occupancy: 16
; WaveLimiterHint : 1
; COMPUTE_PGM_RSRC2:SCRATCH_EN: 0
; COMPUTE_PGM_RSRC2:USER_SGPR: 15
; COMPUTE_PGM_RSRC2:TRAP_HANDLER: 0
; COMPUTE_PGM_RSRC2:TGID_X_EN: 1
; COMPUTE_PGM_RSRC2:TGID_Y_EN: 0
; COMPUTE_PGM_RSRC2:TGID_Z_EN: 0
; COMPUTE_PGM_RSRC2:TIDIG_COMP_CNT: 0
	.section	.text._ZN2at6native12_GLOBAL__N_143distribution_elementwise_grid_stride_kernelIfLi4EZNS0_9templates4cuda21uniform_and_transformIsfPNS_17CUDAGeneratorImplEZZZNS4_16bernoulli_kernelIS7_EEvRNS_18TensorIteratorBaseEdT_ENKUlvE_clEvENKUlvE3_clEvEUlfE_EEvSA_T1_T2_EUlP25hiprandStatePhilox4_32_10E_ZNS1_27distribution_nullary_kernelIsf15HIP_vector_typeIdLj2EES7_SJ_SE_EEvSA_SG_RKT3_T4_EUlifE_EEvlNS_15PhiloxCudaStateESF_SG_,"axG",@progbits,_ZN2at6native12_GLOBAL__N_143distribution_elementwise_grid_stride_kernelIfLi4EZNS0_9templates4cuda21uniform_and_transformIsfPNS_17CUDAGeneratorImplEZZZNS4_16bernoulli_kernelIS7_EEvRNS_18TensorIteratorBaseEdT_ENKUlvE_clEvENKUlvE3_clEvEUlfE_EEvSA_T1_T2_EUlP25hiprandStatePhilox4_32_10E_ZNS1_27distribution_nullary_kernelIsf15HIP_vector_typeIdLj2EES7_SJ_SE_EEvSA_SG_RKT3_T4_EUlifE_EEvlNS_15PhiloxCudaStateESF_SG_,comdat
	.globl	_ZN2at6native12_GLOBAL__N_143distribution_elementwise_grid_stride_kernelIfLi4EZNS0_9templates4cuda21uniform_and_transformIsfPNS_17CUDAGeneratorImplEZZZNS4_16bernoulli_kernelIS7_EEvRNS_18TensorIteratorBaseEdT_ENKUlvE_clEvENKUlvE3_clEvEUlfE_EEvSA_T1_T2_EUlP25hiprandStatePhilox4_32_10E_ZNS1_27distribution_nullary_kernelIsf15HIP_vector_typeIdLj2EES7_SJ_SE_EEvSA_SG_RKT3_T4_EUlifE_EEvlNS_15PhiloxCudaStateESF_SG_ ; -- Begin function _ZN2at6native12_GLOBAL__N_143distribution_elementwise_grid_stride_kernelIfLi4EZNS0_9templates4cuda21uniform_and_transformIsfPNS_17CUDAGeneratorImplEZZZNS4_16bernoulli_kernelIS7_EEvRNS_18TensorIteratorBaseEdT_ENKUlvE_clEvENKUlvE3_clEvEUlfE_EEvSA_T1_T2_EUlP25hiprandStatePhilox4_32_10E_ZNS1_27distribution_nullary_kernelIsf15HIP_vector_typeIdLj2EES7_SJ_SE_EEvSA_SG_RKT3_T4_EUlifE_EEvlNS_15PhiloxCudaStateESF_SG_
	.p2align	8
	.type	_ZN2at6native12_GLOBAL__N_143distribution_elementwise_grid_stride_kernelIfLi4EZNS0_9templates4cuda21uniform_and_transformIsfPNS_17CUDAGeneratorImplEZZZNS4_16bernoulli_kernelIS7_EEvRNS_18TensorIteratorBaseEdT_ENKUlvE_clEvENKUlvE3_clEvEUlfE_EEvSA_T1_T2_EUlP25hiprandStatePhilox4_32_10E_ZNS1_27distribution_nullary_kernelIsf15HIP_vector_typeIdLj2EES7_SJ_SE_EEvSA_SG_RKT3_T4_EUlifE_EEvlNS_15PhiloxCudaStateESF_SG_,@function
_ZN2at6native12_GLOBAL__N_143distribution_elementwise_grid_stride_kernelIfLi4EZNS0_9templates4cuda21uniform_and_transformIsfPNS_17CUDAGeneratorImplEZZZNS4_16bernoulli_kernelIS7_EEvRNS_18TensorIteratorBaseEdT_ENKUlvE_clEvENKUlvE3_clEvEUlfE_EEvSA_T1_T2_EUlP25hiprandStatePhilox4_32_10E_ZNS1_27distribution_nullary_kernelIsf15HIP_vector_typeIdLj2EES7_SJ_SE_EEvSA_SG_RKT3_T4_EUlifE_EEvlNS_15PhiloxCudaStateESF_SG_: ; @_ZN2at6native12_GLOBAL__N_143distribution_elementwise_grid_stride_kernelIfLi4EZNS0_9templates4cuda21uniform_and_transformIsfPNS_17CUDAGeneratorImplEZZZNS4_16bernoulli_kernelIS7_EEvRNS_18TensorIteratorBaseEdT_ENKUlvE_clEvENKUlvE3_clEvEUlfE_EEvSA_T1_T2_EUlP25hiprandStatePhilox4_32_10E_ZNS1_27distribution_nullary_kernelIsf15HIP_vector_typeIdLj2EES7_SJ_SE_EEvSA_SG_RKT3_T4_EUlifE_EEvlNS_15PhiloxCudaStateESF_SG_
; %bb.0:
	s_clause 0x2
	s_load_b64 s[8:9], s[0:1], 0x10
	s_load_b128 s[4:7], s[0:1], 0x0
	s_load_b32 s2, s[0:1], 0x20
	s_waitcnt lgkmcnt(0)
	v_dual_mov_b32 v2, s8 :: v_dual_mov_b32 v3, s9
	v_dual_mov_b32 v12, s7 :: v_dual_mov_b32 v11, s6
	s_bitcmp0_b32 s2, 0
	s_mov_b32 s2, 0
	s_cbranch_scc1 .LBB137_2
; %bb.1:
	v_dual_mov_b32 v1, s8 :: v_dual_mov_b32 v2, s9
	v_dual_mov_b32 v4, s6 :: v_dual_mov_b32 v5, s7
	s_load_b64 s[6:7], s[0:1], 0x18
	flat_load_b64 v[2:3], v[1:2]
	flat_load_b64 v[11:12], v[4:5]
	s_waitcnt vmcnt(1) lgkmcnt(0)
	v_add_co_u32 v2, vcc_lo, v2, s6
	v_add_co_ci_u32_e32 v3, vcc_lo, s7, v3, vcc_lo
.LBB137_2:
	s_clause 0x1
	s_load_b32 s3, s[0:1], 0x54
	s_load_b32 s11, s[0:1], 0x48
	s_waitcnt lgkmcnt(0)
	s_and_b32 s10, s3, 0xffff
	s_add_u32 s6, s4, -1
	s_mul_i32 s8, s11, s10
	s_addc_u32 s3, s5, -1
	s_lshl_b32 s9, s8, 2
	s_cmp_lg_u64 s[2:3], 0
	s_cbranch_scc0 .LBB137_23
; %bb.3:
	v_cvt_f32_ubyte0_e32 v1, 0
	v_cvt_f32_u32_e32 v4, s9
	s_sub_u32 s12, 0, s9
	s_subb_u32 s13, 0, 0
	s_delay_alu instid0(VALU_DEP_1) | instskip(NEXT) | instid1(VALU_DEP_1)
	v_fmamk_f32 v1, v1, 0x4f800000, v4
	v_rcp_f32_e32 v1, v1
	s_waitcnt_depctr 0xfff
	v_mul_f32_e32 v1, 0x5f7ffffc, v1
	s_delay_alu instid0(VALU_DEP_1) | instskip(NEXT) | instid1(VALU_DEP_1)
	v_mul_f32_e32 v4, 0x2f800000, v1
	v_trunc_f32_e32 v4, v4
	s_delay_alu instid0(VALU_DEP_1) | instskip(SKIP_1) | instid1(VALU_DEP_2)
	v_fmamk_f32 v1, v4, 0xcf800000, v1
	v_cvt_u32_f32_e32 v4, v4
	v_cvt_u32_f32_e32 v1, v1
	s_delay_alu instid0(VALU_DEP_2) | instskip(NEXT) | instid1(VALU_DEP_2)
	v_readfirstlane_b32 s2, v4
	v_readfirstlane_b32 s7, v1
	s_delay_alu instid0(VALU_DEP_2) | instskip(NEXT) | instid1(VALU_DEP_1)
	s_mul_i32 s14, s12, s2
	s_mul_hi_u32 s17, s12, s7
	s_mul_i32 s16, s13, s7
	s_add_i32 s14, s17, s14
	s_mul_i32 s18, s12, s7
	s_add_i32 s14, s14, s16
	s_mul_hi_u32 s17, s7, s18
	s_mul_hi_u32 s19, s2, s18
	s_mul_i32 s16, s2, s18
	s_mul_hi_u32 s18, s7, s14
	s_mul_i32 s7, s7, s14
	s_mul_hi_u32 s20, s2, s14
	s_add_u32 s7, s17, s7
	s_addc_u32 s17, 0, s18
	s_add_u32 s7, s7, s16
	s_mul_i32 s14, s2, s14
	s_addc_u32 s7, s17, s19
	s_addc_u32 s16, s20, 0
	s_add_u32 s7, s7, s14
	s_addc_u32 s14, 0, s16
	v_add_co_u32 v1, s7, v1, s7
	s_delay_alu instid0(VALU_DEP_1) | instskip(SKIP_1) | instid1(VALU_DEP_1)
	s_cmp_lg_u32 s7, 0
	s_addc_u32 s2, s2, s14
	v_readfirstlane_b32 s7, v1
	s_mul_i32 s14, s12, s2
	s_delay_alu instid0(VALU_DEP_1)
	s_mul_hi_u32 s16, s12, s7
	s_mul_i32 s13, s13, s7
	s_add_i32 s14, s16, s14
	s_mul_i32 s12, s12, s7
	s_add_i32 s14, s14, s13
	s_mul_hi_u32 s16, s2, s12
	s_mul_i32 s17, s2, s12
	s_mul_hi_u32 s12, s7, s12
	s_mul_hi_u32 s18, s7, s14
	s_mul_i32 s7, s7, s14
	s_mul_hi_u32 s13, s2, s14
	s_add_u32 s7, s12, s7
	s_addc_u32 s12, 0, s18
	s_add_u32 s7, s7, s17
	s_mul_i32 s14, s2, s14
	s_addc_u32 s7, s12, s16
	s_addc_u32 s12, s13, 0
	s_add_u32 s7, s7, s14
	s_addc_u32 s12, 0, s12
	v_add_co_u32 v1, s7, v1, s7
	s_delay_alu instid0(VALU_DEP_1) | instskip(SKIP_2) | instid1(VALU_DEP_1)
	s_cmp_lg_u32 s7, 0
	s_addc_u32 s7, s2, s12
	s_ashr_i32 s12, s3, 31
	v_readfirstlane_b32 s14, v1
	s_add_u32 s2, s6, s12
	s_mov_b32 s13, s12
	s_addc_u32 s3, s3, s12
	s_delay_alu instid0(SALU_CYCLE_1) | instskip(NEXT) | instid1(SALU_CYCLE_1)
	s_xor_b64 s[2:3], s[2:3], s[12:13]
	s_mul_i32 s17, s2, s7
	s_mul_hi_u32 s18, s2, s14
	s_mul_hi_u32 s16, s2, s7
	;; [unrolled: 1-line block ×3, first 2 shown]
	s_mul_i32 s14, s3, s14
	s_add_u32 s17, s18, s17
	s_addc_u32 s16, 0, s16
	s_mul_hi_u32 s19, s3, s7
	s_add_u32 s14, s17, s14
	s_mul_i32 s7, s3, s7
	s_addc_u32 s14, s16, s20
	s_addc_u32 s16, s19, 0
	s_add_u32 s7, s14, s7
	s_addc_u32 s14, 0, s16
	s_mul_i32 s17, s9, s7
	s_add_u32 s16, s7, 1
	v_sub_co_u32 v1, s2, s2, s17
	s_mul_hi_u32 s17, s9, s7
	s_addc_u32 s18, s14, 0
	s_mul_i32 s19, s9, s14
	s_delay_alu instid0(VALU_DEP_1)
	v_sub_co_u32 v4, s20, v1, s9
	s_add_u32 s21, s7, 2
	s_addc_u32 s22, s14, 0
	s_add_i32 s17, s17, s19
	s_cmp_lg_u32 s2, 0
	v_readfirstlane_b32 s2, v4
	s_subb_u32 s3, s3, s17
	s_cmp_lg_u32 s20, 0
	s_subb_u32 s17, s3, 0
	s_delay_alu instid0(VALU_DEP_1) | instskip(SKIP_4) | instid1(SALU_CYCLE_1)
	s_cmp_ge_u32 s2, s9
	s_cselect_b32 s2, -1, 0
	s_cmp_eq_u32 s17, 0
	v_readfirstlane_b32 s17, v1
	s_cselect_b32 s2, s2, -1
	s_cmp_lg_u32 s2, 0
	s_cselect_b32 s2, s21, s16
	s_cselect_b32 s16, s22, s18
	s_cmp_ge_u32 s17, s9
	s_cselect_b32 s17, -1, 0
	s_cmp_eq_u32 s3, 0
	s_cselect_b32 s3, s17, -1
	s_delay_alu instid0(SALU_CYCLE_1) | instskip(SKIP_2) | instid1(SALU_CYCLE_1)
	s_cmp_lg_u32 s3, 0
	s_cselect_b32 s3, s16, s14
	s_cselect_b32 s2, s2, s7
	s_xor_b64 s[2:3], s[2:3], s[12:13]
	s_delay_alu instid0(SALU_CYCLE_1)
	s_sub_u32 s2, s2, s12
	s_subb_u32 s3, s3, s12
	s_cbranch_execnz .LBB137_5
.LBB137_4:
	v_cvt_f32_u32_e32 v1, s9
	s_sub_i32 s3, 0, s9
	s_delay_alu instid0(VALU_DEP_1) | instskip(SKIP_2) | instid1(VALU_DEP_1)
	v_rcp_iflag_f32_e32 v1, v1
	s_waitcnt_depctr 0xfff
	v_mul_f32_e32 v1, 0x4f7ffffe, v1
	v_cvt_u32_f32_e32 v1, v1
	s_delay_alu instid0(VALU_DEP_1) | instskip(NEXT) | instid1(VALU_DEP_1)
	v_readfirstlane_b32 s2, v1
	s_mul_i32 s3, s3, s2
	s_delay_alu instid0(SALU_CYCLE_1) | instskip(NEXT) | instid1(SALU_CYCLE_1)
	s_mul_hi_u32 s3, s2, s3
	s_add_i32 s2, s2, s3
	s_delay_alu instid0(SALU_CYCLE_1) | instskip(NEXT) | instid1(SALU_CYCLE_1)
	s_mul_hi_u32 s2, s6, s2
	s_mul_i32 s3, s2, s9
	s_delay_alu instid0(SALU_CYCLE_1)
	s_sub_i32 s3, s6, s3
	s_add_i32 s6, s2, 1
	s_sub_i32 s7, s3, s9
	s_cmp_ge_u32 s3, s9
	s_cselect_b32 s2, s6, s2
	s_cselect_b32 s3, s7, s3
	s_add_i32 s6, s2, 1
	s_cmp_ge_u32 s3, s9
	s_mov_b32 s3, 0
	s_cselect_b32 s2, s6, s2
.LBB137_5:
	v_mov_b32_e32 v1, 0
	s_add_u32 s2, s2, 1
	s_addc_u32 s3, s3, 0
	s_mul_hi_u32 s6, s8, s2
	s_mul_i32 s3, s8, s3
	v_mad_u64_u32 v[13:14], null, s10, s15, v[0:1]
	s_mul_hi_u32 s7, s11, s10
	s_add_i32 s3, s6, s3
	s_mul_i32 s7, s7, s2
	s_mul_i32 s2, s8, s2
	s_add_i32 s3, s3, s7
	s_mov_b32 s6, exec_lo
	s_lshl_b64 s[2:3], s[2:3], 2
	s_delay_alu instid0(SALU_CYCLE_1)
	v_cmpx_gt_i64_e64 s[2:3], v[13:14]
	s_cbranch_execz .LBB137_22
; %bb.6:
	v_alignbit_b32 v17, v3, v2, 2
	v_mad_u64_u32 v[6:7], null, 0xcd9e8d57, v13, 0
	v_lshrrev_b32_e32 v18, 2, v3
	s_waitcnt vmcnt(0)
	v_dual_mov_b32 v15, v12 :: v_dual_and_b32 v34, 3, v2
	v_mad_u64_u32 v[4:5], null, 0xd2511f53, v17, 0
	v_add_co_u32 v20, null, 0x9e3779b9, v11
	v_xor3_b32 v3, v11, v7, v18
	s_delay_alu instid0(VALU_DEP_4) | instskip(SKIP_2) | instid1(VALU_DEP_4)
	v_add_co_u32 v19, null, 0xbb67ae85, v15
	v_add_co_u32 v21, null, 0x3c6ef372, v11
	v_xor_b32_e32 v1, v5, v12
	v_mad_u64_u32 v[7:8], null, 0xd2511f53, v3, 0
	v_add_co_u32 v22, null, 0x76cf5d0a, v15
	s_delay_alu instid0(VALU_DEP_3) | instskip(SKIP_2) | instid1(VALU_DEP_3)
	v_xor_b32_e32 v1, v1, v14
	v_add_co_u32 v23, null, 0x32370b8f, v15
	v_add_co_u32 v24, null, 0xdaa66d2b, v11
	v_mad_u64_u32 v[9:10], null, 0xcd9e8d57, v1, 0
	v_xor3_b32 v1, v19, v8, v4
	v_add_co_u32 v25, null, 0x78dde6e4, v11
	v_add_co_u32 v26, null, 0xed9eba14, v15
	s_delay_alu instid0(VALU_DEP_3) | instskip(SKIP_3) | instid1(VALU_DEP_3)
	v_mad_u64_u32 v[3:4], null, 0xcd9e8d57, v1, 0
	v_xor3_b32 v8, v20, v10, v6
	v_add_co_u32 v27, null, 0xa9066899, v15
	v_add_co_u32 v28, null, 0x1715609d, v11
	v_mad_u64_u32 v[5:6], null, 0xd2511f53, v8, 0
	v_xor3_b32 v1, v21, v4, v9
	s_load_b64 s[12:13], s[0:1], 0x40
	v_add_co_u32 v29, null, 0xb54cda56, v11
	v_add_co_u32 v30, null, 0x646e171e, v15
	s_delay_alu instid0(VALU_DEP_4) | instskip(SKIP_2) | instid1(VALU_DEP_3)
	v_xor3_b32 v4, v22, v6, v7
	v_mad_u64_u32 v[6:7], null, 0xd2511f53, v1, 0
	v_add_co_u32 v31, null, 0x1fd5c5a3, v15
	v_mad_u64_u32 v[8:9], null, 0xcd9e8d57, v4, 0
	v_add_co_u32 v32, null, 0x5384540f, v11
	s_delay_alu instid0(VALU_DEP_4) | instskip(SKIP_4) | instid1(VALU_DEP_4)
	v_xor3_b32 v1, v23, v7, v5
	s_clause 0x1
	s_load_b64 s[6:7], s[0:1], 0x30
	s_load_b32 s0, s[0:1], 0x38
	v_add_co_u32 v36, null, 0xf1bbcdc8, v11
	v_xor3_b32 v5, v24, v9, v3
	v_mad_u64_u32 v[3:4], null, 0xcd9e8d57, v1, 0
	s_waitcnt lgkmcnt(0)
	v_cvt_f32_f64_e32 v33, s[12:13]
	v_add_co_u32 v37, null, 0xdb3d7428, v15
	v_mad_u64_u32 v[9:10], null, 0xd2511f53, v5, 0
	v_dual_mov_b32 v42, v14 :: v_dual_add_nc_u32 v35, 0x8ff34781, v11
	v_xor3_b32 v1, v25, v4, v8
	v_dual_mov_b32 v39, v13 :: v_dual_add_nc_u32 v38, 0x96a522ad, v12
	s_delay_alu instid0(VALU_DEP_4) | instskip(NEXT) | instid1(VALU_DEP_3)
	v_xor3_b32 v8, v26, v10, v6
	v_mad_u64_u32 v[4:5], null, 0xd2511f53, v1, 0
	s_mul_i32 s1, s11, s0
	s_delay_alu instid0(VALU_DEP_2) | instskip(SKIP_1) | instid1(VALU_DEP_2)
	v_mad_u64_u32 v[6:7], null, 0xcd9e8d57, v8, 0
	s_mul_i32 s1, s1, s10
	v_xor3_b32 v1, v27, v5, v9
	s_lshl_b32 s1, s1, 2
	s_delay_alu instid0(VALU_DEP_2) | instskip(NEXT) | instid1(VALU_DEP_2)
	v_xor3_b32 v3, v28, v7, v3
	v_mad_u64_u32 v[7:8], null, 0xcd9e8d57, v1, 0
	s_delay_alu instid0(VALU_DEP_2) | instskip(NEXT) | instid1(VALU_DEP_2)
	v_mad_u64_u32 v[9:10], null, 0xd2511f53, v3, 0
	v_xor3_b32 v1, v29, v8, v6
	s_delay_alu instid0(VALU_DEP_2) | instskip(NEXT) | instid1(VALU_DEP_2)
	v_xor3_b32 v8, v30, v10, v4
	v_mad_u64_u32 v[3:4], null, 0xd2511f53, v1, 0
	s_delay_alu instid0(VALU_DEP_2) | instskip(NEXT) | instid1(VALU_DEP_2)
	v_mad_u64_u32 v[5:6], null, 0xcd9e8d57, v8, 0
	v_xor3_b32 v1, v31, v4, v9
	s_delay_alu instid0(VALU_DEP_2) | instskip(NEXT) | instid1(VALU_DEP_2)
	v_xor3_b32 v2, v32, v6, v7
	v_mad_u64_u32 v[6:7], null, 0xcd9e8d57, v1, 0
	v_mad_u64_u32 v[15:16], null, s15, s10, v[0:1]
	s_delay_alu instid0(VALU_DEP_3) | instskip(SKIP_1) | instid1(VALU_DEP_3)
	v_mad_u64_u32 v[8:9], null, 0xd2511f53, v2, 0
	s_add_i32 s15, s15, s11
	v_xor3_b32 v1, v36, v7, v5
	s_delay_alu instid0(VALU_DEP_3) | instskip(NEXT) | instid1(VALU_DEP_3)
	v_mul_lo_u32 v40, s0, v15
	v_xor3_b32 v7, v37, v9, v3
	s_delay_alu instid0(VALU_DEP_3) | instskip(SKIP_1) | instid1(VALU_DEP_3)
	v_mad_u64_u32 v[3:4], null, s15, s10, v[0:1]
	v_mad_u64_u32 v[4:5], null, 0xd2511f53, v1, 0
	v_mad_u64_u32 v[1:2], null, 0xcd9e8d57, v7, 0
	s_mov_b32 s10, 0
	s_delay_alu instid0(VALU_DEP_3) | instskip(SKIP_1) | instid1(VALU_DEP_3)
	v_mul_lo_u32 v41, s0, v3
	s_mov_b32 s0, 0
	v_mov_b32_e32 v3, v4
	s_delay_alu instid0(VALU_DEP_3)
	v_xor3_b32 v0, v2, v6, v35
	v_xor3_b32 v2, v5, v8, v38
	s_branch .LBB137_8
.LBB137_7:                              ;   in Loop: Header=BB137_8 Depth=1
	s_or_b32 exec_lo, exec_lo, s11
	v_add_co_u32 v13, vcc_lo, v13, s9
	v_add_co_ci_u32_e32 v14, vcc_lo, 0, v14, vcc_lo
	v_mov_b32_e32 v7, v15
	v_dual_mov_b32 v0, v4 :: v_dual_mov_b32 v1, v5
	s_delay_alu instid0(VALU_DEP_3) | instskip(NEXT) | instid1(VALU_DEP_3)
	v_cmp_le_i64_e32 vcc_lo, s[2:3], v[13:14]
	v_dual_mov_b32 v2, v6 :: v_dual_mov_b32 v3, v7
	s_add_i32 s10, s10, s1
	s_waitcnt_vscnt null, 0x0
	s_barrier
	s_or_b32 s0, vcc_lo, s0
	buffer_gl0_inv
	s_and_not1_b32 exec_lo, exec_lo, s0
	s_cbranch_execz .LBB137_22
.LBB137_8:                              ; =>This Inner Loop Header: Depth=1
	v_add_co_u32 v17, vcc_lo, v17, 1
	s_delay_alu instid0(VALU_DEP_1) | instskip(SKIP_2) | instid1(VALU_DEP_1)
	v_cndmask_b32_e64 v4, 0, 1, vcc_lo
	v_add_co_ci_u32_e32 v18, vcc_lo, 0, v18, vcc_lo
	s_mov_b32 s11, exec_lo
	v_cmp_eq_u32_e32 vcc_lo, 0, v18
	s_delay_alu instid0(VALU_DEP_3) | instskip(NEXT) | instid1(VALU_DEP_1)
	v_cndmask_b32_e32 v4, 0, v4, vcc_lo
	v_add_nc_u32_e32 v39, v4, v39
	s_delay_alu instid0(VALU_DEP_1) | instskip(SKIP_2) | instid1(VALU_DEP_2)
	v_cmp_eq_u32_e32 vcc_lo, 0, v39
	v_cndmask_b32_e32 v4, 0, v4, vcc_lo
	v_mad_u64_u32 v[6:7], null, 0xcd9e8d57, v39, 0
	v_add_nc_u32_e32 v42, v4, v42
	v_mad_u64_u32 v[4:5], null, 0xd2511f53, v17, 0
	s_delay_alu instid0(VALU_DEP_3) | instskip(NEXT) | instid1(VALU_DEP_2)
	v_xor3_b32 v9, v7, v11, v18
	v_xor_b32_e32 v5, v5, v12
	s_delay_alu instid0(VALU_DEP_2) | instskip(NEXT) | instid1(VALU_DEP_2)
	v_mad_u64_u32 v[7:8], null, 0xd2511f53, v9, 0
	v_xor_b32_e32 v5, v42, v5
	s_delay_alu instid0(VALU_DEP_2) | instskip(NEXT) | instid1(VALU_DEP_2)
	v_xor3_b32 v8, v19, v8, v4
	v_mad_u64_u32 v[9:10], null, 0xcd9e8d57, v5, 0
	s_delay_alu instid0(VALU_DEP_2) | instskip(NEXT) | instid1(VALU_DEP_2)
	v_mad_u64_u32 v[4:5], null, 0xcd9e8d57, v8, 0
	v_xor3_b32 v6, v20, v10, v6
	s_delay_alu instid0(VALU_DEP_2) | instskip(NEXT) | instid1(VALU_DEP_2)
	v_xor3_b32 v8, v21, v5, v9
	v_mad_u64_u32 v[15:16], null, 0xd2511f53, v6, 0
	s_delay_alu instid0(VALU_DEP_2) | instskip(NEXT) | instid1(VALU_DEP_2)
	v_mad_u64_u32 v[5:6], null, 0xd2511f53, v8, 0
	v_xor3_b32 v9, v22, v16, v7
	s_delay_alu instid0(VALU_DEP_2) | instskip(NEXT) | instid1(VALU_DEP_2)
	v_xor3_b32 v6, v23, v6, v15
	v_mad_u64_u32 v[7:8], null, 0xcd9e8d57, v9, 0
	s_delay_alu instid0(VALU_DEP_1) | instskip(NEXT) | instid1(VALU_DEP_3)
	v_xor3_b32 v4, v24, v8, v4
	v_mad_u64_u32 v[8:9], null, 0xcd9e8d57, v6, 0
	s_delay_alu instid0(VALU_DEP_2) | instskip(NEXT) | instid1(VALU_DEP_2)
	v_mad_u64_u32 v[15:16], null, 0xd2511f53, v4, 0
	v_xor3_b32 v6, v25, v9, v7
	s_delay_alu instid0(VALU_DEP_2) | instskip(NEXT) | instid1(VALU_DEP_2)
	v_xor3_b32 v9, v26, v16, v5
	v_mad_u64_u32 v[4:5], null, 0xd2511f53, v6, 0
	s_delay_alu instid0(VALU_DEP_2) | instskip(NEXT) | instid1(VALU_DEP_2)
	v_mad_u64_u32 v[6:7], null, 0xcd9e8d57, v9, 0
	v_xor3_b32 v5, v27, v5, v15
	s_delay_alu instid0(VALU_DEP_2) | instskip(NEXT) | instid1(VALU_DEP_2)
	;; [unrolled: 6-line block ×6, first 2 shown]
	v_xor3_b32 v4, v6, v7, v35
	v_mov_b32_e32 v6, v10
	v_cmpx_lt_i32_e32 1, v34
	s_xor_b32 s11, exec_lo, s11
	s_cbranch_execnz .LBB137_14
; %bb.9:                                ;   in Loop: Header=BB137_8 Depth=1
	s_and_not1_saveexec_b32 s11, s11
	s_cbranch_execnz .LBB137_19
.LBB137_10:                             ;   in Loop: Header=BB137_8 Depth=1
	s_or_b32 exec_lo, exec_lo, s11
	s_delay_alu instid0(SALU_CYCLE_1)
	s_mov_b32 s11, exec_lo
	v_cmpx_gt_i64_e64 s[4:5], v[13:14]
	s_cbranch_execz .LBB137_12
.LBB137_11:                             ;   in Loop: Header=BB137_8 Depth=1
	v_lshrrev_b32_e32 v1, 11, v1
	s_delay_alu instid0(VALU_DEP_1) | instskip(SKIP_1) | instid1(VALU_DEP_2)
	v_cvt_f64_u32_e32 v[7:8], v1
	v_cvt_f64_u32_e32 v[0:1], v0
	v_ldexp_f64 v[7:8], v[7:8], 32
	s_delay_alu instid0(VALU_DEP_1) | instskip(NEXT) | instid1(VALU_DEP_1)
	v_add_f64 v[0:1], v[7:8], v[0:1]
	v_fma_f64 v[0:1], 0x3ca00000, v[0:1], 0x3ca00000
	s_delay_alu instid0(VALU_DEP_1) | instskip(SKIP_1) | instid1(VALU_DEP_1)
	v_cvt_f32_f64_e32 v7, v[0:1]
	v_add_nc_u32_e32 v0, s10, v40
	v_ashrrev_i32_e32 v1, 31, v0
	v_add_co_u32 v0, vcc_lo, s6, v0
	s_delay_alu instid0(VALU_DEP_2)
	v_add_co_ci_u32_e32 v1, vcc_lo, s7, v1, vcc_lo
	v_cmp_gt_f32_e32 vcc_lo, v33, v7
	v_cndmask_b32_e64 v7, 0, 1, vcc_lo
	global_store_b16 v[0:1], v7, off
.LBB137_12:                             ;   in Loop: Header=BB137_8 Depth=1
	s_or_b32 exec_lo, exec_lo, s11
	v_add_co_u32 v0, vcc_lo, s8, v13
	v_add_co_ci_u32_e32 v1, vcc_lo, 0, v14, vcc_lo
	s_mov_b32 s11, exec_lo
	s_delay_alu instid0(VALU_DEP_1)
	v_cmpx_gt_i64_e64 s[4:5], v[0:1]
	s_cbranch_execz .LBB137_7
; %bb.13:                               ;   in Loop: Header=BB137_8 Depth=1
	v_lshrrev_b32_e32 v0, 11, v3
	v_cvt_f64_u32_e32 v[2:3], v2
	s_delay_alu instid0(VALU_DEP_2) | instskip(NEXT) | instid1(VALU_DEP_1)
	v_cvt_f64_u32_e32 v[0:1], v0
	v_ldexp_f64 v[0:1], v[0:1], 32
	s_delay_alu instid0(VALU_DEP_1) | instskip(NEXT) | instid1(VALU_DEP_1)
	v_add_f64 v[0:1], v[0:1], v[2:3]
	v_fma_f64 v[0:1], 0x3ca00000, v[0:1], 0x3ca00000
	s_delay_alu instid0(VALU_DEP_1) | instskip(SKIP_1) | instid1(VALU_DEP_1)
	v_cvt_f32_f64_e32 v2, v[0:1]
	v_add_nc_u32_e32 v0, s10, v41
	v_ashrrev_i32_e32 v1, 31, v0
	v_add_co_u32 v0, vcc_lo, s6, v0
	s_delay_alu instid0(VALU_DEP_2)
	v_add_co_ci_u32_e32 v1, vcc_lo, s7, v1, vcc_lo
	v_cmp_gt_f32_e32 vcc_lo, v33, v2
	v_cndmask_b32_e64 v2, 0, 1, vcc_lo
	global_store_b16 v[0:1], v2, off
	s_branch .LBB137_7
.LBB137_14:                             ;   in Loop: Header=BB137_8 Depth=1
	s_mov_b32 s12, exec_lo
	v_cmpx_lt_i32_e32 2, v34
	s_xor_b32 s12, exec_lo, s12
; %bb.15:                               ;   in Loop: Header=BB137_8 Depth=1
	v_dual_mov_b32 v7, v3 :: v_dual_mov_b32 v8, v4
	v_mov_b32_e32 v9, v5
	s_delay_alu instid0(VALU_DEP_2) | instskip(NEXT) | instid1(VALU_DEP_2)
	v_dual_mov_b32 v0, v7 :: v_dual_mov_b32 v1, v8
	v_dual_mov_b32 v2, v9 :: v_dual_mov_b32 v3, v10
; %bb.16:                               ;   in Loop: Header=BB137_8 Depth=1
	s_and_not1_saveexec_b32 s12, s12
; %bb.17:                               ;   in Loop: Header=BB137_8 Depth=1
	s_delay_alu instid0(VALU_DEP_1)
	v_dual_mov_b32 v0, v2 :: v_dual_mov_b32 v1, v3
	v_dual_mov_b32 v2, v4 :: v_dual_mov_b32 v3, v5
; %bb.18:                               ;   in Loop: Header=BB137_8 Depth=1
	s_or_b32 exec_lo, exec_lo, s12
	s_and_not1_saveexec_b32 s11, s11
	s_cbranch_execz .LBB137_10
.LBB137_19:                             ;   in Loop: Header=BB137_8 Depth=1
	s_mov_b32 s12, exec_lo
	v_cmpx_eq_u32_e32 1, v34
; %bb.20:                               ;   in Loop: Header=BB137_8 Depth=1
	v_dual_mov_b32 v0, v1 :: v_dual_mov_b32 v1, v2
	v_dual_mov_b32 v2, v3 :: v_dual_mov_b32 v3, v4
; %bb.21:                               ;   in Loop: Header=BB137_8 Depth=1
	s_or_b32 exec_lo, exec_lo, s12
	s_delay_alu instid0(SALU_CYCLE_1) | instskip(NEXT) | instid1(SALU_CYCLE_1)
	s_or_b32 exec_lo, exec_lo, s11
	s_mov_b32 s11, exec_lo
	v_cmpx_gt_i64_e64 s[4:5], v[13:14]
	s_cbranch_execnz .LBB137_11
	s_branch .LBB137_12
.LBB137_22:
	s_endpgm
.LBB137_23:
                                        ; implicit-def: $sgpr2_sgpr3
	s_branch .LBB137_4
	.section	.rodata,"a",@progbits
	.p2align	6, 0x0
	.amdhsa_kernel _ZN2at6native12_GLOBAL__N_143distribution_elementwise_grid_stride_kernelIfLi4EZNS0_9templates4cuda21uniform_and_transformIsfPNS_17CUDAGeneratorImplEZZZNS4_16bernoulli_kernelIS7_EEvRNS_18TensorIteratorBaseEdT_ENKUlvE_clEvENKUlvE3_clEvEUlfE_EEvSA_T1_T2_EUlP25hiprandStatePhilox4_32_10E_ZNS1_27distribution_nullary_kernelIsf15HIP_vector_typeIdLj2EES7_SJ_SE_EEvSA_SG_RKT3_T4_EUlifE_EEvlNS_15PhiloxCudaStateESF_SG_
		.amdhsa_group_segment_fixed_size 0
		.amdhsa_private_segment_fixed_size 0
		.amdhsa_kernarg_size 328
		.amdhsa_user_sgpr_count 15
		.amdhsa_user_sgpr_dispatch_ptr 0
		.amdhsa_user_sgpr_queue_ptr 0
		.amdhsa_user_sgpr_kernarg_segment_ptr 1
		.amdhsa_user_sgpr_dispatch_id 0
		.amdhsa_user_sgpr_private_segment_size 0
		.amdhsa_wavefront_size32 1
		.amdhsa_uses_dynamic_stack 0
		.amdhsa_enable_private_segment 0
		.amdhsa_system_sgpr_workgroup_id_x 1
		.amdhsa_system_sgpr_workgroup_id_y 0
		.amdhsa_system_sgpr_workgroup_id_z 0
		.amdhsa_system_sgpr_workgroup_info 0
		.amdhsa_system_vgpr_workitem_id 0
		.amdhsa_next_free_vgpr 43
		.amdhsa_next_free_sgpr 23
		.amdhsa_reserve_vcc 1
		.amdhsa_float_round_mode_32 0
		.amdhsa_float_round_mode_16_64 0
		.amdhsa_float_denorm_mode_32 3
		.amdhsa_float_denorm_mode_16_64 3
		.amdhsa_dx10_clamp 1
		.amdhsa_ieee_mode 1
		.amdhsa_fp16_overflow 0
		.amdhsa_workgroup_processor_mode 1
		.amdhsa_memory_ordered 1
		.amdhsa_forward_progress 0
		.amdhsa_shared_vgpr_count 0
		.amdhsa_exception_fp_ieee_invalid_op 0
		.amdhsa_exception_fp_denorm_src 0
		.amdhsa_exception_fp_ieee_div_zero 0
		.amdhsa_exception_fp_ieee_overflow 0
		.amdhsa_exception_fp_ieee_underflow 0
		.amdhsa_exception_fp_ieee_inexact 0
		.amdhsa_exception_int_div_zero 0
	.end_amdhsa_kernel
	.section	.text._ZN2at6native12_GLOBAL__N_143distribution_elementwise_grid_stride_kernelIfLi4EZNS0_9templates4cuda21uniform_and_transformIsfPNS_17CUDAGeneratorImplEZZZNS4_16bernoulli_kernelIS7_EEvRNS_18TensorIteratorBaseEdT_ENKUlvE_clEvENKUlvE3_clEvEUlfE_EEvSA_T1_T2_EUlP25hiprandStatePhilox4_32_10E_ZNS1_27distribution_nullary_kernelIsf15HIP_vector_typeIdLj2EES7_SJ_SE_EEvSA_SG_RKT3_T4_EUlifE_EEvlNS_15PhiloxCudaStateESF_SG_,"axG",@progbits,_ZN2at6native12_GLOBAL__N_143distribution_elementwise_grid_stride_kernelIfLi4EZNS0_9templates4cuda21uniform_and_transformIsfPNS_17CUDAGeneratorImplEZZZNS4_16bernoulli_kernelIS7_EEvRNS_18TensorIteratorBaseEdT_ENKUlvE_clEvENKUlvE3_clEvEUlfE_EEvSA_T1_T2_EUlP25hiprandStatePhilox4_32_10E_ZNS1_27distribution_nullary_kernelIsf15HIP_vector_typeIdLj2EES7_SJ_SE_EEvSA_SG_RKT3_T4_EUlifE_EEvlNS_15PhiloxCudaStateESF_SG_,comdat
.Lfunc_end137:
	.size	_ZN2at6native12_GLOBAL__N_143distribution_elementwise_grid_stride_kernelIfLi4EZNS0_9templates4cuda21uniform_and_transformIsfPNS_17CUDAGeneratorImplEZZZNS4_16bernoulli_kernelIS7_EEvRNS_18TensorIteratorBaseEdT_ENKUlvE_clEvENKUlvE3_clEvEUlfE_EEvSA_T1_T2_EUlP25hiprandStatePhilox4_32_10E_ZNS1_27distribution_nullary_kernelIsf15HIP_vector_typeIdLj2EES7_SJ_SE_EEvSA_SG_RKT3_T4_EUlifE_EEvlNS_15PhiloxCudaStateESF_SG_, .Lfunc_end137-_ZN2at6native12_GLOBAL__N_143distribution_elementwise_grid_stride_kernelIfLi4EZNS0_9templates4cuda21uniform_and_transformIsfPNS_17CUDAGeneratorImplEZZZNS4_16bernoulli_kernelIS7_EEvRNS_18TensorIteratorBaseEdT_ENKUlvE_clEvENKUlvE3_clEvEUlfE_EEvSA_T1_T2_EUlP25hiprandStatePhilox4_32_10E_ZNS1_27distribution_nullary_kernelIsf15HIP_vector_typeIdLj2EES7_SJ_SE_EEvSA_SG_RKT3_T4_EUlifE_EEvlNS_15PhiloxCudaStateESF_SG_
                                        ; -- End function
	.section	.AMDGPU.csdata,"",@progbits
; Kernel info:
; codeLenInByte = 2760
; NumSgprs: 25
; NumVgprs: 43
; ScratchSize: 0
; MemoryBound: 0
; FloatMode: 240
; IeeeMode: 1
; LDSByteSize: 0 bytes/workgroup (compile time only)
; SGPRBlocks: 3
; VGPRBlocks: 5
; NumSGPRsForWavesPerEU: 25
; NumVGPRsForWavesPerEU: 43
; Occupancy: 16
; WaveLimiterHint : 0
; COMPUTE_PGM_RSRC2:SCRATCH_EN: 0
; COMPUTE_PGM_RSRC2:USER_SGPR: 15
; COMPUTE_PGM_RSRC2:TRAP_HANDLER: 0
; COMPUTE_PGM_RSRC2:TGID_X_EN: 1
; COMPUTE_PGM_RSRC2:TGID_Y_EN: 0
; COMPUTE_PGM_RSRC2:TGID_Z_EN: 0
; COMPUTE_PGM_RSRC2:TIDIG_COMP_CNT: 0
	.section	.text._ZN2at6native12_GLOBAL__N_143distribution_elementwise_grid_stride_kernelIfLi4EZNS0_9templates4cuda21uniform_and_transformIsfPNS_17CUDAGeneratorImplEZZZNS4_16bernoulli_kernelIS7_EEvRNS_18TensorIteratorBaseEdT_ENKUlvE_clEvENKUlvE3_clEvEUlfE_EEvSA_T1_T2_EUlP25hiprandStatePhilox4_32_10E_ZNS1_27distribution_nullary_kernelIsf15HIP_vector_typeIdLj2EES7_SJ_SE_EEvSA_SG_RKT3_T4_EUlifE0_EEvlNS_15PhiloxCudaStateESF_SG_,"axG",@progbits,_ZN2at6native12_GLOBAL__N_143distribution_elementwise_grid_stride_kernelIfLi4EZNS0_9templates4cuda21uniform_and_transformIsfPNS_17CUDAGeneratorImplEZZZNS4_16bernoulli_kernelIS7_EEvRNS_18TensorIteratorBaseEdT_ENKUlvE_clEvENKUlvE3_clEvEUlfE_EEvSA_T1_T2_EUlP25hiprandStatePhilox4_32_10E_ZNS1_27distribution_nullary_kernelIsf15HIP_vector_typeIdLj2EES7_SJ_SE_EEvSA_SG_RKT3_T4_EUlifE0_EEvlNS_15PhiloxCudaStateESF_SG_,comdat
	.globl	_ZN2at6native12_GLOBAL__N_143distribution_elementwise_grid_stride_kernelIfLi4EZNS0_9templates4cuda21uniform_and_transformIsfPNS_17CUDAGeneratorImplEZZZNS4_16bernoulli_kernelIS7_EEvRNS_18TensorIteratorBaseEdT_ENKUlvE_clEvENKUlvE3_clEvEUlfE_EEvSA_T1_T2_EUlP25hiprandStatePhilox4_32_10E_ZNS1_27distribution_nullary_kernelIsf15HIP_vector_typeIdLj2EES7_SJ_SE_EEvSA_SG_RKT3_T4_EUlifE0_EEvlNS_15PhiloxCudaStateESF_SG_ ; -- Begin function _ZN2at6native12_GLOBAL__N_143distribution_elementwise_grid_stride_kernelIfLi4EZNS0_9templates4cuda21uniform_and_transformIsfPNS_17CUDAGeneratorImplEZZZNS4_16bernoulli_kernelIS7_EEvRNS_18TensorIteratorBaseEdT_ENKUlvE_clEvENKUlvE3_clEvEUlfE_EEvSA_T1_T2_EUlP25hiprandStatePhilox4_32_10E_ZNS1_27distribution_nullary_kernelIsf15HIP_vector_typeIdLj2EES7_SJ_SE_EEvSA_SG_RKT3_T4_EUlifE0_EEvlNS_15PhiloxCudaStateESF_SG_
	.p2align	8
	.type	_ZN2at6native12_GLOBAL__N_143distribution_elementwise_grid_stride_kernelIfLi4EZNS0_9templates4cuda21uniform_and_transformIsfPNS_17CUDAGeneratorImplEZZZNS4_16bernoulli_kernelIS7_EEvRNS_18TensorIteratorBaseEdT_ENKUlvE_clEvENKUlvE3_clEvEUlfE_EEvSA_T1_T2_EUlP25hiprandStatePhilox4_32_10E_ZNS1_27distribution_nullary_kernelIsf15HIP_vector_typeIdLj2EES7_SJ_SE_EEvSA_SG_RKT3_T4_EUlifE0_EEvlNS_15PhiloxCudaStateESF_SG_,@function
_ZN2at6native12_GLOBAL__N_143distribution_elementwise_grid_stride_kernelIfLi4EZNS0_9templates4cuda21uniform_and_transformIsfPNS_17CUDAGeneratorImplEZZZNS4_16bernoulli_kernelIS7_EEvRNS_18TensorIteratorBaseEdT_ENKUlvE_clEvENKUlvE3_clEvEUlfE_EEvSA_T1_T2_EUlP25hiprandStatePhilox4_32_10E_ZNS1_27distribution_nullary_kernelIsf15HIP_vector_typeIdLj2EES7_SJ_SE_EEvSA_SG_RKT3_T4_EUlifE0_EEvlNS_15PhiloxCudaStateESF_SG_: ; @_ZN2at6native12_GLOBAL__N_143distribution_elementwise_grid_stride_kernelIfLi4EZNS0_9templates4cuda21uniform_and_transformIsfPNS_17CUDAGeneratorImplEZZZNS4_16bernoulli_kernelIS7_EEvRNS_18TensorIteratorBaseEdT_ENKUlvE_clEvENKUlvE3_clEvEUlfE_EEvSA_T1_T2_EUlP25hiprandStatePhilox4_32_10E_ZNS1_27distribution_nullary_kernelIsf15HIP_vector_typeIdLj2EES7_SJ_SE_EEvSA_SG_RKT3_T4_EUlifE0_EEvlNS_15PhiloxCudaStateESF_SG_
; %bb.0:
	s_clause 0x2
	s_load_b64 s[4:5], s[0:1], 0x10
	s_load_b128 s[16:19], s[0:1], 0x0
	s_load_b32 s2, s[0:1], 0x20
	s_waitcnt lgkmcnt(0)
	v_dual_mov_b32 v2, s4 :: v_dual_mov_b32 v3, s5
	v_dual_mov_b32 v11, s18 :: v_dual_mov_b32 v12, s19
	s_bitcmp0_b32 s2, 0
	s_mov_b32 s2, 0
	s_cbranch_scc1 .LBB138_2
; %bb.1:
	v_dual_mov_b32 v1, s4 :: v_dual_mov_b32 v2, s5
	v_dual_mov_b32 v4, s18 :: v_dual_mov_b32 v5, s19
	s_load_b64 s[4:5], s[0:1], 0x18
	flat_load_b64 v[2:3], v[1:2]
	flat_load_b64 v[11:12], v[4:5]
	s_waitcnt vmcnt(1) lgkmcnt(0)
	v_add_co_u32 v2, vcc_lo, v2, s4
	v_add_co_ci_u32_e32 v3, vcc_lo, s5, v3, vcc_lo
.LBB138_2:
	s_clause 0x1
	s_load_b32 s3, s[0:1], 0x154
	s_load_b32 s4, s[0:1], 0x148
	s_waitcnt lgkmcnt(0)
	s_and_b32 s5, s3, 0xffff
	s_add_u32 s6, s16, -1
	s_mul_i32 s24, s4, s5
	s_addc_u32 s3, s17, -1
	s_lshl_b32 s25, s24, 2
	s_cmp_lg_u64 s[2:3], 0
	s_cbranch_scc0 .LBB138_49
; %bb.3:
	v_cvt_f32_ubyte0_e32 v1, 0
	v_cvt_f32_u32_e32 v4, s25
	s_sub_u32 s8, 0, s25
	s_subb_u32 s9, 0, 0
	s_delay_alu instid0(VALU_DEP_1) | instskip(NEXT) | instid1(VALU_DEP_1)
	v_fmamk_f32 v1, v1, 0x4f800000, v4
	v_rcp_f32_e32 v1, v1
	s_waitcnt_depctr 0xfff
	v_mul_f32_e32 v1, 0x5f7ffffc, v1
	s_delay_alu instid0(VALU_DEP_1) | instskip(NEXT) | instid1(VALU_DEP_1)
	v_mul_f32_e32 v4, 0x2f800000, v1
	v_trunc_f32_e32 v4, v4
	s_delay_alu instid0(VALU_DEP_1) | instskip(SKIP_1) | instid1(VALU_DEP_2)
	v_fmamk_f32 v1, v4, 0xcf800000, v1
	v_cvt_u32_f32_e32 v4, v4
	v_cvt_u32_f32_e32 v1, v1
	s_delay_alu instid0(VALU_DEP_2) | instskip(NEXT) | instid1(VALU_DEP_2)
	v_readfirstlane_b32 s2, v4
	v_readfirstlane_b32 s7, v1
	s_delay_alu instid0(VALU_DEP_2) | instskip(NEXT) | instid1(VALU_DEP_1)
	s_mul_i32 s10, s8, s2
	s_mul_hi_u32 s12, s8, s7
	s_mul_i32 s11, s9, s7
	s_add_i32 s10, s12, s10
	s_mul_i32 s13, s8, s7
	s_add_i32 s10, s10, s11
	s_mul_hi_u32 s12, s7, s13
	s_mul_hi_u32 s14, s2, s13
	s_mul_i32 s11, s2, s13
	s_mul_hi_u32 s13, s7, s10
	s_mul_i32 s7, s7, s10
	s_mul_hi_u32 s18, s2, s10
	s_add_u32 s7, s12, s7
	s_addc_u32 s12, 0, s13
	s_add_u32 s7, s7, s11
	s_mul_i32 s10, s2, s10
	s_addc_u32 s7, s12, s14
	s_addc_u32 s11, s18, 0
	s_add_u32 s7, s7, s10
	s_addc_u32 s10, 0, s11
	v_add_co_u32 v1, s7, v1, s7
	s_delay_alu instid0(VALU_DEP_1) | instskip(SKIP_1) | instid1(VALU_DEP_1)
	s_cmp_lg_u32 s7, 0
	s_addc_u32 s2, s2, s10
	v_readfirstlane_b32 s7, v1
	s_mul_i32 s10, s8, s2
	s_delay_alu instid0(VALU_DEP_1)
	s_mul_hi_u32 s11, s8, s7
	s_mul_i32 s9, s9, s7
	s_add_i32 s10, s11, s10
	s_mul_i32 s8, s8, s7
	s_add_i32 s10, s10, s9
	s_mul_hi_u32 s11, s2, s8
	s_mul_i32 s12, s2, s8
	s_mul_hi_u32 s8, s7, s8
	s_mul_hi_u32 s13, s7, s10
	s_mul_i32 s7, s7, s10
	s_mul_hi_u32 s9, s2, s10
	s_add_u32 s7, s8, s7
	s_addc_u32 s8, 0, s13
	s_add_u32 s7, s7, s12
	s_mul_i32 s10, s2, s10
	s_addc_u32 s7, s8, s11
	s_addc_u32 s8, s9, 0
	s_add_u32 s7, s7, s10
	s_addc_u32 s8, 0, s8
	v_add_co_u32 v1, s7, v1, s7
	s_delay_alu instid0(VALU_DEP_1) | instskip(SKIP_2) | instid1(VALU_DEP_1)
	s_cmp_lg_u32 s7, 0
	s_addc_u32 s7, s2, s8
	s_ashr_i32 s8, s3, 31
	v_readfirstlane_b32 s10, v1
	s_add_u32 s2, s6, s8
	s_mov_b32 s9, s8
	s_addc_u32 s3, s3, s8
	s_delay_alu instid0(SALU_CYCLE_1) | instskip(NEXT) | instid1(SALU_CYCLE_1)
	s_xor_b64 s[2:3], s[2:3], s[8:9]
	s_mul_i32 s12, s2, s7
	s_mul_hi_u32 s13, s2, s10
	s_mul_hi_u32 s11, s2, s7
	;; [unrolled: 1-line block ×3, first 2 shown]
	s_mul_i32 s10, s3, s10
	s_add_u32 s12, s13, s12
	s_addc_u32 s11, 0, s11
	s_mul_hi_u32 s14, s3, s7
	s_add_u32 s10, s12, s10
	s_mul_i32 s7, s3, s7
	s_addc_u32 s10, s11, s18
	s_addc_u32 s11, s14, 0
	s_add_u32 s7, s10, s7
	s_addc_u32 s10, 0, s11
	s_mul_i32 s12, s25, s7
	s_add_u32 s11, s7, 1
	v_sub_co_u32 v1, s2, s2, s12
	s_mul_hi_u32 s12, s25, s7
	s_addc_u32 s13, s10, 0
	s_mul_i32 s14, s25, s10
	s_delay_alu instid0(VALU_DEP_1)
	v_sub_co_u32 v4, s18, v1, s25
	s_add_u32 s19, s7, 2
	s_addc_u32 s20, s10, 0
	s_add_i32 s12, s12, s14
	s_cmp_lg_u32 s2, 0
	v_readfirstlane_b32 s2, v4
	s_subb_u32 s3, s3, s12
	s_cmp_lg_u32 s18, 0
	s_subb_u32 s12, s3, 0
	s_delay_alu instid0(VALU_DEP_1) | instskip(SKIP_4) | instid1(SALU_CYCLE_1)
	s_cmp_ge_u32 s2, s25
	s_cselect_b32 s2, -1, 0
	s_cmp_eq_u32 s12, 0
	v_readfirstlane_b32 s12, v1
	s_cselect_b32 s2, s2, -1
	s_cmp_lg_u32 s2, 0
	s_cselect_b32 s2, s19, s11
	s_cselect_b32 s11, s20, s13
	s_cmp_ge_u32 s12, s25
	s_cselect_b32 s12, -1, 0
	s_cmp_eq_u32 s3, 0
	s_cselect_b32 s3, s12, -1
	s_delay_alu instid0(SALU_CYCLE_1) | instskip(SKIP_2) | instid1(SALU_CYCLE_1)
	s_cmp_lg_u32 s3, 0
	s_cselect_b32 s3, s11, s10
	s_cselect_b32 s2, s2, s7
	s_xor_b64 s[2:3], s[2:3], s[8:9]
	s_delay_alu instid0(SALU_CYCLE_1)
	s_sub_u32 s2, s2, s8
	s_subb_u32 s3, s3, s8
	s_cbranch_execnz .LBB138_5
.LBB138_4:
	v_cvt_f32_u32_e32 v1, s25
	s_sub_i32 s3, 0, s25
	s_delay_alu instid0(VALU_DEP_1) | instskip(SKIP_2) | instid1(VALU_DEP_1)
	v_rcp_iflag_f32_e32 v1, v1
	s_waitcnt_depctr 0xfff
	v_mul_f32_e32 v1, 0x4f7ffffe, v1
	v_cvt_u32_f32_e32 v1, v1
	s_delay_alu instid0(VALU_DEP_1) | instskip(NEXT) | instid1(VALU_DEP_1)
	v_readfirstlane_b32 s2, v1
	s_mul_i32 s3, s3, s2
	s_delay_alu instid0(SALU_CYCLE_1) | instskip(NEXT) | instid1(SALU_CYCLE_1)
	s_mul_hi_u32 s3, s2, s3
	s_add_i32 s2, s2, s3
	s_delay_alu instid0(SALU_CYCLE_1) | instskip(NEXT) | instid1(SALU_CYCLE_1)
	s_mul_hi_u32 s2, s6, s2
	s_mul_i32 s3, s2, s25
	s_delay_alu instid0(SALU_CYCLE_1)
	s_sub_i32 s3, s6, s3
	s_add_i32 s6, s2, 1
	s_sub_i32 s7, s3, s25
	s_cmp_ge_u32 s3, s25
	s_cselect_b32 s2, s6, s2
	s_cselect_b32 s3, s7, s3
	s_add_i32 s6, s2, 1
	s_cmp_ge_u32 s3, s25
	s_mov_b32 s3, 0
	s_cselect_b32 s2, s6, s2
.LBB138_5:
	v_mov_b32_e32 v1, 0
	s_add_u32 s2, s2, 1
	s_addc_u32 s3, s3, 0
	s_mul_hi_u32 s6, s24, s2
	s_mul_i32 s3, s24, s3
	v_mad_u64_u32 v[13:14], null, s5, s15, v[0:1]
	s_mul_hi_u32 s4, s4, s5
	s_add_i32 s3, s6, s3
	s_mul_i32 s4, s4, s2
	s_mul_i32 s2, s24, s2
	s_add_i32 s3, s3, s4
	s_mov_b32 s4, exec_lo
	s_lshl_b64 s[2:3], s[2:3], 2
	s_delay_alu instid0(SALU_CYCLE_1)
	v_cmpx_gt_i64_e64 s[2:3], v[13:14]
	s_cbranch_execz .LBB138_48
; %bb.6:
	v_alignbit_b32 v17, v3, v2, 2
	v_mad_u64_u32 v[4:5], null, 0xcd9e8d57, v13, 0
	v_lshrrev_b32_e32 v18, 2, v3
	s_waitcnt vmcnt(0)
	v_dual_mov_b32 v9, v12 :: v_dual_add_nc_u32 v28, 0x8ff34781, v11
	v_mad_u64_u32 v[0:1], null, 0xd2511f53, v17, 0
	v_add_co_u32 v20, null, 0x9e3779b9, v11
	v_xor3_b32 v3, v11, v5, v18
	s_delay_alu instid0(VALU_DEP_4) | instskip(SKIP_2) | instid1(VALU_DEP_4)
	v_add_co_u32 v19, null, 0xbb67ae85, v9
	v_add_co_u32 v21, null, 0x3c6ef372, v11
	v_xor_b32_e32 v1, v1, v12
	v_mad_u64_u32 v[5:6], null, 0xd2511f53, v3, 0
	v_add_co_u32 v22, null, 0x76cf5d0a, v9
	s_delay_alu instid0(VALU_DEP_3) | instskip(SKIP_2) | instid1(VALU_DEP_3)
	v_xor_b32_e32 v1, v1, v14
	v_add_co_u32 v23, null, 0x32370b8f, v9
	v_add_co_u32 v24, null, 0xdaa66d2b, v11
	v_mad_u64_u32 v[7:8], null, 0xcd9e8d57, v1, 0
	v_xor3_b32 v3, v19, v6, v0
	v_add_co_u32 v25, null, 0x78dde6e4, v11
	v_add_co_u32 v26, null, 0xed9eba14, v9
	s_delay_alu instid0(VALU_DEP_3) | instskip(SKIP_3) | instid1(VALU_DEP_3)
	v_mad_u64_u32 v[0:1], null, 0xcd9e8d57, v3, 0
	v_xor3_b32 v6, v20, v8, v4
	v_dual_mov_b32 v40, v14 :: v_dual_and_b32 v27, 3, v2
	v_add_co_u32 v29, null, 0xa9066899, v9
	v_mad_u64_u32 v[3:4], null, 0xd2511f53, v6, 0
	v_xor3_b32 v1, v21, v1, v7
	v_add_co_u32 v30, null, 0x1715609d, v11
	s_clause 0x1
	s_load_b64 s[20:21], s[0:1], 0xf4
	s_load_b128 s[12:15], s[0:1], 0x138
	v_add_co_u32 v32, null, 0xb54cda56, v11
	s_delay_alu instid0(VALU_DEP_4) | instskip(SKIP_2) | instid1(VALU_DEP_3)
	v_xor3_b32 v8, v22, v4, v5
	v_mad_u64_u32 v[4:5], null, 0xd2511f53, v1, 0
	v_add_co_u32 v33, null, 0x646e171e, v9
	v_mad_u64_u32 v[6:7], null, 0xcd9e8d57, v8, 0
	s_load_b256 s[4:11], s[0:1], 0x30
	v_add_co_u32 v31, null, 0x5384540f, v11
	s_delay_alu instid0(VALU_DEP_4) | instskip(SKIP_1) | instid1(VALU_DEP_4)
	v_xor3_b32 v3, v23, v5, v3
	v_add_co_u32 v35, null, 0x1fd5c5a3, v9
	v_xor3_b32 v5, v24, v7, v0
	v_add_co_u32 v34, null, 0xf1bbcdc8, v11
	s_delay_alu instid0(VALU_DEP_4) | instskip(NEXT) | instid1(VALU_DEP_3)
	v_mad_u64_u32 v[0:1], null, 0xcd9e8d57, v3, 0
	v_mad_u64_u32 v[7:8], null, 0xd2511f53, v5, 0
	s_waitcnt lgkmcnt(0)
	v_cvt_f32_f64_e32 v36, s[14:15]
	v_add_co_u32 v37, null, 0xdb3d7428, v9
	s_add_u32 s18, s0, 48
	s_delay_alu instid0(VALU_DEP_4) | instskip(SKIP_1) | instid1(VALU_DEP_4)
	v_xor3_b32 v3, v25, v1, v6
	s_addc_u32 s19, s1, 0
	v_xor3_b32 v5, v26, v8, v4
	s_add_i32 s22, s4, -1
	v_dual_mov_b32 v39, v13 :: v_dual_add_nc_u32 v38, 0x96a522ad, v12
	v_mad_u64_u32 v[1:2], null, 0xd2511f53, v3, 0
	s_delay_alu instid0(VALU_DEP_3) | instskip(SKIP_4) | instid1(VALU_DEP_2)
	v_mad_u64_u32 v[3:4], null, 0xcd9e8d57, v5, 0
	s_cmp_gt_u32 s22, 1
	s_mov_b32 s26, 0
	s_cselect_b32 s11, -1, 0
	s_cmp_lg_u32 s4, 0
	v_xor3_b32 v2, v29, v2, v7
	s_cselect_b32 s27, -1, 0
	s_delay_alu instid0(VALU_DEP_2) | instskip(SKIP_3) | instid1(VALU_DEP_2)
	v_xor3_b32 v0, v30, v4, v0
	s_add_u32 s0, s0, 0xf4
	s_addc_u32 s1, s1, 0
	v_mad_u64_u32 v[4:5], null, 0xcd9e8d57, v2, 0
	v_mad_u64_u32 v[6:7], null, 0xd2511f53, v0, 0
	s_min_u32 s14, s22, 15
	s_cmp_gt_u32 s4, 1
	s_cselect_b32 s4, -1, 0
	s_delay_alu instid0(VALU_DEP_2) | instskip(SKIP_1) | instid1(VALU_DEP_2)
	v_xor3_b32 v2, v32, v5, v3
	s_add_i32 s14, s14, 1
	v_xor3_b32 v5, v33, v7, v1
	s_and_b32 s28, s14, 3
	s_cmp_lg_u32 s22, 2
	v_mad_u64_u32 v[0:1], null, 0xd2511f53, v2, 0
	s_delay_alu instid0(VALU_DEP_2) | instskip(SKIP_3) | instid1(VALU_DEP_2)
	v_mad_u64_u32 v[2:3], null, 0xcd9e8d57, v5, 0
	s_cselect_b32 s29, -1, 0
	s_and_b32 s30, s14, 28
	s_cmp_lg_u32 s28, 0
	v_xor3_b32 v1, v35, v1, v6
	s_cselect_b32 s31, -1, 0
	s_delay_alu instid0(VALU_DEP_2) | instskip(NEXT) | instid1(VALU_DEP_2)
	v_xor3_b32 v3, v31, v3, v4
	v_mad_u64_u32 v[4:5], null, 0xcd9e8d57, v1, 0
	s_delay_alu instid0(VALU_DEP_2) | instskip(NEXT) | instid1(VALU_DEP_2)
	v_mad_u64_u32 v[6:7], null, 0xd2511f53, v3, 0
	v_xor3_b32 v1, v34, v5, v2
	s_delay_alu instid0(VALU_DEP_2) | instskip(NEXT) | instid1(VALU_DEP_2)
	v_xor3_b32 v0, v37, v7, v0
	v_mad_u64_u32 v[7:8], null, 0xd2511f53, v1, 0
	s_delay_alu instid0(VALU_DEP_2) | instskip(NEXT) | instid1(VALU_DEP_2)
	v_mad_u64_u32 v[1:2], null, 0xcd9e8d57, v0, 0
	v_mov_b32_e32 v3, v7
	s_delay_alu instid0(VALU_DEP_2) | instskip(NEXT) | instid1(VALU_DEP_4)
	v_xor3_b32 v0, v2, v4, v28
	v_xor3_b32 v2, v8, v6, v38
	s_branch .LBB138_9
.LBB138_7:                              ;   in Loop: Header=BB138_9 Depth=1
	v_lshrrev_b32_e32 v0, 11, v3
	v_cvt_f64_u32_e32 v[2:3], v2
	s_delay_alu instid0(VALU_DEP_2) | instskip(NEXT) | instid1(VALU_DEP_1)
	v_cvt_f64_u32_e32 v[7:8], v0
	v_ldexp_f64 v[7:8], v[7:8], 32
	s_delay_alu instid0(VALU_DEP_1) | instskip(NEXT) | instid1(VALU_DEP_1)
	v_add_f64 v[2:3], v[7:8], v[2:3]
	v_fma_f64 v[2:3], 0x3ca00000, v[2:3], 0x3ca00000
	s_delay_alu instid0(VALU_DEP_1) | instskip(NEXT) | instid1(VALU_DEP_1)
	v_cvt_f32_f64_e32 v0, v[2:3]
	v_cmp_gt_f32_e32 vcc_lo, v36, v0
	v_cndmask_b32_e64 v0, 0, 1, vcc_lo
	global_store_b16 v1, v0, s[12:13]
.LBB138_8:                              ;   in Loop: Header=BB138_9 Depth=1
	s_or_b32 exec_lo, exec_lo, s33
	v_add_co_u32 v13, vcc_lo, v13, s25
	v_add_co_ci_u32_e32 v14, vcc_lo, 0, v14, vcc_lo
	v_mov_b32_e32 v7, v15
	v_dual_mov_b32 v0, v4 :: v_dual_mov_b32 v1, v5
	s_delay_alu instid0(VALU_DEP_3) | instskip(NEXT) | instid1(VALU_DEP_3)
	v_cmp_le_i64_e32 vcc_lo, s[2:3], v[13:14]
	v_dual_mov_b32 v2, v6 :: v_dual_mov_b32 v3, v7
	s_waitcnt_vscnt null, 0x0
	s_barrier
	buffer_gl0_inv
	s_or_b32 s26, vcc_lo, s26
	s_delay_alu instid0(SALU_CYCLE_1)
	s_and_not1_b32 exec_lo, exec_lo, s26
	s_cbranch_execz .LBB138_48
.LBB138_9:                              ; =>This Loop Header: Depth=1
                                        ;     Child Loop BB138_24 Depth 2
                                        ;     Child Loop BB138_29 Depth 2
	;; [unrolled: 1-line block ×4, first 2 shown]
	v_add_co_u32 v17, vcc_lo, v17, 1
	s_delay_alu instid0(VALU_DEP_1) | instskip(SKIP_2) | instid1(VALU_DEP_1)
	v_cndmask_b32_e64 v4, 0, 1, vcc_lo
	v_add_co_ci_u32_e32 v18, vcc_lo, 0, v18, vcc_lo
	s_mov_b32 s14, exec_lo
	v_cmp_eq_u32_e32 vcc_lo, 0, v18
	s_delay_alu instid0(VALU_DEP_3) | instskip(NEXT) | instid1(VALU_DEP_1)
	v_cndmask_b32_e32 v4, 0, v4, vcc_lo
	v_add_nc_u32_e32 v39, v4, v39
	s_delay_alu instid0(VALU_DEP_1) | instskip(SKIP_2) | instid1(VALU_DEP_2)
	v_cmp_eq_u32_e32 vcc_lo, 0, v39
	v_cndmask_b32_e32 v4, 0, v4, vcc_lo
	v_mad_u64_u32 v[6:7], null, 0xcd9e8d57, v39, 0
	v_add_nc_u32_e32 v40, v4, v40
	v_mad_u64_u32 v[4:5], null, 0xd2511f53, v17, 0
	s_delay_alu instid0(VALU_DEP_3) | instskip(NEXT) | instid1(VALU_DEP_2)
	v_xor3_b32 v9, v7, v11, v18
	v_xor_b32_e32 v5, v5, v12
	s_delay_alu instid0(VALU_DEP_2) | instskip(NEXT) | instid1(VALU_DEP_2)
	v_mad_u64_u32 v[7:8], null, 0xd2511f53, v9, 0
	v_xor_b32_e32 v5, v40, v5
	s_delay_alu instid0(VALU_DEP_2) | instskip(NEXT) | instid1(VALU_DEP_2)
	v_xor3_b32 v8, v19, v8, v4
	v_mad_u64_u32 v[9:10], null, 0xcd9e8d57, v5, 0
	s_delay_alu instid0(VALU_DEP_2) | instskip(NEXT) | instid1(VALU_DEP_2)
	v_mad_u64_u32 v[4:5], null, 0xcd9e8d57, v8, 0
	v_xor3_b32 v6, v20, v10, v6
	s_delay_alu instid0(VALU_DEP_2) | instskip(NEXT) | instid1(VALU_DEP_2)
	v_xor3_b32 v8, v21, v5, v9
	v_mad_u64_u32 v[15:16], null, 0xd2511f53, v6, 0
	s_delay_alu instid0(VALU_DEP_2) | instskip(NEXT) | instid1(VALU_DEP_2)
	v_mad_u64_u32 v[5:6], null, 0xd2511f53, v8, 0
	v_xor3_b32 v9, v22, v16, v7
	s_delay_alu instid0(VALU_DEP_2) | instskip(NEXT) | instid1(VALU_DEP_2)
	v_xor3_b32 v6, v23, v6, v15
	v_mad_u64_u32 v[7:8], null, 0xcd9e8d57, v9, 0
	s_delay_alu instid0(VALU_DEP_1) | instskip(NEXT) | instid1(VALU_DEP_3)
	v_xor3_b32 v4, v24, v8, v4
	v_mad_u64_u32 v[8:9], null, 0xcd9e8d57, v6, 0
	s_delay_alu instid0(VALU_DEP_2) | instskip(NEXT) | instid1(VALU_DEP_2)
	v_mad_u64_u32 v[15:16], null, 0xd2511f53, v4, 0
	v_xor3_b32 v6, v25, v9, v7
	s_delay_alu instid0(VALU_DEP_2) | instskip(NEXT) | instid1(VALU_DEP_2)
	v_xor3_b32 v9, v26, v16, v5
	v_mad_u64_u32 v[4:5], null, 0xd2511f53, v6, 0
	s_delay_alu instid0(VALU_DEP_2) | instskip(NEXT) | instid1(VALU_DEP_2)
	v_mad_u64_u32 v[6:7], null, 0xcd9e8d57, v9, 0
	v_xor3_b32 v5, v29, v5, v15
	s_delay_alu instid0(VALU_DEP_2) | instskip(NEXT) | instid1(VALU_DEP_2)
	;; [unrolled: 6-line block ×6, first 2 shown]
	v_xor3_b32 v4, v6, v7, v28
	v_mov_b32_e32 v6, v10
	v_cmpx_lt_i32_e32 1, v27
	s_xor_b32 s14, exec_lo, s14
	s_cbranch_execnz .LBB138_12
; %bb.10:                               ;   in Loop: Header=BB138_9 Depth=1
	s_and_not1_saveexec_b32 s14, s14
	s_cbranch_execnz .LBB138_17
.LBB138_11:                             ;   in Loop: Header=BB138_9 Depth=1
	s_or_b32 exec_lo, exec_lo, s14
	s_delay_alu instid0(SALU_CYCLE_1)
	s_mov_b32 s33, exec_lo
	v_cmpx_gt_i64_e64 s[16:17], v[13:14]
	s_cbranch_execnz .LBB138_20
	s_branch .LBB138_34
.LBB138_12:                             ;   in Loop: Header=BB138_9 Depth=1
	s_mov_b32 s15, exec_lo
	v_cmpx_lt_i32_e32 2, v27
	s_xor_b32 s15, exec_lo, s15
; %bb.13:                               ;   in Loop: Header=BB138_9 Depth=1
	v_dual_mov_b32 v7, v3 :: v_dual_mov_b32 v8, v4
	v_mov_b32_e32 v9, v5
	s_delay_alu instid0(VALU_DEP_2) | instskip(NEXT) | instid1(VALU_DEP_2)
	v_dual_mov_b32 v0, v7 :: v_dual_mov_b32 v1, v8
	v_dual_mov_b32 v2, v9 :: v_dual_mov_b32 v3, v10
; %bb.14:                               ;   in Loop: Header=BB138_9 Depth=1
	s_and_not1_saveexec_b32 s15, s15
; %bb.15:                               ;   in Loop: Header=BB138_9 Depth=1
	s_delay_alu instid0(VALU_DEP_1)
	v_dual_mov_b32 v0, v2 :: v_dual_mov_b32 v1, v3
	v_dual_mov_b32 v2, v4 :: v_dual_mov_b32 v3, v5
; %bb.16:                               ;   in Loop: Header=BB138_9 Depth=1
	s_or_b32 exec_lo, exec_lo, s15
	s_and_not1_saveexec_b32 s14, s14
	s_cbranch_execz .LBB138_11
.LBB138_17:                             ;   in Loop: Header=BB138_9 Depth=1
	s_mov_b32 s15, exec_lo
	v_cmpx_eq_u32_e32 1, v27
; %bb.18:                               ;   in Loop: Header=BB138_9 Depth=1
	v_dual_mov_b32 v0, v1 :: v_dual_mov_b32 v1, v2
	v_dual_mov_b32 v2, v3 :: v_dual_mov_b32 v3, v4
; %bb.19:                               ;   in Loop: Header=BB138_9 Depth=1
	s_or_b32 exec_lo, exec_lo, s15
	s_delay_alu instid0(SALU_CYCLE_1) | instskip(NEXT) | instid1(SALU_CYCLE_1)
	s_or_b32 exec_lo, exec_lo, s14
	s_mov_b32 s33, exec_lo
	v_cmpx_gt_i64_e64 s[16:17], v[13:14]
	s_cbranch_execz .LBB138_34
.LBB138_20:                             ;   in Loop: Header=BB138_9 Depth=1
	s_and_not1_b32 vcc_lo, exec_lo, s11
	s_cbranch_vccnz .LBB138_26
; %bb.21:                               ;   in Loop: Header=BB138_9 Depth=1
	v_mov_b32_e32 v7, 0
	s_and_not1_b32 vcc_lo, exec_lo, s27
	s_cbranch_vccnz .LBB138_30
; %bb.22:                               ;   in Loop: Header=BB138_9 Depth=1
	s_and_not1_b32 vcc_lo, exec_lo, s29
	s_mov_b32 s14, 0
	s_cbranch_vccnz .LBB138_27
; %bb.23:                               ;   in Loop: Header=BB138_9 Depth=1
	v_dual_mov_b32 v7, 0 :: v_dual_mov_b32 v8, v13
	s_mov_b32 s34, 0
	s_mov_b64 s[14:15], s[18:19]
	s_mov_b64 s[22:23], s[0:1]
.LBB138_24:                             ;   Parent Loop BB138_9 Depth=1
                                        ; =>  This Inner Loop Header: Depth=2
	s_clause 0x1
	s_load_b256 s[36:43], s[14:15], 0x4
	s_load_b128 s[44:47], s[14:15], 0x24
	s_load_b128 s[48:51], s[22:23], 0x0
	s_add_u32 s14, s14, 48
	s_addc_u32 s15, s15, 0
	s_add_i32 s34, s34, 4
	s_add_u32 s22, s22, 16
	s_addc_u32 s23, s23, 0
	s_cmp_lg_u32 s30, s34
	s_waitcnt lgkmcnt(0)
	v_mul_hi_u32 v9, s37, v8
	s_delay_alu instid0(VALU_DEP_1) | instskip(NEXT) | instid1(VALU_DEP_1)
	v_add_nc_u32_e32 v9, v8, v9
	v_lshrrev_b32_e32 v9, s38, v9
	s_delay_alu instid0(VALU_DEP_1) | instskip(SKIP_1) | instid1(VALU_DEP_2)
	v_mul_hi_u32 v10, s40, v9
	v_mul_lo_u32 v42, v9, s36
	v_add_nc_u32_e32 v10, v9, v10
	s_delay_alu instid0(VALU_DEP_2) | instskip(NEXT) | instid1(VALU_DEP_2)
	v_sub_nc_u32_e32 v42, v8, v42
	v_lshrrev_b32_e32 v10, s41, v10
	s_delay_alu instid0(VALU_DEP_2) | instskip(NEXT) | instid1(VALU_DEP_2)
	v_mul_lo_u32 v42, v42, s48
	v_mul_hi_u32 v16, s43, v10
	v_mul_lo_u32 v43, v10, s39
	s_delay_alu instid0(VALU_DEP_2) | instskip(NEXT) | instid1(VALU_DEP_2)
	v_add_nc_u32_e32 v16, v10, v16
	v_sub_nc_u32_e32 v9, v9, v43
	s_delay_alu instid0(VALU_DEP_2) | instskip(NEXT) | instid1(VALU_DEP_2)
	v_lshrrev_b32_e32 v16, s44, v16
	v_mul_lo_u32 v9, v9, s49
	s_delay_alu instid0(VALU_DEP_2) | instskip(NEXT) | instid1(VALU_DEP_2)
	v_mul_hi_u32 v41, s46, v16
	v_add3_u32 v7, v42, v7, v9
	s_delay_alu instid0(VALU_DEP_2) | instskip(NEXT) | instid1(VALU_DEP_1)
	v_add_nc_u32_e32 v41, v16, v41
	v_lshrrev_b32_e32 v8, s47, v41
	v_mul_lo_u32 v41, v16, s42
	s_delay_alu instid0(VALU_DEP_2) | instskip(NEXT) | instid1(VALU_DEP_2)
	v_mul_lo_u32 v44, v8, s45
	v_sub_nc_u32_e32 v10, v10, v41
	s_delay_alu instid0(VALU_DEP_2) | instskip(NEXT) | instid1(VALU_DEP_2)
	v_sub_nc_u32_e32 v16, v16, v44
	v_mul_lo_u32 v10, v10, s50
	s_delay_alu instid0(VALU_DEP_2) | instskip(NEXT) | instid1(VALU_DEP_1)
	v_mul_lo_u32 v16, v16, s51
	v_add3_u32 v7, v10, v7, v16
	s_cbranch_scc1 .LBB138_24
; %bb.25:                               ;   in Loop: Header=BB138_9 Depth=1
	s_mov_b32 s14, s30
	s_and_not1_b32 vcc_lo, exec_lo, s31
	s_cbranch_vccz .LBB138_28
	s_branch .LBB138_30
.LBB138_26:                             ;   in Loop: Header=BB138_9 Depth=1
                                        ; implicit-def: $vgpr7
	s_branch .LBB138_31
.LBB138_27:                             ;   in Loop: Header=BB138_9 Depth=1
	v_mov_b32_e32 v8, v13
	s_and_not1_b32 vcc_lo, exec_lo, s31
	s_cbranch_vccnz .LBB138_30
.LBB138_28:                             ;   in Loop: Header=BB138_9 Depth=1
	s_lshl_b32 s15, s14, 2
	s_mul_i32 s22, s14, 12
	s_add_u32 s14, s0, s15
	s_addc_u32 s15, s1, 0
	s_add_u32 s22, s18, s22
	s_addc_u32 s23, s19, 0
	s_mov_b32 s34, s28
	.p2align	6
.LBB138_29:                             ;   Parent Loop BB138_9 Depth=1
                                        ; =>  This Inner Loop Header: Depth=2
	s_clause 0x1
	s_load_b64 s[36:37], s[22:23], 0x4
	s_load_b32 s35, s[22:23], 0xc
	s_add_u32 s22, s22, 12
	s_addc_u32 s23, s23, 0
	s_waitcnt lgkmcnt(0)
	v_mul_hi_u32 v9, s37, v8
	s_load_b32 s37, s[14:15], 0x0
	s_add_u32 s14, s14, 4
	s_addc_u32 s15, s15, 0
	s_add_i32 s34, s34, -1
	s_delay_alu instid0(SALU_CYCLE_1) | instskip(NEXT) | instid1(VALU_DEP_1)
	s_cmp_lg_u32 s34, 0
	v_add_nc_u32_e32 v9, v8, v9
	s_delay_alu instid0(VALU_DEP_1) | instskip(NEXT) | instid1(VALU_DEP_1)
	v_lshrrev_b32_e32 v16, s35, v9
	v_mul_lo_u32 v9, v16, s36
	s_delay_alu instid0(VALU_DEP_1) | instskip(SKIP_1) | instid1(VALU_DEP_1)
	v_sub_nc_u32_e32 v8, v8, v9
	s_waitcnt lgkmcnt(0)
	v_mad_u64_u32 v[9:10], null, v8, s37, v[7:8]
	s_delay_alu instid0(VALU_DEP_1)
	v_dual_mov_b32 v8, v16 :: v_dual_mov_b32 v7, v9
	s_cbranch_scc1 .LBB138_29
.LBB138_30:                             ;   in Loop: Header=BB138_9 Depth=1
	s_cbranch_execnz .LBB138_33
.LBB138_31:                             ;   in Loop: Header=BB138_9 Depth=1
	v_mul_hi_u32 v7, v13, s6
	s_and_not1_b32 vcc_lo, exec_lo, s4
	s_delay_alu instid0(VALU_DEP_1) | instskip(NEXT) | instid1(VALU_DEP_1)
	v_add_nc_u32_e32 v7, v7, v13
	v_lshrrev_b32_e32 v8, s7, v7
	s_delay_alu instid0(VALU_DEP_1) | instskip(NEXT) | instid1(VALU_DEP_1)
	v_mul_lo_u32 v7, v8, s5
	v_sub_nc_u32_e32 v7, v13, v7
	s_delay_alu instid0(VALU_DEP_1)
	v_mul_lo_u32 v7, v7, s20
	s_cbranch_vccnz .LBB138_33
; %bb.32:                               ;   in Loop: Header=BB138_9 Depth=1
	v_mul_hi_u32 v9, s9, v8
	s_delay_alu instid0(VALU_DEP_1) | instskip(NEXT) | instid1(VALU_DEP_1)
	v_add_nc_u32_e32 v9, v8, v9
	v_lshrrev_b32_e32 v9, s10, v9
	s_delay_alu instid0(VALU_DEP_1) | instskip(NEXT) | instid1(VALU_DEP_1)
	v_mul_lo_u32 v9, v9, s8
	v_sub_nc_u32_e32 v10, v8, v9
	s_delay_alu instid0(VALU_DEP_1) | instskip(NEXT) | instid1(VALU_DEP_1)
	v_mad_u64_u32 v[8:9], null, v10, s21, v[7:8]
	v_mov_b32_e32 v7, v8
.LBB138_33:                             ;   in Loop: Header=BB138_9 Depth=1
	v_lshrrev_b32_e32 v1, 11, v1
	s_delay_alu instid0(VALU_DEP_1) | instskip(SKIP_1) | instid1(VALU_DEP_2)
	v_cvt_f64_u32_e32 v[8:9], v1
	v_cvt_f64_u32_e32 v[0:1], v0
	v_ldexp_f64 v[8:9], v[8:9], 32
	s_delay_alu instid0(VALU_DEP_1) | instskip(NEXT) | instid1(VALU_DEP_1)
	v_add_f64 v[0:1], v[8:9], v[0:1]
	v_fma_f64 v[0:1], 0x3ca00000, v[0:1], 0x3ca00000
	s_delay_alu instid0(VALU_DEP_1) | instskip(NEXT) | instid1(VALU_DEP_1)
	v_cvt_f32_f64_e32 v0, v[0:1]
	v_cmp_gt_f32_e32 vcc_lo, v36, v0
	v_cndmask_b32_e64 v0, 0, 1, vcc_lo
	global_store_b16 v7, v0, s[12:13]
.LBB138_34:                             ;   in Loop: Header=BB138_9 Depth=1
	s_or_b32 exec_lo, exec_lo, s33
	v_add_co_u32 v0, vcc_lo, v13, s24
	v_add_co_ci_u32_e32 v1, vcc_lo, 0, v14, vcc_lo
	s_mov_b32 s33, exec_lo
	s_delay_alu instid0(VALU_DEP_1)
	v_cmpx_gt_i64_e64 s[16:17], v[0:1]
	s_cbranch_execz .LBB138_8
; %bb.35:                               ;   in Loop: Header=BB138_9 Depth=1
	s_and_not1_b32 vcc_lo, exec_lo, s11
	s_cbranch_vccnz .LBB138_41
; %bb.36:                               ;   in Loop: Header=BB138_9 Depth=1
	v_mov_b32_e32 v1, 0
	s_and_not1_b32 vcc_lo, exec_lo, s27
	s_cbranch_vccnz .LBB138_45
; %bb.37:                               ;   in Loop: Header=BB138_9 Depth=1
	s_and_not1_b32 vcc_lo, exec_lo, s29
	s_mov_b32 s14, 0
	s_cbranch_vccnz .LBB138_42
; %bb.38:                               ;   in Loop: Header=BB138_9 Depth=1
	v_mov_b32_e32 v1, 0
	v_mov_b32_e32 v7, v0
	s_mov_b32 s34, 0
	s_mov_b64 s[14:15], s[18:19]
	s_mov_b64 s[22:23], s[0:1]
.LBB138_39:                             ;   Parent Loop BB138_9 Depth=1
                                        ; =>  This Inner Loop Header: Depth=2
	s_clause 0x1
	s_load_b256 s[36:43], s[14:15], 0x4
	s_load_b128 s[44:47], s[14:15], 0x24
	s_load_b128 s[48:51], s[22:23], 0x0
	s_add_u32 s14, s14, 48
	s_addc_u32 s15, s15, 0
	s_add_i32 s34, s34, 4
	s_add_u32 s22, s22, 16
	s_addc_u32 s23, s23, 0
	s_cmp_eq_u32 s30, s34
	s_waitcnt lgkmcnt(0)
	v_mul_hi_u32 v8, s37, v7
	s_delay_alu instid0(VALU_DEP_1) | instskip(NEXT) | instid1(VALU_DEP_1)
	v_add_nc_u32_e32 v8, v7, v8
	v_lshrrev_b32_e32 v8, s38, v8
	s_delay_alu instid0(VALU_DEP_1) | instskip(SKIP_1) | instid1(VALU_DEP_2)
	v_mul_hi_u32 v9, s40, v8
	v_mul_lo_u32 v41, v8, s36
	v_add_nc_u32_e32 v9, v8, v9
	s_delay_alu instid0(VALU_DEP_2) | instskip(NEXT) | instid1(VALU_DEP_2)
	v_sub_nc_u32_e32 v41, v7, v41
	v_lshrrev_b32_e32 v9, s41, v9
	s_delay_alu instid0(VALU_DEP_2) | instskip(NEXT) | instid1(VALU_DEP_2)
	v_mul_lo_u32 v41, v41, s48
	v_mul_hi_u32 v10, s43, v9
	v_mul_lo_u32 v42, v9, s39
	s_delay_alu instid0(VALU_DEP_2) | instskip(NEXT) | instid1(VALU_DEP_2)
	v_add_nc_u32_e32 v10, v9, v10
	v_sub_nc_u32_e32 v8, v8, v42
	s_delay_alu instid0(VALU_DEP_2) | instskip(NEXT) | instid1(VALU_DEP_2)
	v_lshrrev_b32_e32 v10, s44, v10
	v_mul_lo_u32 v8, v8, s49
	s_delay_alu instid0(VALU_DEP_2) | instskip(NEXT) | instid1(VALU_DEP_2)
	v_mul_hi_u32 v16, s46, v10
	v_add3_u32 v1, v41, v1, v8
	s_delay_alu instid0(VALU_DEP_2) | instskip(NEXT) | instid1(VALU_DEP_1)
	v_add_nc_u32_e32 v16, v10, v16
	v_lshrrev_b32_e32 v7, s47, v16
	v_mul_lo_u32 v16, v10, s42
	s_delay_alu instid0(VALU_DEP_2) | instskip(NEXT) | instid1(VALU_DEP_2)
	v_mul_lo_u32 v43, v7, s45
	v_sub_nc_u32_e32 v9, v9, v16
	s_delay_alu instid0(VALU_DEP_2) | instskip(NEXT) | instid1(VALU_DEP_2)
	v_sub_nc_u32_e32 v10, v10, v43
	v_mul_lo_u32 v9, v9, s50
	s_delay_alu instid0(VALU_DEP_2) | instskip(NEXT) | instid1(VALU_DEP_1)
	v_mul_lo_u32 v10, v10, s51
	v_add3_u32 v1, v9, v1, v10
	s_cbranch_scc0 .LBB138_39
; %bb.40:                               ;   in Loop: Header=BB138_9 Depth=1
	s_mov_b32 s14, s30
	s_and_not1_b32 vcc_lo, exec_lo, s31
	s_cbranch_vccz .LBB138_43
	s_branch .LBB138_45
.LBB138_41:                             ;   in Loop: Header=BB138_9 Depth=1
                                        ; implicit-def: $vgpr1
	s_branch .LBB138_46
.LBB138_42:                             ;   in Loop: Header=BB138_9 Depth=1
	v_mov_b32_e32 v7, v0
	s_and_not1_b32 vcc_lo, exec_lo, s31
	s_cbranch_vccnz .LBB138_45
.LBB138_43:                             ;   in Loop: Header=BB138_9 Depth=1
	s_lshl_b32 s15, s14, 2
	s_mul_i32 s22, s14, 12
	s_add_u32 s14, s0, s15
	s_addc_u32 s15, s1, 0
	s_add_u32 s22, s18, s22
	s_addc_u32 s23, s19, 0
	s_mov_b32 s34, s28
	.p2align	6
.LBB138_44:                             ;   Parent Loop BB138_9 Depth=1
                                        ; =>  This Inner Loop Header: Depth=2
	s_clause 0x1
	s_load_b64 s[36:37], s[22:23], 0x4
	s_load_b32 s35, s[22:23], 0xc
	s_add_u32 s22, s22, 12
	s_addc_u32 s23, s23, 0
	s_waitcnt lgkmcnt(0)
	v_mul_hi_u32 v8, s37, v7
	s_load_b32 s37, s[14:15], 0x0
	s_add_u32 s14, s14, 4
	s_addc_u32 s15, s15, 0
	s_add_i32 s34, s34, -1
	s_delay_alu instid0(SALU_CYCLE_1) | instskip(NEXT) | instid1(VALU_DEP_1)
	s_cmp_lg_u32 s34, 0
	v_add_nc_u32_e32 v8, v7, v8
	s_delay_alu instid0(VALU_DEP_1) | instskip(NEXT) | instid1(VALU_DEP_1)
	v_lshrrev_b32_e32 v10, s35, v8
	v_mul_lo_u32 v8, v10, s36
	s_delay_alu instid0(VALU_DEP_1) | instskip(SKIP_1) | instid1(VALU_DEP_1)
	v_sub_nc_u32_e32 v7, v7, v8
	s_waitcnt lgkmcnt(0)
	v_mad_u64_u32 v[8:9], null, v7, s37, v[1:2]
	v_mov_b32_e32 v7, v10
	s_delay_alu instid0(VALU_DEP_2)
	v_mov_b32_e32 v1, v8
	s_cbranch_scc1 .LBB138_44
.LBB138_45:                             ;   in Loop: Header=BB138_9 Depth=1
	s_cbranch_execnz .LBB138_7
.LBB138_46:                             ;   in Loop: Header=BB138_9 Depth=1
	v_mul_hi_u32 v1, v0, s6
	s_and_not1_b32 vcc_lo, exec_lo, s4
	s_delay_alu instid0(VALU_DEP_1) | instskip(NEXT) | instid1(VALU_DEP_1)
	v_add_nc_u32_e32 v1, v1, v0
	v_lshrrev_b32_e32 v7, s7, v1
	s_delay_alu instid0(VALU_DEP_1) | instskip(NEXT) | instid1(VALU_DEP_1)
	v_mul_lo_u32 v1, v7, s5
	v_sub_nc_u32_e32 v0, v0, v1
	s_delay_alu instid0(VALU_DEP_1)
	v_mul_lo_u32 v1, v0, s20
	s_cbranch_vccnz .LBB138_7
; %bb.47:                               ;   in Loop: Header=BB138_9 Depth=1
	v_mul_hi_u32 v0, s9, v7
	s_delay_alu instid0(VALU_DEP_1) | instskip(NEXT) | instid1(VALU_DEP_1)
	v_add_nc_u32_e32 v0, v7, v0
	v_lshrrev_b32_e32 v0, s10, v0
	s_delay_alu instid0(VALU_DEP_1) | instskip(NEXT) | instid1(VALU_DEP_1)
	v_mul_lo_u32 v0, v0, s8
	v_sub_nc_u32_e32 v0, v7, v0
	s_delay_alu instid0(VALU_DEP_1) | instskip(NEXT) | instid1(VALU_DEP_1)
	v_mad_u64_u32 v[7:8], null, v0, s21, v[1:2]
	v_mov_b32_e32 v1, v7
	s_branch .LBB138_7
.LBB138_48:
	s_endpgm
.LBB138_49:
                                        ; implicit-def: $sgpr2_sgpr3
	s_branch .LBB138_4
	.section	.rodata,"a",@progbits
	.p2align	6, 0x0
	.amdhsa_kernel _ZN2at6native12_GLOBAL__N_143distribution_elementwise_grid_stride_kernelIfLi4EZNS0_9templates4cuda21uniform_and_transformIsfPNS_17CUDAGeneratorImplEZZZNS4_16bernoulli_kernelIS7_EEvRNS_18TensorIteratorBaseEdT_ENKUlvE_clEvENKUlvE3_clEvEUlfE_EEvSA_T1_T2_EUlP25hiprandStatePhilox4_32_10E_ZNS1_27distribution_nullary_kernelIsf15HIP_vector_typeIdLj2EES7_SJ_SE_EEvSA_SG_RKT3_T4_EUlifE0_EEvlNS_15PhiloxCudaStateESF_SG_
		.amdhsa_group_segment_fixed_size 0
		.amdhsa_private_segment_fixed_size 0
		.amdhsa_kernarg_size 584
		.amdhsa_user_sgpr_count 15
		.amdhsa_user_sgpr_dispatch_ptr 0
		.amdhsa_user_sgpr_queue_ptr 0
		.amdhsa_user_sgpr_kernarg_segment_ptr 1
		.amdhsa_user_sgpr_dispatch_id 0
		.amdhsa_user_sgpr_private_segment_size 0
		.amdhsa_wavefront_size32 1
		.amdhsa_uses_dynamic_stack 0
		.amdhsa_enable_private_segment 0
		.amdhsa_system_sgpr_workgroup_id_x 1
		.amdhsa_system_sgpr_workgroup_id_y 0
		.amdhsa_system_sgpr_workgroup_id_z 0
		.amdhsa_system_sgpr_workgroup_info 0
		.amdhsa_system_vgpr_workitem_id 0
		.amdhsa_next_free_vgpr 45
		.amdhsa_next_free_sgpr 52
		.amdhsa_reserve_vcc 1
		.amdhsa_float_round_mode_32 0
		.amdhsa_float_round_mode_16_64 0
		.amdhsa_float_denorm_mode_32 3
		.amdhsa_float_denorm_mode_16_64 3
		.amdhsa_dx10_clamp 1
		.amdhsa_ieee_mode 1
		.amdhsa_fp16_overflow 0
		.amdhsa_workgroup_processor_mode 1
		.amdhsa_memory_ordered 1
		.amdhsa_forward_progress 0
		.amdhsa_shared_vgpr_count 0
		.amdhsa_exception_fp_ieee_invalid_op 0
		.amdhsa_exception_fp_denorm_src 0
		.amdhsa_exception_fp_ieee_div_zero 0
		.amdhsa_exception_fp_ieee_overflow 0
		.amdhsa_exception_fp_ieee_underflow 0
		.amdhsa_exception_fp_ieee_inexact 0
		.amdhsa_exception_int_div_zero 0
	.end_amdhsa_kernel
	.section	.text._ZN2at6native12_GLOBAL__N_143distribution_elementwise_grid_stride_kernelIfLi4EZNS0_9templates4cuda21uniform_and_transformIsfPNS_17CUDAGeneratorImplEZZZNS4_16bernoulli_kernelIS7_EEvRNS_18TensorIteratorBaseEdT_ENKUlvE_clEvENKUlvE3_clEvEUlfE_EEvSA_T1_T2_EUlP25hiprandStatePhilox4_32_10E_ZNS1_27distribution_nullary_kernelIsf15HIP_vector_typeIdLj2EES7_SJ_SE_EEvSA_SG_RKT3_T4_EUlifE0_EEvlNS_15PhiloxCudaStateESF_SG_,"axG",@progbits,_ZN2at6native12_GLOBAL__N_143distribution_elementwise_grid_stride_kernelIfLi4EZNS0_9templates4cuda21uniform_and_transformIsfPNS_17CUDAGeneratorImplEZZZNS4_16bernoulli_kernelIS7_EEvRNS_18TensorIteratorBaseEdT_ENKUlvE_clEvENKUlvE3_clEvEUlfE_EEvSA_T1_T2_EUlP25hiprandStatePhilox4_32_10E_ZNS1_27distribution_nullary_kernelIsf15HIP_vector_typeIdLj2EES7_SJ_SE_EEvSA_SG_RKT3_T4_EUlifE0_EEvlNS_15PhiloxCudaStateESF_SG_,comdat
.Lfunc_end138:
	.size	_ZN2at6native12_GLOBAL__N_143distribution_elementwise_grid_stride_kernelIfLi4EZNS0_9templates4cuda21uniform_and_transformIsfPNS_17CUDAGeneratorImplEZZZNS4_16bernoulli_kernelIS7_EEvRNS_18TensorIteratorBaseEdT_ENKUlvE_clEvENKUlvE3_clEvEUlfE_EEvSA_T1_T2_EUlP25hiprandStatePhilox4_32_10E_ZNS1_27distribution_nullary_kernelIsf15HIP_vector_typeIdLj2EES7_SJ_SE_EEvSA_SG_RKT3_T4_EUlifE0_EEvlNS_15PhiloxCudaStateESF_SG_, .Lfunc_end138-_ZN2at6native12_GLOBAL__N_143distribution_elementwise_grid_stride_kernelIfLi4EZNS0_9templates4cuda21uniform_and_transformIsfPNS_17CUDAGeneratorImplEZZZNS4_16bernoulli_kernelIS7_EEvRNS_18TensorIteratorBaseEdT_ENKUlvE_clEvENKUlvE3_clEvEUlfE_EEvSA_T1_T2_EUlP25hiprandStatePhilox4_32_10E_ZNS1_27distribution_nullary_kernelIsf15HIP_vector_typeIdLj2EES7_SJ_SE_EEvSA_SG_RKT3_T4_EUlifE0_EEvlNS_15PhiloxCudaStateESF_SG_
                                        ; -- End function
	.section	.AMDGPU.csdata,"",@progbits
; Kernel info:
; codeLenInByte = 3960
; NumSgprs: 54
; NumVgprs: 45
; ScratchSize: 0
; MemoryBound: 0
; FloatMode: 240
; IeeeMode: 1
; LDSByteSize: 0 bytes/workgroup (compile time only)
; SGPRBlocks: 6
; VGPRBlocks: 5
; NumSGPRsForWavesPerEU: 54
; NumVGPRsForWavesPerEU: 45
; Occupancy: 16
; WaveLimiterHint : 1
; COMPUTE_PGM_RSRC2:SCRATCH_EN: 0
; COMPUTE_PGM_RSRC2:USER_SGPR: 15
; COMPUTE_PGM_RSRC2:TRAP_HANDLER: 0
; COMPUTE_PGM_RSRC2:TGID_X_EN: 1
; COMPUTE_PGM_RSRC2:TGID_Y_EN: 0
; COMPUTE_PGM_RSRC2:TGID_Z_EN: 0
; COMPUTE_PGM_RSRC2:TIDIG_COMP_CNT: 0
	.section	.text._ZN2at6native12_GLOBAL__N_143distribution_elementwise_grid_stride_kernelIfLi4EZNS0_9templates4cuda21uniform_and_transformIsfPNS_17CUDAGeneratorImplEZZZNS4_16bernoulli_kernelIS7_EEvRNS_18TensorIteratorBaseEdT_ENKUlvE_clEvENKUlvE3_clEvEUlfE_EEvSA_T1_T2_EUlP25hiprandStatePhilox4_32_10E0_ZNS1_27distribution_nullary_kernelIsf15HIP_vector_typeIfLj4EES7_SJ_SE_EEvSA_SG_RKT3_T4_EUlifE_EEvlNS_15PhiloxCudaStateESF_SG_,"axG",@progbits,_ZN2at6native12_GLOBAL__N_143distribution_elementwise_grid_stride_kernelIfLi4EZNS0_9templates4cuda21uniform_and_transformIsfPNS_17CUDAGeneratorImplEZZZNS4_16bernoulli_kernelIS7_EEvRNS_18TensorIteratorBaseEdT_ENKUlvE_clEvENKUlvE3_clEvEUlfE_EEvSA_T1_T2_EUlP25hiprandStatePhilox4_32_10E0_ZNS1_27distribution_nullary_kernelIsf15HIP_vector_typeIfLj4EES7_SJ_SE_EEvSA_SG_RKT3_T4_EUlifE_EEvlNS_15PhiloxCudaStateESF_SG_,comdat
	.globl	_ZN2at6native12_GLOBAL__N_143distribution_elementwise_grid_stride_kernelIfLi4EZNS0_9templates4cuda21uniform_and_transformIsfPNS_17CUDAGeneratorImplEZZZNS4_16bernoulli_kernelIS7_EEvRNS_18TensorIteratorBaseEdT_ENKUlvE_clEvENKUlvE3_clEvEUlfE_EEvSA_T1_T2_EUlP25hiprandStatePhilox4_32_10E0_ZNS1_27distribution_nullary_kernelIsf15HIP_vector_typeIfLj4EES7_SJ_SE_EEvSA_SG_RKT3_T4_EUlifE_EEvlNS_15PhiloxCudaStateESF_SG_ ; -- Begin function _ZN2at6native12_GLOBAL__N_143distribution_elementwise_grid_stride_kernelIfLi4EZNS0_9templates4cuda21uniform_and_transformIsfPNS_17CUDAGeneratorImplEZZZNS4_16bernoulli_kernelIS7_EEvRNS_18TensorIteratorBaseEdT_ENKUlvE_clEvENKUlvE3_clEvEUlfE_EEvSA_T1_T2_EUlP25hiprandStatePhilox4_32_10E0_ZNS1_27distribution_nullary_kernelIsf15HIP_vector_typeIfLj4EES7_SJ_SE_EEvSA_SG_RKT3_T4_EUlifE_EEvlNS_15PhiloxCudaStateESF_SG_
	.p2align	8
	.type	_ZN2at6native12_GLOBAL__N_143distribution_elementwise_grid_stride_kernelIfLi4EZNS0_9templates4cuda21uniform_and_transformIsfPNS_17CUDAGeneratorImplEZZZNS4_16bernoulli_kernelIS7_EEvRNS_18TensorIteratorBaseEdT_ENKUlvE_clEvENKUlvE3_clEvEUlfE_EEvSA_T1_T2_EUlP25hiprandStatePhilox4_32_10E0_ZNS1_27distribution_nullary_kernelIsf15HIP_vector_typeIfLj4EES7_SJ_SE_EEvSA_SG_RKT3_T4_EUlifE_EEvlNS_15PhiloxCudaStateESF_SG_,@function
_ZN2at6native12_GLOBAL__N_143distribution_elementwise_grid_stride_kernelIfLi4EZNS0_9templates4cuda21uniform_and_transformIsfPNS_17CUDAGeneratorImplEZZZNS4_16bernoulli_kernelIS7_EEvRNS_18TensorIteratorBaseEdT_ENKUlvE_clEvENKUlvE3_clEvEUlfE_EEvSA_T1_T2_EUlP25hiprandStatePhilox4_32_10E0_ZNS1_27distribution_nullary_kernelIsf15HIP_vector_typeIfLj4EES7_SJ_SE_EEvSA_SG_RKT3_T4_EUlifE_EEvlNS_15PhiloxCudaStateESF_SG_: ; @_ZN2at6native12_GLOBAL__N_143distribution_elementwise_grid_stride_kernelIfLi4EZNS0_9templates4cuda21uniform_and_transformIsfPNS_17CUDAGeneratorImplEZZZNS4_16bernoulli_kernelIS7_EEvRNS_18TensorIteratorBaseEdT_ENKUlvE_clEvENKUlvE3_clEvEUlfE_EEvSA_T1_T2_EUlP25hiprandStatePhilox4_32_10E0_ZNS1_27distribution_nullary_kernelIsf15HIP_vector_typeIfLj4EES7_SJ_SE_EEvSA_SG_RKT3_T4_EUlifE_EEvlNS_15PhiloxCudaStateESF_SG_
; %bb.0:
	s_clause 0x2
	s_load_b64 s[8:9], s[0:1], 0x10
	s_load_b128 s[4:7], s[0:1], 0x0
	s_load_b32 s2, s[0:1], 0x20
	s_waitcnt lgkmcnt(0)
	v_dual_mov_b32 v2, s8 :: v_dual_mov_b32 v3, s9
	v_dual_mov_b32 v12, s7 :: v_dual_mov_b32 v11, s6
	s_bitcmp0_b32 s2, 0
	s_mov_b32 s2, 0
	s_cbranch_scc1 .LBB139_2
; %bb.1:
	v_dual_mov_b32 v1, s8 :: v_dual_mov_b32 v2, s9
	v_dual_mov_b32 v4, s6 :: v_dual_mov_b32 v5, s7
	s_load_b64 s[6:7], s[0:1], 0x18
	flat_load_b64 v[2:3], v[1:2]
	flat_load_b64 v[11:12], v[4:5]
	s_waitcnt vmcnt(1) lgkmcnt(0)
	v_add_co_u32 v2, vcc_lo, v2, s6
	v_add_co_ci_u32_e32 v3, vcc_lo, s7, v3, vcc_lo
.LBB139_2:
	s_clause 0x1
	s_load_b32 s3, s[0:1], 0x54
	s_load_b32 s11, s[0:1], 0x48
	s_waitcnt lgkmcnt(0)
	s_and_b32 s10, s3, 0xffff
	s_add_u32 s6, s4, -1
	s_mul_i32 s8, s11, s10
	s_addc_u32 s3, s5, -1
	s_lshl_b32 s9, s8, 2
	s_cmp_lg_u64 s[2:3], 0
	s_cbranch_scc0 .LBB139_27
; %bb.3:
	v_cvt_f32_ubyte0_e32 v1, 0
	v_cvt_f32_u32_e32 v4, s9
	s_sub_u32 s12, 0, s9
	s_subb_u32 s13, 0, 0
	s_delay_alu instid0(VALU_DEP_1) | instskip(NEXT) | instid1(VALU_DEP_1)
	v_fmamk_f32 v1, v1, 0x4f800000, v4
	v_rcp_f32_e32 v1, v1
	s_waitcnt_depctr 0xfff
	v_mul_f32_e32 v1, 0x5f7ffffc, v1
	s_delay_alu instid0(VALU_DEP_1) | instskip(NEXT) | instid1(VALU_DEP_1)
	v_mul_f32_e32 v4, 0x2f800000, v1
	v_trunc_f32_e32 v4, v4
	s_delay_alu instid0(VALU_DEP_1) | instskip(SKIP_1) | instid1(VALU_DEP_2)
	v_fmamk_f32 v1, v4, 0xcf800000, v1
	v_cvt_u32_f32_e32 v4, v4
	v_cvt_u32_f32_e32 v1, v1
	s_delay_alu instid0(VALU_DEP_2) | instskip(NEXT) | instid1(VALU_DEP_2)
	v_readfirstlane_b32 s2, v4
	v_readfirstlane_b32 s7, v1
	s_delay_alu instid0(VALU_DEP_2) | instskip(NEXT) | instid1(VALU_DEP_1)
	s_mul_i32 s14, s12, s2
	s_mul_hi_u32 s17, s12, s7
	s_mul_i32 s16, s13, s7
	s_add_i32 s14, s17, s14
	s_mul_i32 s18, s12, s7
	s_add_i32 s14, s14, s16
	s_mul_hi_u32 s17, s7, s18
	s_mul_hi_u32 s19, s2, s18
	s_mul_i32 s16, s2, s18
	s_mul_hi_u32 s18, s7, s14
	s_mul_i32 s7, s7, s14
	s_mul_hi_u32 s20, s2, s14
	s_add_u32 s7, s17, s7
	s_addc_u32 s17, 0, s18
	s_add_u32 s7, s7, s16
	s_mul_i32 s14, s2, s14
	s_addc_u32 s7, s17, s19
	s_addc_u32 s16, s20, 0
	s_add_u32 s7, s7, s14
	s_addc_u32 s14, 0, s16
	v_add_co_u32 v1, s7, v1, s7
	s_delay_alu instid0(VALU_DEP_1) | instskip(SKIP_1) | instid1(VALU_DEP_1)
	s_cmp_lg_u32 s7, 0
	s_addc_u32 s2, s2, s14
	v_readfirstlane_b32 s7, v1
	s_mul_i32 s14, s12, s2
	s_delay_alu instid0(VALU_DEP_1)
	s_mul_hi_u32 s16, s12, s7
	s_mul_i32 s13, s13, s7
	s_add_i32 s14, s16, s14
	s_mul_i32 s12, s12, s7
	s_add_i32 s14, s14, s13
	s_mul_hi_u32 s16, s2, s12
	s_mul_i32 s17, s2, s12
	s_mul_hi_u32 s12, s7, s12
	s_mul_hi_u32 s18, s7, s14
	s_mul_i32 s7, s7, s14
	s_mul_hi_u32 s13, s2, s14
	s_add_u32 s7, s12, s7
	s_addc_u32 s12, 0, s18
	s_add_u32 s7, s7, s17
	s_mul_i32 s14, s2, s14
	s_addc_u32 s7, s12, s16
	s_addc_u32 s12, s13, 0
	s_add_u32 s7, s7, s14
	s_addc_u32 s12, 0, s12
	v_add_co_u32 v1, s7, v1, s7
	s_delay_alu instid0(VALU_DEP_1) | instskip(SKIP_2) | instid1(VALU_DEP_1)
	s_cmp_lg_u32 s7, 0
	s_addc_u32 s7, s2, s12
	s_ashr_i32 s12, s3, 31
	v_readfirstlane_b32 s14, v1
	s_add_u32 s2, s6, s12
	s_mov_b32 s13, s12
	s_addc_u32 s3, s3, s12
	s_delay_alu instid0(SALU_CYCLE_1) | instskip(NEXT) | instid1(SALU_CYCLE_1)
	s_xor_b64 s[2:3], s[2:3], s[12:13]
	s_mul_i32 s17, s2, s7
	s_mul_hi_u32 s18, s2, s14
	s_mul_hi_u32 s16, s2, s7
	;; [unrolled: 1-line block ×3, first 2 shown]
	s_mul_i32 s14, s3, s14
	s_add_u32 s17, s18, s17
	s_addc_u32 s16, 0, s16
	s_mul_hi_u32 s19, s3, s7
	s_add_u32 s14, s17, s14
	s_mul_i32 s7, s3, s7
	s_addc_u32 s14, s16, s20
	s_addc_u32 s16, s19, 0
	s_add_u32 s7, s14, s7
	s_addc_u32 s14, 0, s16
	s_mul_i32 s17, s9, s7
	s_add_u32 s16, s7, 1
	v_sub_co_u32 v1, s2, s2, s17
	s_mul_hi_u32 s17, s9, s7
	s_addc_u32 s18, s14, 0
	s_mul_i32 s19, s9, s14
	s_delay_alu instid0(VALU_DEP_1)
	v_sub_co_u32 v4, s20, v1, s9
	s_add_u32 s21, s7, 2
	s_addc_u32 s22, s14, 0
	s_add_i32 s17, s17, s19
	s_cmp_lg_u32 s2, 0
	v_readfirstlane_b32 s2, v4
	s_subb_u32 s3, s3, s17
	s_cmp_lg_u32 s20, 0
	s_subb_u32 s17, s3, 0
	s_delay_alu instid0(VALU_DEP_1) | instskip(SKIP_4) | instid1(SALU_CYCLE_1)
	s_cmp_ge_u32 s2, s9
	s_cselect_b32 s2, -1, 0
	s_cmp_eq_u32 s17, 0
	v_readfirstlane_b32 s17, v1
	s_cselect_b32 s2, s2, -1
	s_cmp_lg_u32 s2, 0
	s_cselect_b32 s2, s21, s16
	s_cselect_b32 s16, s22, s18
	s_cmp_ge_u32 s17, s9
	s_cselect_b32 s17, -1, 0
	s_cmp_eq_u32 s3, 0
	s_cselect_b32 s3, s17, -1
	s_delay_alu instid0(SALU_CYCLE_1) | instskip(SKIP_2) | instid1(SALU_CYCLE_1)
	s_cmp_lg_u32 s3, 0
	s_cselect_b32 s3, s16, s14
	s_cselect_b32 s2, s2, s7
	s_xor_b64 s[2:3], s[2:3], s[12:13]
	s_delay_alu instid0(SALU_CYCLE_1)
	s_sub_u32 s2, s2, s12
	s_subb_u32 s3, s3, s12
	s_cbranch_execnz .LBB139_5
.LBB139_4:
	v_cvt_f32_u32_e32 v1, s9
	s_sub_i32 s3, 0, s9
	s_delay_alu instid0(VALU_DEP_1) | instskip(SKIP_2) | instid1(VALU_DEP_1)
	v_rcp_iflag_f32_e32 v1, v1
	s_waitcnt_depctr 0xfff
	v_mul_f32_e32 v1, 0x4f7ffffe, v1
	v_cvt_u32_f32_e32 v1, v1
	s_delay_alu instid0(VALU_DEP_1) | instskip(NEXT) | instid1(VALU_DEP_1)
	v_readfirstlane_b32 s2, v1
	s_mul_i32 s3, s3, s2
	s_delay_alu instid0(SALU_CYCLE_1) | instskip(NEXT) | instid1(SALU_CYCLE_1)
	s_mul_hi_u32 s3, s2, s3
	s_add_i32 s2, s2, s3
	s_delay_alu instid0(SALU_CYCLE_1) | instskip(NEXT) | instid1(SALU_CYCLE_1)
	s_mul_hi_u32 s2, s6, s2
	s_mul_i32 s3, s2, s9
	s_delay_alu instid0(SALU_CYCLE_1)
	s_sub_i32 s3, s6, s3
	s_add_i32 s6, s2, 1
	s_sub_i32 s7, s3, s9
	s_cmp_ge_u32 s3, s9
	s_cselect_b32 s2, s6, s2
	s_cselect_b32 s3, s7, s3
	s_add_i32 s6, s2, 1
	s_cmp_ge_u32 s3, s9
	s_mov_b32 s3, 0
	s_cselect_b32 s2, s6, s2
.LBB139_5:
	v_mov_b32_e32 v1, 0
	s_add_u32 s2, s2, 1
	s_addc_u32 s3, s3, 0
	s_mul_hi_u32 s6, s8, s2
	s_mul_i32 s3, s8, s3
	v_mad_u64_u32 v[13:14], null, s10, s15, v[0:1]
	s_mul_hi_u32 s7, s11, s10
	s_add_i32 s3, s6, s3
	s_mul_i32 s7, s7, s2
	s_mul_i32 s2, s8, s2
	s_add_i32 s3, s3, s7
	s_mov_b32 s6, exec_lo
	s_lshl_b64 s[2:3], s[2:3], 2
	s_delay_alu instid0(SALU_CYCLE_1)
	v_cmpx_gt_i64_e64 s[2:3], v[13:14]
	s_cbranch_execz .LBB139_26
; %bb.6:
	v_alignbit_b32 v17, v3, v2, 2
	v_mad_u64_u32 v[6:7], null, 0xcd9e8d57, v13, 0
	v_lshrrev_b32_e32 v18, 2, v3
	s_waitcnt vmcnt(0)
	v_dual_mov_b32 v15, v12 :: v_dual_add_nc_u32 v28, 0x8ff34781, v11
	v_mad_u64_u32 v[4:5], null, 0xd2511f53, v17, 0
	v_add_co_u32 v20, null, 0x9e3779b9, v11
	v_xor3_b32 v3, v11, v7, v18
	s_delay_alu instid0(VALU_DEP_4) | instskip(SKIP_2) | instid1(VALU_DEP_4)
	v_add_co_u32 v19, null, 0xbb67ae85, v15
	v_add_co_u32 v21, null, 0x3c6ef372, v11
	v_xor_b32_e32 v1, v5, v12
	v_mad_u64_u32 v[7:8], null, 0xd2511f53, v3, 0
	v_add_co_u32 v22, null, 0x76cf5d0a, v15
	s_delay_alu instid0(VALU_DEP_3) | instskip(SKIP_2) | instid1(VALU_DEP_3)
	v_xor_b32_e32 v1, v1, v14
	v_add_co_u32 v23, null, 0x32370b8f, v15
	v_add_co_u32 v24, null, 0xdaa66d2b, v11
	v_mad_u64_u32 v[9:10], null, 0xcd9e8d57, v1, 0
	v_xor3_b32 v1, v19, v8, v4
	v_add_co_u32 v25, null, 0x78dde6e4, v11
	v_add_co_u32 v26, null, 0xed9eba14, v15
	s_delay_alu instid0(VALU_DEP_3) | instskip(SKIP_3) | instid1(VALU_DEP_3)
	v_mad_u64_u32 v[3:4], null, 0xcd9e8d57, v1, 0
	v_xor3_b32 v8, v20, v10, v6
	v_dual_mov_b32 v38, v13 :: v_dual_and_b32 v27, 3, v2
	v_add_co_u32 v29, null, 0xa9066899, v15
	v_mad_u64_u32 v[5:6], null, 0xd2511f53, v8, 0
	v_xor3_b32 v1, v21, v4, v9
	v_add_co_u32 v30, null, 0x1715609d, v11
	s_clause 0x2
	s_load_b64 s[6:7], s[0:1], 0x30
	s_load_b32 s14, s[0:1], 0x38
	s_load_b64 s[12:13], s[0:1], 0x40
	v_add_co_u32 v33, null, 0xb54cda56, v11
	v_xor3_b32 v4, v22, v6, v7
	v_mad_u64_u32 v[6:7], null, 0xd2511f53, v1, 0
	v_add_co_u32 v35, null, 0x646e171e, v15
	s_delay_alu instid0(VALU_DEP_3) | instskip(SKIP_1) | instid1(VALU_DEP_4)
	v_mad_u64_u32 v[8:9], null, 0xcd9e8d57, v4, 0
	v_add_co_u32 v36, null, 0x1fd5c5a3, v15
	v_xor3_b32 v1, v23, v7, v5
	v_add_co_u32 v32, null, 0x5384540f, v11
	v_add_co_u32 v34, null, 0xf1bbcdc8, v11
	v_xor3_b32 v5, v24, v9, v3
	s_delay_alu instid0(VALU_DEP_4)
	v_mad_u64_u32 v[3:4], null, 0xcd9e8d57, v1, 0
	s_waitcnt lgkmcnt(0)
	v_cvt_f32_f64_e32 v37, s[12:13]
	s_mul_i32 s16, s11, 3
	v_mad_u64_u32 v[9:10], null, 0xd2511f53, v5, 0
	s_add_i32 s18, s15, s11
	s_add_i32 s12, s15, s16
	s_delay_alu instid0(VALU_DEP_3) | instskip(SKIP_2) | instid1(VALU_DEP_3)
	v_xor3_b32 v4, v25, v4, v8
	v_add_co_u32 v39, null, 0xdb3d7428, v15
	s_lshl_b32 s17, s11, 1
	v_xor3_b32 v6, v26, v10, v6
	s_delay_alu instid0(VALU_DEP_3) | instskip(SKIP_1) | instid1(VALU_DEP_3)
	v_mad_u64_u32 v[1:2], null, 0xd2511f53, v4, 0
	v_dual_mov_b32 v44, v14 :: v_dual_add_nc_u32 v31, 0x96a522ad, v12
	v_mad_u64_u32 v[4:5], null, 0xcd9e8d57, v6, 0
	s_mul_i32 s11, s11, s14
	s_mov_b32 s0, 0
	s_delay_alu instid0(VALU_DEP_3) | instskip(SKIP_3) | instid1(VALU_DEP_2)
	v_xor3_b32 v6, v29, v2, v9
	s_mul_i32 s11, s11, s10
	s_lshl_b32 s1, s8, 1
	s_lshl_b32 s11, s11, 2
	v_xor3_b32 v7, v30, v5, v3
	v_mad_u64_u32 v[2:3], null, 0xcd9e8d57, v6, 0
	s_delay_alu instid0(VALU_DEP_2) | instskip(NEXT) | instid1(VALU_DEP_2)
	v_mad_u64_u32 v[5:6], null, 0xd2511f53, v7, 0
	v_xor3_b32 v8, v33, v3, v4
	v_mad_u64_u32 v[3:4], null, s15, s10, v[0:1]
	s_add_i32 s15, s15, s17
	s_delay_alu instid0(VALU_DEP_3) | instskip(NEXT) | instid1(VALU_DEP_3)
	v_xor3_b32 v1, v35, v6, v1
	v_mad_u64_u32 v[6:7], null, 0xd2511f53, v8, 0
	s_delay_alu instid0(VALU_DEP_2) | instskip(NEXT) | instid1(VALU_DEP_4)
	v_mad_u64_u32 v[8:9], null, 0xcd9e8d57, v1, 0
	v_mul_lo_u32 v40, s14, v3
	s_delay_alu instid0(VALU_DEP_3) | instskip(NEXT) | instid1(VALU_DEP_3)
	v_xor3_b32 v1, v36, v7, v5
	v_xor3_b32 v2, v32, v9, v2
	s_delay_alu instid0(VALU_DEP_2) | instskip(SKIP_1) | instid1(VALU_DEP_3)
	v_mad_u64_u32 v[4:5], null, 0xcd9e8d57, v1, 0
	v_mad_u64_u32 v[15:16], null, s18, s10, v[0:1]
	;; [unrolled: 1-line block ×4, first 2 shown]
	s_delay_alu instid0(VALU_DEP_4) | instskip(SKIP_1) | instid1(VALU_DEP_4)
	v_xor3_b32 v1, v34, v5, v8
	s_mov_b32 s12, 0
	v_mul_lo_u32 v43, s14, v15
	s_delay_alu instid0(VALU_DEP_4) | instskip(NEXT) | instid1(VALU_DEP_3)
	v_xor3_b32 v8, v39, v10, v6
	v_mad_u64_u32 v[5:6], null, s15, s10, v[0:1]
	v_mad_u64_u32 v[6:7], null, 0xd2511f53, v1, 0
	s_delay_alu instid0(VALU_DEP_3) | instskip(SKIP_2) | instid1(VALU_DEP_4)
	v_mad_u64_u32 v[1:2], null, 0xcd9e8d57, v8, 0
	v_mul_lo_u32 v41, s14, v41
	s_mul_i32 s10, s8, 3
	v_mul_lo_u32 v42, s14, v5
	s_delay_alu instid0(VALU_DEP_4) | instskip(NEXT) | instid1(VALU_DEP_4)
	v_mov_b32_e32 v3, v6
	v_xor3_b32 v0, v2, v4, v28
	v_xor3_b32 v2, v7, v9, v31
	s_branch .LBB139_8
.LBB139_7:                              ;   in Loop: Header=BB139_8 Depth=1
	s_or_b32 exec_lo, exec_lo, s13
	v_add_co_u32 v13, vcc_lo, v13, s9
	v_add_co_ci_u32_e32 v14, vcc_lo, 0, v14, vcc_lo
	v_mov_b32_e32 v7, v15
	v_dual_mov_b32 v0, v4 :: v_dual_mov_b32 v1, v5
	s_delay_alu instid0(VALU_DEP_3) | instskip(NEXT) | instid1(VALU_DEP_3)
	v_cmp_le_i64_e32 vcc_lo, s[2:3], v[13:14]
	v_dual_mov_b32 v2, v6 :: v_dual_mov_b32 v3, v7
	s_add_i32 s12, s12, s11
	s_waitcnt_vscnt null, 0x0
	s_barrier
	s_or_b32 s0, vcc_lo, s0
	buffer_gl0_inv
	s_and_not1_b32 exec_lo, exec_lo, s0
	s_cbranch_execz .LBB139_26
.LBB139_8:                              ; =>This Inner Loop Header: Depth=1
	v_add_co_u32 v17, vcc_lo, v17, 1
	s_delay_alu instid0(VALU_DEP_1) | instskip(SKIP_2) | instid1(VALU_DEP_1)
	v_cndmask_b32_e64 v4, 0, 1, vcc_lo
	v_add_co_ci_u32_e32 v18, vcc_lo, 0, v18, vcc_lo
	s_mov_b32 s13, exec_lo
	v_cmp_eq_u32_e32 vcc_lo, 0, v18
	s_delay_alu instid0(VALU_DEP_3) | instskip(NEXT) | instid1(VALU_DEP_1)
	v_cndmask_b32_e32 v4, 0, v4, vcc_lo
	v_add_nc_u32_e32 v38, v4, v38
	s_delay_alu instid0(VALU_DEP_1) | instskip(SKIP_2) | instid1(VALU_DEP_2)
	v_cmp_eq_u32_e32 vcc_lo, 0, v38
	v_mad_u64_u32 v[6:7], null, 0xcd9e8d57, v38, 0
	v_cndmask_b32_e32 v4, 0, v4, vcc_lo
	v_xor3_b32 v9, v7, v11, v18
	s_delay_alu instid0(VALU_DEP_2) | instskip(SKIP_1) | instid1(VALU_DEP_3)
	v_add_nc_u32_e32 v44, v4, v44
	v_mad_u64_u32 v[4:5], null, 0xd2511f53, v17, 0
	v_mad_u64_u32 v[7:8], null, 0xd2511f53, v9, 0
	s_delay_alu instid0(VALU_DEP_2) | instskip(NEXT) | instid1(VALU_DEP_2)
	v_xor_b32_e32 v5, v5, v12
	v_xor3_b32 v8, v19, v8, v4
	s_delay_alu instid0(VALU_DEP_2) | instskip(NEXT) | instid1(VALU_DEP_1)
	v_xor_b32_e32 v5, v44, v5
	v_mad_u64_u32 v[9:10], null, 0xcd9e8d57, v5, 0
	s_delay_alu instid0(VALU_DEP_3) | instskip(NEXT) | instid1(VALU_DEP_2)
	v_mad_u64_u32 v[4:5], null, 0xcd9e8d57, v8, 0
	v_xor3_b32 v6, v20, v10, v6
	s_delay_alu instid0(VALU_DEP_2) | instskip(NEXT) | instid1(VALU_DEP_2)
	v_xor3_b32 v8, v21, v5, v9
	v_mad_u64_u32 v[15:16], null, 0xd2511f53, v6, 0
	s_delay_alu instid0(VALU_DEP_2) | instskip(NEXT) | instid1(VALU_DEP_2)
	v_mad_u64_u32 v[5:6], null, 0xd2511f53, v8, 0
	v_xor3_b32 v9, v22, v16, v7
	s_delay_alu instid0(VALU_DEP_2) | instskip(NEXT) | instid1(VALU_DEP_2)
	v_xor3_b32 v6, v23, v6, v15
	v_mad_u64_u32 v[7:8], null, 0xcd9e8d57, v9, 0
	s_delay_alu instid0(VALU_DEP_1) | instskip(NEXT) | instid1(VALU_DEP_3)
	v_xor3_b32 v4, v24, v8, v4
	v_mad_u64_u32 v[8:9], null, 0xcd9e8d57, v6, 0
	s_delay_alu instid0(VALU_DEP_2) | instskip(NEXT) | instid1(VALU_DEP_2)
	v_mad_u64_u32 v[15:16], null, 0xd2511f53, v4, 0
	v_xor3_b32 v6, v25, v9, v7
	s_delay_alu instid0(VALU_DEP_2) | instskip(NEXT) | instid1(VALU_DEP_2)
	v_xor3_b32 v9, v26, v16, v5
	v_mad_u64_u32 v[4:5], null, 0xd2511f53, v6, 0
	s_delay_alu instid0(VALU_DEP_2) | instskip(NEXT) | instid1(VALU_DEP_2)
	v_mad_u64_u32 v[6:7], null, 0xcd9e8d57, v9, 0
	v_xor3_b32 v5, v29, v5, v15
	s_delay_alu instid0(VALU_DEP_2) | instskip(NEXT) | instid1(VALU_DEP_2)
	;; [unrolled: 6-line block ×6, first 2 shown]
	v_xor3_b32 v4, v6, v7, v28
	v_mov_b32_e32 v6, v10
	v_cmpx_lt_i32_e32 1, v27
	s_xor_b32 s13, exec_lo, s13
	s_cbranch_execnz .LBB139_18
; %bb.9:                                ;   in Loop: Header=BB139_8 Depth=1
	s_and_not1_saveexec_b32 s13, s13
	s_cbranch_execnz .LBB139_23
.LBB139_10:                             ;   in Loop: Header=BB139_8 Depth=1
	s_or_b32 exec_lo, exec_lo, s13
	s_delay_alu instid0(SALU_CYCLE_1)
	s_mov_b32 s13, exec_lo
	v_cmpx_gt_i64_e64 s[4:5], v[13:14]
	s_cbranch_execz .LBB139_12
.LBB139_11:                             ;   in Loop: Header=BB139_8 Depth=1
	v_add_nc_u32_e32 v7, s12, v40
	v_cvt_f32_u32_e32 v0, v0
	s_delay_alu instid0(VALU_DEP_2) | instskip(NEXT) | instid1(VALU_DEP_2)
	v_ashrrev_i32_e32 v8, 31, v7
	v_fmaak_f32 v0, 0x2f800000, v0, 0x2f800000
	v_add_co_u32 v7, vcc_lo, s6, v7
	s_delay_alu instid0(VALU_DEP_3) | instskip(NEXT) | instid1(VALU_DEP_3)
	v_add_co_ci_u32_e32 v8, vcc_lo, s7, v8, vcc_lo
	v_cmp_lt_f32_e32 vcc_lo, v0, v37
	v_cndmask_b32_e64 v0, 0, 1, vcc_lo
	global_store_b16 v[7:8], v0, off
.LBB139_12:                             ;   in Loop: Header=BB139_8 Depth=1
	s_or_b32 exec_lo, exec_lo, s13
	v_add_co_u32 v7, vcc_lo, s8, v13
	v_add_co_ci_u32_e32 v8, vcc_lo, 0, v14, vcc_lo
	s_mov_b32 s13, exec_lo
	s_delay_alu instid0(VALU_DEP_1)
	v_cmpx_gt_i64_e64 s[4:5], v[7:8]
	s_cbranch_execz .LBB139_14
; %bb.13:                               ;   in Loop: Header=BB139_8 Depth=1
	v_add_nc_u32_e32 v0, s12, v43
	v_cvt_f32_u32_e32 v1, v1
	s_delay_alu instid0(VALU_DEP_2) | instskip(NEXT) | instid1(VALU_DEP_2)
	v_ashrrev_i32_e32 v7, 31, v0
	v_fmaak_f32 v8, 0x2f800000, v1, 0x2f800000
	v_add_co_u32 v0, vcc_lo, s6, v0
	s_delay_alu instid0(VALU_DEP_3) | instskip(NEXT) | instid1(VALU_DEP_3)
	v_add_co_ci_u32_e32 v1, vcc_lo, s7, v7, vcc_lo
	v_cmp_lt_f32_e32 vcc_lo, v8, v37
	v_cndmask_b32_e64 v7, 0, 1, vcc_lo
	global_store_b16 v[0:1], v7, off
.LBB139_14:                             ;   in Loop: Header=BB139_8 Depth=1
	s_or_b32 exec_lo, exec_lo, s13
	v_add_co_u32 v0, vcc_lo, s1, v13
	v_add_co_ci_u32_e32 v1, vcc_lo, 0, v14, vcc_lo
	s_mov_b32 s13, exec_lo
	s_delay_alu instid0(VALU_DEP_1)
	v_cmpx_gt_i64_e64 s[4:5], v[0:1]
	s_cbranch_execz .LBB139_16
; %bb.15:                               ;   in Loop: Header=BB139_8 Depth=1
	v_cvt_f32_u32_e32 v1, v2
	s_delay_alu instid0(VALU_DEP_1) | instskip(NEXT) | instid1(VALU_DEP_1)
	v_dual_fmaak_f32 v7, 0x2f800000, v1, 0x2f800000 :: v_dual_add_nc_u32 v0, s12, v42
	v_ashrrev_i32_e32 v2, 31, v0
	v_add_co_u32 v0, vcc_lo, s6, v0
	s_delay_alu instid0(VALU_DEP_2) | instskip(NEXT) | instid1(VALU_DEP_4)
	v_add_co_ci_u32_e32 v1, vcc_lo, s7, v2, vcc_lo
	v_cmp_lt_f32_e32 vcc_lo, v7, v37
	v_cndmask_b32_e64 v2, 0, 1, vcc_lo
	global_store_b16 v[0:1], v2, off
.LBB139_16:                             ;   in Loop: Header=BB139_8 Depth=1
	s_or_b32 exec_lo, exec_lo, s13
	v_add_co_u32 v0, vcc_lo, s10, v13
	v_add_co_ci_u32_e32 v1, vcc_lo, 0, v14, vcc_lo
	s_mov_b32 s13, exec_lo
	s_delay_alu instid0(VALU_DEP_1)
	v_cmpx_gt_i64_e64 s[4:5], v[0:1]
	s_cbranch_execz .LBB139_7
; %bb.17:                               ;   in Loop: Header=BB139_8 Depth=1
	v_add_nc_u32_e32 v0, s12, v41
	v_cvt_f32_u32_e32 v1, v3
	s_delay_alu instid0(VALU_DEP_2) | instskip(NEXT) | instid1(VALU_DEP_2)
	v_ashrrev_i32_e32 v2, 31, v0
	v_fmaak_f32 v3, 0x2f800000, v1, 0x2f800000
	v_add_co_u32 v0, vcc_lo, s6, v0
	s_delay_alu instid0(VALU_DEP_3) | instskip(NEXT) | instid1(VALU_DEP_3)
	v_add_co_ci_u32_e32 v1, vcc_lo, s7, v2, vcc_lo
	v_cmp_lt_f32_e32 vcc_lo, v3, v37
	v_cndmask_b32_e64 v2, 0, 1, vcc_lo
	global_store_b16 v[0:1], v2, off
	s_branch .LBB139_7
.LBB139_18:                             ;   in Loop: Header=BB139_8 Depth=1
	s_mov_b32 s14, exec_lo
	v_cmpx_lt_i32_e32 2, v27
	s_xor_b32 s14, exec_lo, s14
; %bb.19:                               ;   in Loop: Header=BB139_8 Depth=1
	v_dual_mov_b32 v7, v3 :: v_dual_mov_b32 v8, v4
	v_mov_b32_e32 v9, v5
	s_delay_alu instid0(VALU_DEP_2) | instskip(NEXT) | instid1(VALU_DEP_2)
	v_dual_mov_b32 v0, v7 :: v_dual_mov_b32 v1, v8
	v_dual_mov_b32 v2, v9 :: v_dual_mov_b32 v3, v10
; %bb.20:                               ;   in Loop: Header=BB139_8 Depth=1
	s_and_not1_saveexec_b32 s14, s14
; %bb.21:                               ;   in Loop: Header=BB139_8 Depth=1
	s_delay_alu instid0(VALU_DEP_1)
	v_dual_mov_b32 v0, v2 :: v_dual_mov_b32 v1, v3
	v_dual_mov_b32 v2, v4 :: v_dual_mov_b32 v3, v5
; %bb.22:                               ;   in Loop: Header=BB139_8 Depth=1
	s_or_b32 exec_lo, exec_lo, s14
	s_and_not1_saveexec_b32 s13, s13
	s_cbranch_execz .LBB139_10
.LBB139_23:                             ;   in Loop: Header=BB139_8 Depth=1
	s_mov_b32 s14, exec_lo
	v_cmpx_eq_u32_e32 1, v27
; %bb.24:                               ;   in Loop: Header=BB139_8 Depth=1
	v_dual_mov_b32 v0, v1 :: v_dual_mov_b32 v1, v2
	v_dual_mov_b32 v2, v3 :: v_dual_mov_b32 v3, v4
; %bb.25:                               ;   in Loop: Header=BB139_8 Depth=1
	s_or_b32 exec_lo, exec_lo, s14
	s_delay_alu instid0(SALU_CYCLE_1) | instskip(NEXT) | instid1(SALU_CYCLE_1)
	s_or_b32 exec_lo, exec_lo, s13
	s_mov_b32 s13, exec_lo
	v_cmpx_gt_i64_e64 s[4:5], v[13:14]
	s_cbranch_execnz .LBB139_11
	s_branch .LBB139_12
.LBB139_26:
	s_endpgm
.LBB139_27:
                                        ; implicit-def: $sgpr2_sgpr3
	s_branch .LBB139_4
	.section	.rodata,"a",@progbits
	.p2align	6, 0x0
	.amdhsa_kernel _ZN2at6native12_GLOBAL__N_143distribution_elementwise_grid_stride_kernelIfLi4EZNS0_9templates4cuda21uniform_and_transformIsfPNS_17CUDAGeneratorImplEZZZNS4_16bernoulli_kernelIS7_EEvRNS_18TensorIteratorBaseEdT_ENKUlvE_clEvENKUlvE3_clEvEUlfE_EEvSA_T1_T2_EUlP25hiprandStatePhilox4_32_10E0_ZNS1_27distribution_nullary_kernelIsf15HIP_vector_typeIfLj4EES7_SJ_SE_EEvSA_SG_RKT3_T4_EUlifE_EEvlNS_15PhiloxCudaStateESF_SG_
		.amdhsa_group_segment_fixed_size 0
		.amdhsa_private_segment_fixed_size 0
		.amdhsa_kernarg_size 328
		.amdhsa_user_sgpr_count 15
		.amdhsa_user_sgpr_dispatch_ptr 0
		.amdhsa_user_sgpr_queue_ptr 0
		.amdhsa_user_sgpr_kernarg_segment_ptr 1
		.amdhsa_user_sgpr_dispatch_id 0
		.amdhsa_user_sgpr_private_segment_size 0
		.amdhsa_wavefront_size32 1
		.amdhsa_uses_dynamic_stack 0
		.amdhsa_enable_private_segment 0
		.amdhsa_system_sgpr_workgroup_id_x 1
		.amdhsa_system_sgpr_workgroup_id_y 0
		.amdhsa_system_sgpr_workgroup_id_z 0
		.amdhsa_system_sgpr_workgroup_info 0
		.amdhsa_system_vgpr_workitem_id 0
		.amdhsa_next_free_vgpr 45
		.amdhsa_next_free_sgpr 23
		.amdhsa_reserve_vcc 1
		.amdhsa_float_round_mode_32 0
		.amdhsa_float_round_mode_16_64 0
		.amdhsa_float_denorm_mode_32 3
		.amdhsa_float_denorm_mode_16_64 3
		.amdhsa_dx10_clamp 1
		.amdhsa_ieee_mode 1
		.amdhsa_fp16_overflow 0
		.amdhsa_workgroup_processor_mode 1
		.amdhsa_memory_ordered 1
		.amdhsa_forward_progress 0
		.amdhsa_shared_vgpr_count 0
		.amdhsa_exception_fp_ieee_invalid_op 0
		.amdhsa_exception_fp_denorm_src 0
		.amdhsa_exception_fp_ieee_div_zero 0
		.amdhsa_exception_fp_ieee_overflow 0
		.amdhsa_exception_fp_ieee_underflow 0
		.amdhsa_exception_fp_ieee_inexact 0
		.amdhsa_exception_int_div_zero 0
	.end_amdhsa_kernel
	.section	.text._ZN2at6native12_GLOBAL__N_143distribution_elementwise_grid_stride_kernelIfLi4EZNS0_9templates4cuda21uniform_and_transformIsfPNS_17CUDAGeneratorImplEZZZNS4_16bernoulli_kernelIS7_EEvRNS_18TensorIteratorBaseEdT_ENKUlvE_clEvENKUlvE3_clEvEUlfE_EEvSA_T1_T2_EUlP25hiprandStatePhilox4_32_10E0_ZNS1_27distribution_nullary_kernelIsf15HIP_vector_typeIfLj4EES7_SJ_SE_EEvSA_SG_RKT3_T4_EUlifE_EEvlNS_15PhiloxCudaStateESF_SG_,"axG",@progbits,_ZN2at6native12_GLOBAL__N_143distribution_elementwise_grid_stride_kernelIfLi4EZNS0_9templates4cuda21uniform_and_transformIsfPNS_17CUDAGeneratorImplEZZZNS4_16bernoulli_kernelIS7_EEvRNS_18TensorIteratorBaseEdT_ENKUlvE_clEvENKUlvE3_clEvEUlfE_EEvSA_T1_T2_EUlP25hiprandStatePhilox4_32_10E0_ZNS1_27distribution_nullary_kernelIsf15HIP_vector_typeIfLj4EES7_SJ_SE_EEvSA_SG_RKT3_T4_EUlifE_EEvlNS_15PhiloxCudaStateESF_SG_,comdat
.Lfunc_end139:
	.size	_ZN2at6native12_GLOBAL__N_143distribution_elementwise_grid_stride_kernelIfLi4EZNS0_9templates4cuda21uniform_and_transformIsfPNS_17CUDAGeneratorImplEZZZNS4_16bernoulli_kernelIS7_EEvRNS_18TensorIteratorBaseEdT_ENKUlvE_clEvENKUlvE3_clEvEUlfE_EEvSA_T1_T2_EUlP25hiprandStatePhilox4_32_10E0_ZNS1_27distribution_nullary_kernelIsf15HIP_vector_typeIfLj4EES7_SJ_SE_EEvSA_SG_RKT3_T4_EUlifE_EEvlNS_15PhiloxCudaStateESF_SG_, .Lfunc_end139-_ZN2at6native12_GLOBAL__N_143distribution_elementwise_grid_stride_kernelIfLi4EZNS0_9templates4cuda21uniform_and_transformIsfPNS_17CUDAGeneratorImplEZZZNS4_16bernoulli_kernelIS7_EEvRNS_18TensorIteratorBaseEdT_ENKUlvE_clEvENKUlvE3_clEvEUlfE_EEvSA_T1_T2_EUlP25hiprandStatePhilox4_32_10E0_ZNS1_27distribution_nullary_kernelIsf15HIP_vector_typeIfLj4EES7_SJ_SE_EEvSA_SG_RKT3_T4_EUlifE_EEvlNS_15PhiloxCudaStateESF_SG_
                                        ; -- End function
	.section	.AMDGPU.csdata,"",@progbits
; Kernel info:
; codeLenInByte = 2928
; NumSgprs: 25
; NumVgprs: 45
; ScratchSize: 0
; MemoryBound: 0
; FloatMode: 240
; IeeeMode: 1
; LDSByteSize: 0 bytes/workgroup (compile time only)
; SGPRBlocks: 3
; VGPRBlocks: 5
; NumSGPRsForWavesPerEU: 25
; NumVGPRsForWavesPerEU: 45
; Occupancy: 16
; WaveLimiterHint : 0
; COMPUTE_PGM_RSRC2:SCRATCH_EN: 0
; COMPUTE_PGM_RSRC2:USER_SGPR: 15
; COMPUTE_PGM_RSRC2:TRAP_HANDLER: 0
; COMPUTE_PGM_RSRC2:TGID_X_EN: 1
; COMPUTE_PGM_RSRC2:TGID_Y_EN: 0
; COMPUTE_PGM_RSRC2:TGID_Z_EN: 0
; COMPUTE_PGM_RSRC2:TIDIG_COMP_CNT: 0
	.section	.text._ZN2at6native12_GLOBAL__N_143distribution_elementwise_grid_stride_kernelIfLi4EZNS0_9templates4cuda21uniform_and_transformIsfPNS_17CUDAGeneratorImplEZZZNS4_16bernoulli_kernelIS7_EEvRNS_18TensorIteratorBaseEdT_ENKUlvE_clEvENKUlvE3_clEvEUlfE_EEvSA_T1_T2_EUlP25hiprandStatePhilox4_32_10E0_ZNS1_27distribution_nullary_kernelIsf15HIP_vector_typeIfLj4EES7_SJ_SE_EEvSA_SG_RKT3_T4_EUlifE0_EEvlNS_15PhiloxCudaStateESF_SG_,"axG",@progbits,_ZN2at6native12_GLOBAL__N_143distribution_elementwise_grid_stride_kernelIfLi4EZNS0_9templates4cuda21uniform_and_transformIsfPNS_17CUDAGeneratorImplEZZZNS4_16bernoulli_kernelIS7_EEvRNS_18TensorIteratorBaseEdT_ENKUlvE_clEvENKUlvE3_clEvEUlfE_EEvSA_T1_T2_EUlP25hiprandStatePhilox4_32_10E0_ZNS1_27distribution_nullary_kernelIsf15HIP_vector_typeIfLj4EES7_SJ_SE_EEvSA_SG_RKT3_T4_EUlifE0_EEvlNS_15PhiloxCudaStateESF_SG_,comdat
	.globl	_ZN2at6native12_GLOBAL__N_143distribution_elementwise_grid_stride_kernelIfLi4EZNS0_9templates4cuda21uniform_and_transformIsfPNS_17CUDAGeneratorImplEZZZNS4_16bernoulli_kernelIS7_EEvRNS_18TensorIteratorBaseEdT_ENKUlvE_clEvENKUlvE3_clEvEUlfE_EEvSA_T1_T2_EUlP25hiprandStatePhilox4_32_10E0_ZNS1_27distribution_nullary_kernelIsf15HIP_vector_typeIfLj4EES7_SJ_SE_EEvSA_SG_RKT3_T4_EUlifE0_EEvlNS_15PhiloxCudaStateESF_SG_ ; -- Begin function _ZN2at6native12_GLOBAL__N_143distribution_elementwise_grid_stride_kernelIfLi4EZNS0_9templates4cuda21uniform_and_transformIsfPNS_17CUDAGeneratorImplEZZZNS4_16bernoulli_kernelIS7_EEvRNS_18TensorIteratorBaseEdT_ENKUlvE_clEvENKUlvE3_clEvEUlfE_EEvSA_T1_T2_EUlP25hiprandStatePhilox4_32_10E0_ZNS1_27distribution_nullary_kernelIsf15HIP_vector_typeIfLj4EES7_SJ_SE_EEvSA_SG_RKT3_T4_EUlifE0_EEvlNS_15PhiloxCudaStateESF_SG_
	.p2align	8
	.type	_ZN2at6native12_GLOBAL__N_143distribution_elementwise_grid_stride_kernelIfLi4EZNS0_9templates4cuda21uniform_and_transformIsfPNS_17CUDAGeneratorImplEZZZNS4_16bernoulli_kernelIS7_EEvRNS_18TensorIteratorBaseEdT_ENKUlvE_clEvENKUlvE3_clEvEUlfE_EEvSA_T1_T2_EUlP25hiprandStatePhilox4_32_10E0_ZNS1_27distribution_nullary_kernelIsf15HIP_vector_typeIfLj4EES7_SJ_SE_EEvSA_SG_RKT3_T4_EUlifE0_EEvlNS_15PhiloxCudaStateESF_SG_,@function
_ZN2at6native12_GLOBAL__N_143distribution_elementwise_grid_stride_kernelIfLi4EZNS0_9templates4cuda21uniform_and_transformIsfPNS_17CUDAGeneratorImplEZZZNS4_16bernoulli_kernelIS7_EEvRNS_18TensorIteratorBaseEdT_ENKUlvE_clEvENKUlvE3_clEvEUlfE_EEvSA_T1_T2_EUlP25hiprandStatePhilox4_32_10E0_ZNS1_27distribution_nullary_kernelIsf15HIP_vector_typeIfLj4EES7_SJ_SE_EEvSA_SG_RKT3_T4_EUlifE0_EEvlNS_15PhiloxCudaStateESF_SG_: ; @_ZN2at6native12_GLOBAL__N_143distribution_elementwise_grid_stride_kernelIfLi4EZNS0_9templates4cuda21uniform_and_transformIsfPNS_17CUDAGeneratorImplEZZZNS4_16bernoulli_kernelIS7_EEvRNS_18TensorIteratorBaseEdT_ENKUlvE_clEvENKUlvE3_clEvEUlfE_EEvSA_T1_T2_EUlP25hiprandStatePhilox4_32_10E0_ZNS1_27distribution_nullary_kernelIsf15HIP_vector_typeIfLj4EES7_SJ_SE_EEvSA_SG_RKT3_T4_EUlifE0_EEvlNS_15PhiloxCudaStateESF_SG_
; %bb.0:
	s_clause 0x2
	s_load_b64 s[4:5], s[0:1], 0x10
	s_load_b128 s[16:19], s[0:1], 0x0
	s_load_b32 s2, s[0:1], 0x20
	s_waitcnt lgkmcnt(0)
	v_dual_mov_b32 v2, s4 :: v_dual_mov_b32 v3, s5
	v_dual_mov_b32 v11, s18 :: v_dual_mov_b32 v12, s19
	s_bitcmp0_b32 s2, 0
	s_mov_b32 s2, 0
	s_cbranch_scc1 .LBB140_2
; %bb.1:
	v_dual_mov_b32 v1, s4 :: v_dual_mov_b32 v2, s5
	v_dual_mov_b32 v4, s18 :: v_dual_mov_b32 v5, s19
	s_load_b64 s[4:5], s[0:1], 0x18
	flat_load_b64 v[2:3], v[1:2]
	flat_load_b64 v[11:12], v[4:5]
	s_waitcnt vmcnt(1) lgkmcnt(0)
	v_add_co_u32 v2, vcc_lo, v2, s4
	v_add_co_ci_u32_e32 v3, vcc_lo, s5, v3, vcc_lo
.LBB140_2:
	s_clause 0x1
	s_load_b32 s3, s[0:1], 0x154
	s_load_b32 s4, s[0:1], 0x148
	s_waitcnt lgkmcnt(0)
	s_and_b32 s5, s3, 0xffff
	s_add_u32 s6, s16, -1
	s_mul_i32 s24, s4, s5
	s_addc_u32 s3, s17, -1
	s_lshl_b32 s25, s24, 2
	s_cmp_lg_u64 s[2:3], 0
	s_cbranch_scc0 .LBB140_79
; %bb.3:
	v_cvt_f32_ubyte0_e32 v1, 0
	v_cvt_f32_u32_e32 v4, s25
	s_sub_u32 s8, 0, s25
	s_subb_u32 s9, 0, 0
	s_delay_alu instid0(VALU_DEP_1) | instskip(NEXT) | instid1(VALU_DEP_1)
	v_fmamk_f32 v1, v1, 0x4f800000, v4
	v_rcp_f32_e32 v1, v1
	s_waitcnt_depctr 0xfff
	v_mul_f32_e32 v1, 0x5f7ffffc, v1
	s_delay_alu instid0(VALU_DEP_1) | instskip(NEXT) | instid1(VALU_DEP_1)
	v_mul_f32_e32 v4, 0x2f800000, v1
	v_trunc_f32_e32 v4, v4
	s_delay_alu instid0(VALU_DEP_1) | instskip(SKIP_1) | instid1(VALU_DEP_2)
	v_fmamk_f32 v1, v4, 0xcf800000, v1
	v_cvt_u32_f32_e32 v4, v4
	v_cvt_u32_f32_e32 v1, v1
	s_delay_alu instid0(VALU_DEP_2) | instskip(NEXT) | instid1(VALU_DEP_2)
	v_readfirstlane_b32 s2, v4
	v_readfirstlane_b32 s7, v1
	s_delay_alu instid0(VALU_DEP_2) | instskip(NEXT) | instid1(VALU_DEP_1)
	s_mul_i32 s10, s8, s2
	s_mul_hi_u32 s12, s8, s7
	s_mul_i32 s11, s9, s7
	s_add_i32 s10, s12, s10
	s_mul_i32 s13, s8, s7
	s_add_i32 s10, s10, s11
	s_mul_hi_u32 s12, s7, s13
	s_mul_hi_u32 s14, s2, s13
	s_mul_i32 s11, s2, s13
	s_mul_hi_u32 s13, s7, s10
	s_mul_i32 s7, s7, s10
	s_mul_hi_u32 s18, s2, s10
	s_add_u32 s7, s12, s7
	s_addc_u32 s12, 0, s13
	s_add_u32 s7, s7, s11
	s_mul_i32 s10, s2, s10
	s_addc_u32 s7, s12, s14
	s_addc_u32 s11, s18, 0
	s_add_u32 s7, s7, s10
	s_addc_u32 s10, 0, s11
	v_add_co_u32 v1, s7, v1, s7
	s_delay_alu instid0(VALU_DEP_1) | instskip(SKIP_1) | instid1(VALU_DEP_1)
	s_cmp_lg_u32 s7, 0
	s_addc_u32 s2, s2, s10
	v_readfirstlane_b32 s7, v1
	s_mul_i32 s10, s8, s2
	s_delay_alu instid0(VALU_DEP_1)
	s_mul_hi_u32 s11, s8, s7
	s_mul_i32 s9, s9, s7
	s_add_i32 s10, s11, s10
	s_mul_i32 s8, s8, s7
	s_add_i32 s10, s10, s9
	s_mul_hi_u32 s11, s2, s8
	s_mul_i32 s12, s2, s8
	s_mul_hi_u32 s8, s7, s8
	s_mul_hi_u32 s13, s7, s10
	s_mul_i32 s7, s7, s10
	s_mul_hi_u32 s9, s2, s10
	s_add_u32 s7, s8, s7
	s_addc_u32 s8, 0, s13
	s_add_u32 s7, s7, s12
	s_mul_i32 s10, s2, s10
	s_addc_u32 s7, s8, s11
	s_addc_u32 s8, s9, 0
	s_add_u32 s7, s7, s10
	s_addc_u32 s8, 0, s8
	v_add_co_u32 v1, s7, v1, s7
	s_delay_alu instid0(VALU_DEP_1) | instskip(SKIP_2) | instid1(VALU_DEP_1)
	s_cmp_lg_u32 s7, 0
	s_addc_u32 s7, s2, s8
	s_ashr_i32 s8, s3, 31
	v_readfirstlane_b32 s10, v1
	s_add_u32 s2, s6, s8
	s_mov_b32 s9, s8
	s_addc_u32 s3, s3, s8
	s_delay_alu instid0(SALU_CYCLE_1) | instskip(NEXT) | instid1(SALU_CYCLE_1)
	s_xor_b64 s[2:3], s[2:3], s[8:9]
	s_mul_i32 s12, s2, s7
	s_mul_hi_u32 s13, s2, s10
	s_mul_hi_u32 s11, s2, s7
	;; [unrolled: 1-line block ×3, first 2 shown]
	s_mul_i32 s10, s3, s10
	s_add_u32 s12, s13, s12
	s_addc_u32 s11, 0, s11
	s_mul_hi_u32 s14, s3, s7
	s_add_u32 s10, s12, s10
	s_mul_i32 s7, s3, s7
	s_addc_u32 s10, s11, s18
	s_addc_u32 s11, s14, 0
	s_add_u32 s7, s10, s7
	s_addc_u32 s10, 0, s11
	s_mul_i32 s12, s25, s7
	s_add_u32 s11, s7, 1
	v_sub_co_u32 v1, s2, s2, s12
	s_mul_hi_u32 s12, s25, s7
	s_addc_u32 s13, s10, 0
	s_mul_i32 s14, s25, s10
	s_delay_alu instid0(VALU_DEP_1)
	v_sub_co_u32 v4, s18, v1, s25
	s_add_u32 s19, s7, 2
	s_addc_u32 s20, s10, 0
	s_add_i32 s12, s12, s14
	s_cmp_lg_u32 s2, 0
	v_readfirstlane_b32 s2, v4
	s_subb_u32 s3, s3, s12
	s_cmp_lg_u32 s18, 0
	s_subb_u32 s12, s3, 0
	s_delay_alu instid0(VALU_DEP_1) | instskip(SKIP_4) | instid1(SALU_CYCLE_1)
	s_cmp_ge_u32 s2, s25
	s_cselect_b32 s2, -1, 0
	s_cmp_eq_u32 s12, 0
	v_readfirstlane_b32 s12, v1
	s_cselect_b32 s2, s2, -1
	s_cmp_lg_u32 s2, 0
	s_cselect_b32 s2, s19, s11
	s_cselect_b32 s11, s20, s13
	s_cmp_ge_u32 s12, s25
	s_cselect_b32 s12, -1, 0
	s_cmp_eq_u32 s3, 0
	s_cselect_b32 s3, s12, -1
	s_delay_alu instid0(SALU_CYCLE_1) | instskip(SKIP_2) | instid1(SALU_CYCLE_1)
	s_cmp_lg_u32 s3, 0
	s_cselect_b32 s3, s11, s10
	s_cselect_b32 s2, s2, s7
	s_xor_b64 s[2:3], s[2:3], s[8:9]
	s_delay_alu instid0(SALU_CYCLE_1)
	s_sub_u32 s2, s2, s8
	s_subb_u32 s3, s3, s8
	s_cbranch_execnz .LBB140_5
.LBB140_4:
	v_cvt_f32_u32_e32 v1, s25
	s_sub_i32 s3, 0, s25
	s_delay_alu instid0(VALU_DEP_1) | instskip(SKIP_2) | instid1(VALU_DEP_1)
	v_rcp_iflag_f32_e32 v1, v1
	s_waitcnt_depctr 0xfff
	v_mul_f32_e32 v1, 0x4f7ffffe, v1
	v_cvt_u32_f32_e32 v1, v1
	s_delay_alu instid0(VALU_DEP_1) | instskip(NEXT) | instid1(VALU_DEP_1)
	v_readfirstlane_b32 s2, v1
	s_mul_i32 s3, s3, s2
	s_delay_alu instid0(SALU_CYCLE_1) | instskip(NEXT) | instid1(SALU_CYCLE_1)
	s_mul_hi_u32 s3, s2, s3
	s_add_i32 s2, s2, s3
	s_delay_alu instid0(SALU_CYCLE_1) | instskip(NEXT) | instid1(SALU_CYCLE_1)
	s_mul_hi_u32 s2, s6, s2
	s_mul_i32 s3, s2, s25
	s_delay_alu instid0(SALU_CYCLE_1)
	s_sub_i32 s3, s6, s3
	s_add_i32 s6, s2, 1
	s_sub_i32 s7, s3, s25
	s_cmp_ge_u32 s3, s25
	s_cselect_b32 s2, s6, s2
	s_cselect_b32 s3, s7, s3
	s_add_i32 s6, s2, 1
	s_cmp_ge_u32 s3, s25
	s_mov_b32 s3, 0
	s_cselect_b32 s2, s6, s2
.LBB140_5:
	v_mov_b32_e32 v1, 0
	s_add_u32 s2, s2, 1
	s_addc_u32 s3, s3, 0
	s_mul_hi_u32 s6, s24, s2
	s_mul_i32 s3, s24, s3
	v_mad_u64_u32 v[13:14], null, s5, s15, v[0:1]
	s_mul_hi_u32 s4, s4, s5
	s_add_i32 s3, s6, s3
	s_mul_i32 s4, s4, s2
	s_mul_i32 s2, s24, s2
	s_add_i32 s3, s3, s4
	s_mov_b32 s4, exec_lo
	s_lshl_b64 s[2:3], s[2:3], 2
	s_delay_alu instid0(SALU_CYCLE_1)
	v_cmpx_gt_i64_e64 s[2:3], v[13:14]
	s_cbranch_execz .LBB140_78
; %bb.6:
	v_alignbit_b32 v17, v3, v2, 2
	v_mad_u64_u32 v[4:5], null, 0xcd9e8d57, v13, 0
	v_lshrrev_b32_e32 v18, 2, v3
	s_waitcnt vmcnt(0)
	v_dual_mov_b32 v9, v12 :: v_dual_add_nc_u32 v28, 0x8ff34781, v11
	v_mad_u64_u32 v[0:1], null, 0xd2511f53, v17, 0
	v_add_co_u32 v20, null, 0x9e3779b9, v11
	v_xor3_b32 v3, v11, v5, v18
	s_delay_alu instid0(VALU_DEP_4) | instskip(SKIP_2) | instid1(VALU_DEP_4)
	v_add_co_u32 v19, null, 0xbb67ae85, v9
	v_add_co_u32 v21, null, 0x3c6ef372, v11
	v_xor_b32_e32 v1, v1, v12
	v_mad_u64_u32 v[5:6], null, 0xd2511f53, v3, 0
	v_add_co_u32 v22, null, 0x76cf5d0a, v9
	s_delay_alu instid0(VALU_DEP_3) | instskip(SKIP_2) | instid1(VALU_DEP_3)
	v_xor_b32_e32 v1, v1, v14
	v_add_co_u32 v23, null, 0x32370b8f, v9
	v_add_co_u32 v24, null, 0xdaa66d2b, v11
	v_mad_u64_u32 v[7:8], null, 0xcd9e8d57, v1, 0
	v_xor3_b32 v3, v19, v6, v0
	v_dual_mov_b32 v36, v13 :: v_dual_and_b32 v25, 3, v2
	v_add_co_u32 v26, null, 0x78dde6e4, v11
	s_delay_alu instid0(VALU_DEP_3) | instskip(SKIP_3) | instid1(VALU_DEP_3)
	v_mad_u64_u32 v[0:1], null, 0xcd9e8d57, v3, 0
	v_xor3_b32 v6, v20, v8, v4
	v_add_co_u32 v27, null, 0xed9eba14, v9
	v_add_co_u32 v31, null, 0xa9066899, v9
	v_mad_u64_u32 v[3:4], null, 0xd2511f53, v6, 0
	v_xor3_b32 v1, v21, v1, v7
	v_add_co_u32 v32, null, 0x1715609d, v11
	s_clause 0x1
	s_load_b64 s[20:21], s[0:1], 0xf4
	s_load_b128 s[12:15], s[0:1], 0x138
	v_add_co_u32 v33, null, 0xb54cda56, v11
	s_delay_alu instid0(VALU_DEP_4) | instskip(SKIP_2) | instid1(VALU_DEP_3)
	v_xor3_b32 v8, v22, v4, v5
	v_mad_u64_u32 v[4:5], null, 0xd2511f53, v1, 0
	v_add_co_u32 v34, null, 0x646e171e, v9
	v_mad_u64_u32 v[6:7], null, 0xcd9e8d57, v8, 0
	s_load_b256 s[4:11], s[0:1], 0x30
	v_add_co_u32 v30, null, 0x5384540f, v11
	s_delay_alu instid0(VALU_DEP_4) | instskip(SKIP_1) | instid1(VALU_DEP_4)
	v_xor3_b32 v3, v23, v5, v3
	v_add_co_u32 v37, null, 0x1fd5c5a3, v9
	v_xor3_b32 v5, v24, v7, v0
	v_add_co_u32 v35, null, 0xf1bbcdc8, v11
	s_delay_alu instid0(VALU_DEP_4) | instskip(NEXT) | instid1(VALU_DEP_3)
	v_mad_u64_u32 v[0:1], null, 0xcd9e8d57, v3, 0
	v_mad_u64_u32 v[2:3], null, 0xd2511f53, v5, 0
	s_waitcnt lgkmcnt(0)
	v_cvt_f32_f64_e32 v38, s[14:15]
	v_add_co_u32 v39, null, 0xdb3d7428, v9
	s_add_u32 s18, s0, 48
	s_delay_alu instid0(VALU_DEP_4) | instskip(SKIP_1) | instid1(VALU_DEP_4)
	v_xor3_b32 v1, v26, v1, v6
	s_addc_u32 s19, s1, 0
	v_xor3_b32 v7, v27, v3, v4
	s_add_i32 s22, s4, -1
	v_dual_mov_b32 v40, v14 :: v_dual_add_nc_u32 v29, 0x96a522ad, v12
	v_mad_u64_u32 v[3:4], null, 0xd2511f53, v1, 0
	s_delay_alu instid0(VALU_DEP_3) | instskip(SKIP_4) | instid1(VALU_DEP_2)
	v_mad_u64_u32 v[5:6], null, 0xcd9e8d57, v7, 0
	s_cmp_gt_u32 s22, 1
	s_mov_b32 s26, 0
	s_cselect_b32 s11, -1, 0
	s_cmp_lg_u32 s4, 0
	v_xor3_b32 v2, v31, v4, v2
	s_cselect_b32 s27, -1, 0
	s_delay_alu instid0(VALU_DEP_2) | instskip(SKIP_3) | instid1(VALU_DEP_2)
	v_xor3_b32 v4, v32, v6, v0
	s_add_u32 s0, s0, 0xf4
	s_addc_u32 s1, s1, 0
	v_mad_u64_u32 v[0:1], null, 0xcd9e8d57, v2, 0
	v_mad_u64_u32 v[6:7], null, 0xd2511f53, v4, 0
	s_min_u32 s14, s22, 15
	s_cmp_gt_u32 s4, 1
	s_mul_i32 s33, s24, 3
	s_cselect_b32 s4, -1, 0
	s_delay_alu instid0(VALU_DEP_2) | instskip(SKIP_1) | instid1(VALU_DEP_2)
	v_xor3_b32 v4, v33, v1, v5
	s_add_i32 s14, s14, 1
	v_xor3_b32 v5, v34, v7, v3
	s_lshl_b32 s28, s24, 1
	s_and_b32 s29, s14, 3
	v_mad_u64_u32 v[1:2], null, 0xd2511f53, v4, 0
	s_delay_alu instid0(VALU_DEP_2) | instskip(SKIP_3) | instid1(VALU_DEP_2)
	v_mad_u64_u32 v[3:4], null, 0xcd9e8d57, v5, 0
	s_cmp_lg_u32 s22, 2
	s_cselect_b32 s30, -1, 0
	s_and_b32 s31, s14, 28
	v_xor3_b32 v2, v37, v2, v6
	s_cmp_lg_u32 s29, 0
	s_delay_alu instid0(VALU_DEP_2) | instskip(SKIP_1) | instid1(VALU_DEP_2)
	v_xor3_b32 v0, v30, v4, v0
	s_cselect_b32 s34, -1, 0
	v_mad_u64_u32 v[4:5], null, 0xcd9e8d57, v2, 0
	s_delay_alu instid0(VALU_DEP_2) | instskip(NEXT) | instid1(VALU_DEP_2)
	v_mad_u64_u32 v[6:7], null, 0xd2511f53, v0, 0
	v_xor3_b32 v0, v35, v5, v3
	s_delay_alu instid0(VALU_DEP_2) | instskip(NEXT) | instid1(VALU_DEP_2)
	v_xor3_b32 v3, v39, v7, v1
	v_mad_u64_u32 v[7:8], null, 0xd2511f53, v0, 0
	s_delay_alu instid0(VALU_DEP_2) | instskip(NEXT) | instid1(VALU_DEP_2)
	v_mad_u64_u32 v[1:2], null, 0xcd9e8d57, v3, 0
	v_mov_b32_e32 v3, v7
	s_delay_alu instid0(VALU_DEP_2) | instskip(NEXT) | instid1(VALU_DEP_4)
	v_xor3_b32 v0, v2, v4, v28
	v_xor3_b32 v2, v8, v6, v29
	s_branch .LBB140_9
.LBB140_7:                              ;   in Loop: Header=BB140_9 Depth=1
	v_cvt_f32_u32_e32 v0, v3
	s_delay_alu instid0(VALU_DEP_1) | instskip(NEXT) | instid1(VALU_DEP_1)
	v_fmaak_f32 v0, 0x2f800000, v0, 0x2f800000
	v_cmp_lt_f32_e32 vcc_lo, v0, v38
	v_cndmask_b32_e64 v0, 0, 1, vcc_lo
	global_store_b16 v1, v0, s[12:13]
.LBB140_8:                              ;   in Loop: Header=BB140_9 Depth=1
	s_or_b32 exec_lo, exec_lo, s35
	v_add_co_u32 v13, vcc_lo, v13, s25
	v_add_co_ci_u32_e32 v14, vcc_lo, 0, v14, vcc_lo
	v_mov_b32_e32 v7, v15
	v_dual_mov_b32 v0, v4 :: v_dual_mov_b32 v1, v5
	s_delay_alu instid0(VALU_DEP_3) | instskip(NEXT) | instid1(VALU_DEP_3)
	v_cmp_le_i64_e32 vcc_lo, s[2:3], v[13:14]
	v_dual_mov_b32 v2, v6 :: v_dual_mov_b32 v3, v7
	s_waitcnt_vscnt null, 0x0
	s_barrier
	buffer_gl0_inv
	s_or_b32 s26, vcc_lo, s26
	s_delay_alu instid0(SALU_CYCLE_1)
	s_and_not1_b32 exec_lo, exec_lo, s26
	s_cbranch_execz .LBB140_78
.LBB140_9:                              ; =>This Loop Header: Depth=1
                                        ;     Child Loop BB140_24 Depth 2
                                        ;     Child Loop BB140_29 Depth 2
	;; [unrolled: 1-line block ×8, first 2 shown]
	v_add_co_u32 v17, vcc_lo, v17, 1
	s_delay_alu instid0(VALU_DEP_1) | instskip(SKIP_2) | instid1(VALU_DEP_1)
	v_cndmask_b32_e64 v4, 0, 1, vcc_lo
	v_add_co_ci_u32_e32 v18, vcc_lo, 0, v18, vcc_lo
	s_mov_b32 s14, exec_lo
	v_cmp_eq_u32_e32 vcc_lo, 0, v18
	s_delay_alu instid0(VALU_DEP_3) | instskip(NEXT) | instid1(VALU_DEP_1)
	v_cndmask_b32_e32 v4, 0, v4, vcc_lo
	v_add_nc_u32_e32 v36, v4, v36
	s_delay_alu instid0(VALU_DEP_1) | instskip(SKIP_2) | instid1(VALU_DEP_2)
	v_cmp_eq_u32_e32 vcc_lo, 0, v36
	v_mad_u64_u32 v[6:7], null, 0xcd9e8d57, v36, 0
	v_cndmask_b32_e32 v4, 0, v4, vcc_lo
	v_xor3_b32 v9, v7, v11, v18
	s_delay_alu instid0(VALU_DEP_2) | instskip(SKIP_1) | instid1(VALU_DEP_3)
	v_add_nc_u32_e32 v40, v4, v40
	v_mad_u64_u32 v[4:5], null, 0xd2511f53, v17, 0
	v_mad_u64_u32 v[7:8], null, 0xd2511f53, v9, 0
	s_delay_alu instid0(VALU_DEP_2) | instskip(NEXT) | instid1(VALU_DEP_2)
	v_xor_b32_e32 v5, v5, v12
	v_xor3_b32 v8, v19, v8, v4
	s_delay_alu instid0(VALU_DEP_2) | instskip(NEXT) | instid1(VALU_DEP_1)
	v_xor_b32_e32 v5, v40, v5
	v_mad_u64_u32 v[9:10], null, 0xcd9e8d57, v5, 0
	s_delay_alu instid0(VALU_DEP_3) | instskip(NEXT) | instid1(VALU_DEP_2)
	v_mad_u64_u32 v[4:5], null, 0xcd9e8d57, v8, 0
	v_xor3_b32 v6, v20, v10, v6
	s_delay_alu instid0(VALU_DEP_2) | instskip(NEXT) | instid1(VALU_DEP_2)
	v_xor3_b32 v8, v21, v5, v9
	v_mad_u64_u32 v[15:16], null, 0xd2511f53, v6, 0
	s_delay_alu instid0(VALU_DEP_2) | instskip(NEXT) | instid1(VALU_DEP_2)
	v_mad_u64_u32 v[5:6], null, 0xd2511f53, v8, 0
	v_xor3_b32 v9, v22, v16, v7
	s_delay_alu instid0(VALU_DEP_2) | instskip(NEXT) | instid1(VALU_DEP_2)
	v_xor3_b32 v6, v23, v6, v15
	v_mad_u64_u32 v[7:8], null, 0xcd9e8d57, v9, 0
	s_delay_alu instid0(VALU_DEP_1) | instskip(NEXT) | instid1(VALU_DEP_3)
	v_xor3_b32 v4, v24, v8, v4
	v_mad_u64_u32 v[8:9], null, 0xcd9e8d57, v6, 0
	s_delay_alu instid0(VALU_DEP_2) | instskip(NEXT) | instid1(VALU_DEP_2)
	v_mad_u64_u32 v[15:16], null, 0xd2511f53, v4, 0
	v_xor3_b32 v6, v26, v9, v7
	s_delay_alu instid0(VALU_DEP_2) | instskip(NEXT) | instid1(VALU_DEP_2)
	v_xor3_b32 v9, v27, v16, v5
	v_mad_u64_u32 v[4:5], null, 0xd2511f53, v6, 0
	s_delay_alu instid0(VALU_DEP_2) | instskip(NEXT) | instid1(VALU_DEP_2)
	v_mad_u64_u32 v[6:7], null, 0xcd9e8d57, v9, 0
	v_xor3_b32 v5, v31, v5, v15
	s_delay_alu instid0(VALU_DEP_2) | instskip(NEXT) | instid1(VALU_DEP_2)
	;; [unrolled: 6-line block ×6, first 2 shown]
	v_xor3_b32 v4, v6, v7, v28
	v_mov_b32_e32 v6, v10
	v_cmpx_lt_i32_e32 1, v25
	s_xor_b32 s14, exec_lo, s14
	s_cbranch_execnz .LBB140_12
; %bb.10:                               ;   in Loop: Header=BB140_9 Depth=1
	s_and_not1_saveexec_b32 s14, s14
	s_cbranch_execnz .LBB140_17
.LBB140_11:                             ;   in Loop: Header=BB140_9 Depth=1
	s_or_b32 exec_lo, exec_lo, s14
	s_delay_alu instid0(SALU_CYCLE_1)
	s_mov_b32 s35, exec_lo
	v_cmpx_gt_i64_e64 s[16:17], v[13:14]
	s_cbranch_execnz .LBB140_20
	s_branch .LBB140_34
.LBB140_12:                             ;   in Loop: Header=BB140_9 Depth=1
	s_mov_b32 s15, exec_lo
	v_cmpx_lt_i32_e32 2, v25
	s_xor_b32 s15, exec_lo, s15
; %bb.13:                               ;   in Loop: Header=BB140_9 Depth=1
	v_dual_mov_b32 v7, v3 :: v_dual_mov_b32 v8, v4
	v_mov_b32_e32 v9, v5
	s_delay_alu instid0(VALU_DEP_2) | instskip(NEXT) | instid1(VALU_DEP_2)
	v_dual_mov_b32 v0, v7 :: v_dual_mov_b32 v1, v8
	v_dual_mov_b32 v2, v9 :: v_dual_mov_b32 v3, v10
; %bb.14:                               ;   in Loop: Header=BB140_9 Depth=1
	s_and_not1_saveexec_b32 s15, s15
; %bb.15:                               ;   in Loop: Header=BB140_9 Depth=1
	s_delay_alu instid0(VALU_DEP_1)
	v_dual_mov_b32 v0, v2 :: v_dual_mov_b32 v1, v3
	v_dual_mov_b32 v2, v4 :: v_dual_mov_b32 v3, v5
; %bb.16:                               ;   in Loop: Header=BB140_9 Depth=1
	s_or_b32 exec_lo, exec_lo, s15
	s_and_not1_saveexec_b32 s14, s14
	s_cbranch_execz .LBB140_11
.LBB140_17:                             ;   in Loop: Header=BB140_9 Depth=1
	s_mov_b32 s15, exec_lo
	v_cmpx_eq_u32_e32 1, v25
; %bb.18:                               ;   in Loop: Header=BB140_9 Depth=1
	v_dual_mov_b32 v0, v1 :: v_dual_mov_b32 v1, v2
	v_dual_mov_b32 v2, v3 :: v_dual_mov_b32 v3, v4
; %bb.19:                               ;   in Loop: Header=BB140_9 Depth=1
	s_or_b32 exec_lo, exec_lo, s15
	s_delay_alu instid0(SALU_CYCLE_1) | instskip(NEXT) | instid1(SALU_CYCLE_1)
	s_or_b32 exec_lo, exec_lo, s14
	s_mov_b32 s35, exec_lo
	v_cmpx_gt_i64_e64 s[16:17], v[13:14]
	s_cbranch_execz .LBB140_34
.LBB140_20:                             ;   in Loop: Header=BB140_9 Depth=1
	s_and_not1_b32 vcc_lo, exec_lo, s11
	s_cbranch_vccnz .LBB140_26
; %bb.21:                               ;   in Loop: Header=BB140_9 Depth=1
	v_mov_b32_e32 v7, 0
	s_and_not1_b32 vcc_lo, exec_lo, s27
	s_cbranch_vccnz .LBB140_30
; %bb.22:                               ;   in Loop: Header=BB140_9 Depth=1
	s_and_not1_b32 vcc_lo, exec_lo, s30
	s_mov_b32 s14, 0
	s_cbranch_vccnz .LBB140_27
; %bb.23:                               ;   in Loop: Header=BB140_9 Depth=1
	v_dual_mov_b32 v7, 0 :: v_dual_mov_b32 v8, v13
	s_mov_b32 s36, 0
	s_mov_b64 s[14:15], s[18:19]
	s_mov_b64 s[22:23], s[0:1]
.LBB140_24:                             ;   Parent Loop BB140_9 Depth=1
                                        ; =>  This Inner Loop Header: Depth=2
	s_clause 0x1
	s_load_b256 s[40:47], s[14:15], 0x4
	s_load_b128 s[48:51], s[14:15], 0x24
	s_load_b128 s[52:55], s[22:23], 0x0
	s_add_u32 s14, s14, 48
	s_addc_u32 s15, s15, 0
	s_add_i32 s36, s36, 4
	s_add_u32 s22, s22, 16
	s_addc_u32 s23, s23, 0
	s_cmp_lg_u32 s31, s36
	s_waitcnt lgkmcnt(0)
	v_mul_hi_u32 v9, s41, v8
	s_delay_alu instid0(VALU_DEP_1) | instskip(NEXT) | instid1(VALU_DEP_1)
	v_add_nc_u32_e32 v9, v8, v9
	v_lshrrev_b32_e32 v9, s42, v9
	s_delay_alu instid0(VALU_DEP_1) | instskip(SKIP_1) | instid1(VALU_DEP_2)
	v_mul_hi_u32 v10, s44, v9
	v_mul_lo_u32 v42, v9, s40
	v_add_nc_u32_e32 v10, v9, v10
	s_delay_alu instid0(VALU_DEP_2) | instskip(NEXT) | instid1(VALU_DEP_2)
	v_sub_nc_u32_e32 v42, v8, v42
	v_lshrrev_b32_e32 v10, s45, v10
	s_delay_alu instid0(VALU_DEP_2) | instskip(NEXT) | instid1(VALU_DEP_2)
	v_mul_lo_u32 v42, v42, s52
	v_mul_hi_u32 v16, s47, v10
	v_mul_lo_u32 v43, v10, s43
	s_delay_alu instid0(VALU_DEP_2) | instskip(NEXT) | instid1(VALU_DEP_2)
	v_add_nc_u32_e32 v16, v10, v16
	v_sub_nc_u32_e32 v9, v9, v43
	s_delay_alu instid0(VALU_DEP_2) | instskip(NEXT) | instid1(VALU_DEP_2)
	v_lshrrev_b32_e32 v16, s48, v16
	v_mul_lo_u32 v9, v9, s53
	s_delay_alu instid0(VALU_DEP_2) | instskip(NEXT) | instid1(VALU_DEP_2)
	v_mul_hi_u32 v41, s50, v16
	v_add3_u32 v7, v42, v7, v9
	s_delay_alu instid0(VALU_DEP_2) | instskip(NEXT) | instid1(VALU_DEP_1)
	v_add_nc_u32_e32 v41, v16, v41
	v_lshrrev_b32_e32 v8, s51, v41
	v_mul_lo_u32 v41, v16, s46
	s_delay_alu instid0(VALU_DEP_2) | instskip(NEXT) | instid1(VALU_DEP_2)
	v_mul_lo_u32 v44, v8, s49
	v_sub_nc_u32_e32 v10, v10, v41
	s_delay_alu instid0(VALU_DEP_2) | instskip(NEXT) | instid1(VALU_DEP_2)
	v_sub_nc_u32_e32 v16, v16, v44
	v_mul_lo_u32 v10, v10, s54
	s_delay_alu instid0(VALU_DEP_2) | instskip(NEXT) | instid1(VALU_DEP_1)
	v_mul_lo_u32 v16, v16, s55
	v_add3_u32 v7, v10, v7, v16
	s_cbranch_scc1 .LBB140_24
; %bb.25:                               ;   in Loop: Header=BB140_9 Depth=1
	s_mov_b32 s14, s31
	s_and_not1_b32 vcc_lo, exec_lo, s34
	s_cbranch_vccz .LBB140_28
	s_branch .LBB140_30
.LBB140_26:                             ;   in Loop: Header=BB140_9 Depth=1
                                        ; implicit-def: $vgpr7
	s_branch .LBB140_31
.LBB140_27:                             ;   in Loop: Header=BB140_9 Depth=1
	v_mov_b32_e32 v8, v13
	s_and_not1_b32 vcc_lo, exec_lo, s34
	s_cbranch_vccnz .LBB140_30
.LBB140_28:                             ;   in Loop: Header=BB140_9 Depth=1
	s_lshl_b32 s15, s14, 2
	s_mul_i32 s22, s14, 12
	s_add_u32 s14, s0, s15
	s_addc_u32 s15, s1, 0
	s_add_u32 s22, s18, s22
	s_addc_u32 s23, s19, 0
	s_mov_b32 s36, s29
	.p2align	6
.LBB140_29:                             ;   Parent Loop BB140_9 Depth=1
                                        ; =>  This Inner Loop Header: Depth=2
	s_clause 0x1
	s_load_b64 s[38:39], s[22:23], 0x4
	s_load_b32 s37, s[22:23], 0xc
	s_add_u32 s22, s22, 12
	s_addc_u32 s23, s23, 0
	s_waitcnt lgkmcnt(0)
	v_mul_hi_u32 v9, s39, v8
	s_load_b32 s39, s[14:15], 0x0
	s_add_u32 s14, s14, 4
	s_addc_u32 s15, s15, 0
	s_add_i32 s36, s36, -1
	s_delay_alu instid0(SALU_CYCLE_1) | instskip(NEXT) | instid1(VALU_DEP_1)
	s_cmp_lg_u32 s36, 0
	v_add_nc_u32_e32 v9, v8, v9
	s_delay_alu instid0(VALU_DEP_1) | instskip(NEXT) | instid1(VALU_DEP_1)
	v_lshrrev_b32_e32 v16, s37, v9
	v_mul_lo_u32 v9, v16, s38
	s_delay_alu instid0(VALU_DEP_1) | instskip(SKIP_1) | instid1(VALU_DEP_1)
	v_sub_nc_u32_e32 v8, v8, v9
	s_waitcnt lgkmcnt(0)
	v_mad_u64_u32 v[9:10], null, v8, s39, v[7:8]
	s_delay_alu instid0(VALU_DEP_1)
	v_dual_mov_b32 v8, v16 :: v_dual_mov_b32 v7, v9
	s_cbranch_scc1 .LBB140_29
.LBB140_30:                             ;   in Loop: Header=BB140_9 Depth=1
	s_cbranch_execnz .LBB140_33
.LBB140_31:                             ;   in Loop: Header=BB140_9 Depth=1
	v_mul_hi_u32 v7, v13, s6
	s_and_not1_b32 vcc_lo, exec_lo, s4
	s_delay_alu instid0(VALU_DEP_1) | instskip(NEXT) | instid1(VALU_DEP_1)
	v_add_nc_u32_e32 v7, v7, v13
	v_lshrrev_b32_e32 v8, s7, v7
	s_delay_alu instid0(VALU_DEP_1) | instskip(NEXT) | instid1(VALU_DEP_1)
	v_mul_lo_u32 v7, v8, s5
	v_sub_nc_u32_e32 v7, v13, v7
	s_delay_alu instid0(VALU_DEP_1)
	v_mul_lo_u32 v7, v7, s20
	s_cbranch_vccnz .LBB140_33
; %bb.32:                               ;   in Loop: Header=BB140_9 Depth=1
	v_mul_hi_u32 v9, s9, v8
	s_delay_alu instid0(VALU_DEP_1) | instskip(NEXT) | instid1(VALU_DEP_1)
	v_add_nc_u32_e32 v9, v8, v9
	v_lshrrev_b32_e32 v9, s10, v9
	s_delay_alu instid0(VALU_DEP_1) | instskip(NEXT) | instid1(VALU_DEP_1)
	v_mul_lo_u32 v9, v9, s8
	v_sub_nc_u32_e32 v10, v8, v9
	s_delay_alu instid0(VALU_DEP_1) | instskip(NEXT) | instid1(VALU_DEP_1)
	v_mad_u64_u32 v[8:9], null, v10, s21, v[7:8]
	v_mov_b32_e32 v7, v8
.LBB140_33:                             ;   in Loop: Header=BB140_9 Depth=1
	v_cvt_f32_u32_e32 v0, v0
	s_delay_alu instid0(VALU_DEP_1) | instskip(NEXT) | instid1(VALU_DEP_1)
	v_fmaak_f32 v0, 0x2f800000, v0, 0x2f800000
	v_cmp_lt_f32_e32 vcc_lo, v0, v38
	v_cndmask_b32_e64 v0, 0, 1, vcc_lo
	global_store_b16 v7, v0, s[12:13]
.LBB140_34:                             ;   in Loop: Header=BB140_9 Depth=1
	s_or_b32 exec_lo, exec_lo, s35
	v_add_co_u32 v7, vcc_lo, v13, s24
	v_add_co_ci_u32_e32 v8, vcc_lo, 0, v14, vcc_lo
	s_mov_b32 s35, exec_lo
	s_delay_alu instid0(VALU_DEP_1)
	v_cmpx_gt_i64_e64 s[16:17], v[7:8]
	s_cbranch_execz .LBB140_49
; %bb.35:                               ;   in Loop: Header=BB140_9 Depth=1
	s_and_not1_b32 vcc_lo, exec_lo, s11
	s_cbranch_vccnz .LBB140_41
; %bb.36:                               ;   in Loop: Header=BB140_9 Depth=1
	v_mov_b32_e32 v0, 0
	s_and_not1_b32 vcc_lo, exec_lo, s27
	s_cbranch_vccnz .LBB140_45
; %bb.37:                               ;   in Loop: Header=BB140_9 Depth=1
	s_and_not1_b32 vcc_lo, exec_lo, s30
	s_mov_b32 s14, 0
	s_cbranch_vccnz .LBB140_42
; %bb.38:                               ;   in Loop: Header=BB140_9 Depth=1
	v_mov_b32_e32 v0, 0
	v_mov_b32_e32 v8, v7
	s_mov_b32 s36, 0
	s_mov_b64 s[14:15], s[18:19]
	s_mov_b64 s[22:23], s[0:1]
.LBB140_39:                             ;   Parent Loop BB140_9 Depth=1
                                        ; =>  This Inner Loop Header: Depth=2
	s_clause 0x1
	s_load_b256 s[40:47], s[14:15], 0x4
	s_load_b128 s[48:51], s[14:15], 0x24
	s_load_b128 s[52:55], s[22:23], 0x0
	s_add_u32 s14, s14, 48
	s_addc_u32 s15, s15, 0
	s_add_i32 s36, s36, 4
	s_add_u32 s22, s22, 16
	s_addc_u32 s23, s23, 0
	s_cmp_eq_u32 s31, s36
	s_waitcnt lgkmcnt(0)
	v_mul_hi_u32 v9, s41, v8
	s_delay_alu instid0(VALU_DEP_1) | instskip(NEXT) | instid1(VALU_DEP_1)
	v_add_nc_u32_e32 v9, v8, v9
	v_lshrrev_b32_e32 v9, s42, v9
	s_delay_alu instid0(VALU_DEP_1) | instskip(SKIP_1) | instid1(VALU_DEP_2)
	v_mul_hi_u32 v10, s44, v9
	v_mul_lo_u32 v42, v9, s40
	v_add_nc_u32_e32 v10, v9, v10
	s_delay_alu instid0(VALU_DEP_2) | instskip(NEXT) | instid1(VALU_DEP_2)
	v_sub_nc_u32_e32 v42, v8, v42
	v_lshrrev_b32_e32 v10, s45, v10
	s_delay_alu instid0(VALU_DEP_2) | instskip(NEXT) | instid1(VALU_DEP_2)
	v_mul_lo_u32 v42, v42, s52
	v_mul_hi_u32 v16, s47, v10
	v_mul_lo_u32 v43, v10, s43
	s_delay_alu instid0(VALU_DEP_2) | instskip(NEXT) | instid1(VALU_DEP_2)
	v_add_nc_u32_e32 v16, v10, v16
	v_sub_nc_u32_e32 v9, v9, v43
	s_delay_alu instid0(VALU_DEP_2) | instskip(NEXT) | instid1(VALU_DEP_2)
	v_lshrrev_b32_e32 v16, s48, v16
	v_mul_lo_u32 v9, v9, s53
	s_delay_alu instid0(VALU_DEP_2) | instskip(NEXT) | instid1(VALU_DEP_2)
	v_mul_hi_u32 v41, s50, v16
	v_add3_u32 v0, v42, v0, v9
	s_delay_alu instid0(VALU_DEP_2) | instskip(NEXT) | instid1(VALU_DEP_1)
	v_add_nc_u32_e32 v41, v16, v41
	v_lshrrev_b32_e32 v8, s51, v41
	v_mul_lo_u32 v41, v16, s46
	s_delay_alu instid0(VALU_DEP_2) | instskip(NEXT) | instid1(VALU_DEP_2)
	v_mul_lo_u32 v44, v8, s49
	v_sub_nc_u32_e32 v10, v10, v41
	s_delay_alu instid0(VALU_DEP_2) | instskip(NEXT) | instid1(VALU_DEP_2)
	v_sub_nc_u32_e32 v16, v16, v44
	v_mul_lo_u32 v10, v10, s54
	s_delay_alu instid0(VALU_DEP_2) | instskip(NEXT) | instid1(VALU_DEP_1)
	v_mul_lo_u32 v16, v16, s55
	v_add3_u32 v0, v10, v0, v16
	s_cbranch_scc0 .LBB140_39
; %bb.40:                               ;   in Loop: Header=BB140_9 Depth=1
	s_mov_b32 s14, s31
	s_and_not1_b32 vcc_lo, exec_lo, s34
	s_cbranch_vccz .LBB140_43
	s_branch .LBB140_45
.LBB140_41:                             ;   in Loop: Header=BB140_9 Depth=1
                                        ; implicit-def: $vgpr0
	s_branch .LBB140_46
.LBB140_42:                             ;   in Loop: Header=BB140_9 Depth=1
	v_mov_b32_e32 v8, v7
	s_and_not1_b32 vcc_lo, exec_lo, s34
	s_cbranch_vccnz .LBB140_45
.LBB140_43:                             ;   in Loop: Header=BB140_9 Depth=1
	s_lshl_b32 s15, s14, 2
	s_mul_i32 s22, s14, 12
	s_add_u32 s14, s0, s15
	s_addc_u32 s15, s1, 0
	s_add_u32 s22, s18, s22
	s_addc_u32 s23, s19, 0
	s_mov_b32 s36, s29
	.p2align	6
.LBB140_44:                             ;   Parent Loop BB140_9 Depth=1
                                        ; =>  This Inner Loop Header: Depth=2
	s_clause 0x1
	s_load_b64 s[38:39], s[22:23], 0x4
	s_load_b32 s37, s[22:23], 0xc
	s_add_u32 s22, s22, 12
	s_addc_u32 s23, s23, 0
	s_waitcnt lgkmcnt(0)
	v_mul_hi_u32 v9, s39, v8
	s_load_b32 s39, s[14:15], 0x0
	s_add_u32 s14, s14, 4
	s_addc_u32 s15, s15, 0
	s_add_i32 s36, s36, -1
	s_delay_alu instid0(SALU_CYCLE_1) | instskip(NEXT) | instid1(VALU_DEP_1)
	s_cmp_lg_u32 s36, 0
	v_add_nc_u32_e32 v9, v8, v9
	s_delay_alu instid0(VALU_DEP_1) | instskip(NEXT) | instid1(VALU_DEP_1)
	v_lshrrev_b32_e32 v16, s37, v9
	v_mul_lo_u32 v9, v16, s38
	s_delay_alu instid0(VALU_DEP_1) | instskip(SKIP_1) | instid1(VALU_DEP_1)
	v_sub_nc_u32_e32 v8, v8, v9
	s_waitcnt lgkmcnt(0)
	v_mad_u64_u32 v[9:10], null, v8, s39, v[0:1]
	v_mov_b32_e32 v8, v16
	s_delay_alu instid0(VALU_DEP_2)
	v_mov_b32_e32 v0, v9
	s_cbranch_scc1 .LBB140_44
.LBB140_45:                             ;   in Loop: Header=BB140_9 Depth=1
	s_cbranch_execnz .LBB140_48
.LBB140_46:                             ;   in Loop: Header=BB140_9 Depth=1
	v_mul_hi_u32 v0, v7, s6
	s_and_not1_b32 vcc_lo, exec_lo, s4
	s_delay_alu instid0(VALU_DEP_1) | instskip(NEXT) | instid1(VALU_DEP_1)
	v_add_nc_u32_e32 v0, v0, v7
	v_lshrrev_b32_e32 v8, s7, v0
	s_delay_alu instid0(VALU_DEP_1) | instskip(NEXT) | instid1(VALU_DEP_1)
	v_mul_lo_u32 v0, v8, s5
	v_sub_nc_u32_e32 v0, v7, v0
	s_delay_alu instid0(VALU_DEP_1)
	v_mul_lo_u32 v0, v0, s20
	s_cbranch_vccnz .LBB140_48
; %bb.47:                               ;   in Loop: Header=BB140_9 Depth=1
	v_mul_hi_u32 v7, s9, v8
	s_delay_alu instid0(VALU_DEP_1) | instskip(NEXT) | instid1(VALU_DEP_1)
	v_add_nc_u32_e32 v7, v8, v7
	v_lshrrev_b32_e32 v7, s10, v7
	s_delay_alu instid0(VALU_DEP_1) | instskip(NEXT) | instid1(VALU_DEP_1)
	v_mul_lo_u32 v7, v7, s8
	v_sub_nc_u32_e32 v9, v8, v7
	s_delay_alu instid0(VALU_DEP_1) | instskip(NEXT) | instid1(VALU_DEP_1)
	v_mad_u64_u32 v[7:8], null, v9, s21, v[0:1]
	v_mov_b32_e32 v0, v7
.LBB140_48:                             ;   in Loop: Header=BB140_9 Depth=1
	v_cvt_f32_u32_e32 v1, v1
	s_delay_alu instid0(VALU_DEP_1) | instskip(NEXT) | instid1(VALU_DEP_1)
	v_fmaak_f32 v1, 0x2f800000, v1, 0x2f800000
	v_cmp_lt_f32_e32 vcc_lo, v1, v38
	v_cndmask_b32_e64 v1, 0, 1, vcc_lo
	global_store_b16 v0, v1, s[12:13]
.LBB140_49:                             ;   in Loop: Header=BB140_9 Depth=1
	s_or_b32 exec_lo, exec_lo, s35
	v_add_co_u32 v0, vcc_lo, v13, s28
	v_add_co_ci_u32_e32 v1, vcc_lo, 0, v14, vcc_lo
	s_mov_b32 s35, exec_lo
	s_delay_alu instid0(VALU_DEP_1)
	v_cmpx_gt_i64_e64 s[16:17], v[0:1]
	s_cbranch_execz .LBB140_64
; %bb.50:                               ;   in Loop: Header=BB140_9 Depth=1
	s_and_not1_b32 vcc_lo, exec_lo, s11
	s_cbranch_vccnz .LBB140_56
; %bb.51:                               ;   in Loop: Header=BB140_9 Depth=1
	v_mov_b32_e32 v1, 0
	s_and_not1_b32 vcc_lo, exec_lo, s27
	s_cbranch_vccnz .LBB140_60
; %bb.52:                               ;   in Loop: Header=BB140_9 Depth=1
	s_and_not1_b32 vcc_lo, exec_lo, s30
	s_mov_b32 s14, 0
	s_cbranch_vccnz .LBB140_57
; %bb.53:                               ;   in Loop: Header=BB140_9 Depth=1
	v_mov_b32_e32 v1, 0
	v_mov_b32_e32 v7, v0
	s_mov_b32 s36, 0
	s_mov_b64 s[14:15], s[18:19]
	s_mov_b64 s[22:23], s[0:1]
.LBB140_54:                             ;   Parent Loop BB140_9 Depth=1
                                        ; =>  This Inner Loop Header: Depth=2
	s_clause 0x1
	s_load_b256 s[40:47], s[14:15], 0x4
	s_load_b128 s[48:51], s[14:15], 0x24
	s_load_b128 s[52:55], s[22:23], 0x0
	s_add_u32 s14, s14, 48
	s_addc_u32 s15, s15, 0
	s_add_i32 s36, s36, 4
	s_add_u32 s22, s22, 16
	s_addc_u32 s23, s23, 0
	s_cmp_eq_u32 s31, s36
	s_waitcnt lgkmcnt(0)
	v_mul_hi_u32 v8, s41, v7
	s_delay_alu instid0(VALU_DEP_1) | instskip(NEXT) | instid1(VALU_DEP_1)
	v_add_nc_u32_e32 v8, v7, v8
	v_lshrrev_b32_e32 v8, s42, v8
	s_delay_alu instid0(VALU_DEP_1) | instskip(SKIP_1) | instid1(VALU_DEP_2)
	v_mul_hi_u32 v9, s44, v8
	v_mul_lo_u32 v41, v8, s40
	v_add_nc_u32_e32 v9, v8, v9
	s_delay_alu instid0(VALU_DEP_2) | instskip(NEXT) | instid1(VALU_DEP_2)
	v_sub_nc_u32_e32 v41, v7, v41
	v_lshrrev_b32_e32 v9, s45, v9
	s_delay_alu instid0(VALU_DEP_2) | instskip(NEXT) | instid1(VALU_DEP_2)
	v_mul_lo_u32 v41, v41, s52
	v_mul_hi_u32 v10, s47, v9
	v_mul_lo_u32 v42, v9, s43
	s_delay_alu instid0(VALU_DEP_2) | instskip(NEXT) | instid1(VALU_DEP_2)
	v_add_nc_u32_e32 v10, v9, v10
	v_sub_nc_u32_e32 v8, v8, v42
	s_delay_alu instid0(VALU_DEP_2) | instskip(NEXT) | instid1(VALU_DEP_2)
	v_lshrrev_b32_e32 v10, s48, v10
	v_mul_lo_u32 v8, v8, s53
	s_delay_alu instid0(VALU_DEP_2) | instskip(NEXT) | instid1(VALU_DEP_2)
	v_mul_hi_u32 v16, s50, v10
	v_add3_u32 v1, v41, v1, v8
	s_delay_alu instid0(VALU_DEP_2) | instskip(NEXT) | instid1(VALU_DEP_1)
	v_add_nc_u32_e32 v16, v10, v16
	v_lshrrev_b32_e32 v7, s51, v16
	v_mul_lo_u32 v16, v10, s46
	s_delay_alu instid0(VALU_DEP_2) | instskip(NEXT) | instid1(VALU_DEP_2)
	v_mul_lo_u32 v43, v7, s49
	v_sub_nc_u32_e32 v9, v9, v16
	s_delay_alu instid0(VALU_DEP_2) | instskip(NEXT) | instid1(VALU_DEP_2)
	v_sub_nc_u32_e32 v10, v10, v43
	v_mul_lo_u32 v9, v9, s54
	s_delay_alu instid0(VALU_DEP_2) | instskip(NEXT) | instid1(VALU_DEP_1)
	v_mul_lo_u32 v10, v10, s55
	v_add3_u32 v1, v9, v1, v10
	s_cbranch_scc0 .LBB140_54
; %bb.55:                               ;   in Loop: Header=BB140_9 Depth=1
	s_mov_b32 s14, s31
	s_and_not1_b32 vcc_lo, exec_lo, s34
	s_cbranch_vccz .LBB140_58
	s_branch .LBB140_60
.LBB140_56:                             ;   in Loop: Header=BB140_9 Depth=1
                                        ; implicit-def: $vgpr1
	s_branch .LBB140_61
.LBB140_57:                             ;   in Loop: Header=BB140_9 Depth=1
	v_mov_b32_e32 v7, v0
	s_and_not1_b32 vcc_lo, exec_lo, s34
	s_cbranch_vccnz .LBB140_60
.LBB140_58:                             ;   in Loop: Header=BB140_9 Depth=1
	s_lshl_b32 s15, s14, 2
	s_mul_i32 s22, s14, 12
	s_add_u32 s14, s0, s15
	s_addc_u32 s15, s1, 0
	s_add_u32 s22, s18, s22
	s_addc_u32 s23, s19, 0
	s_mov_b32 s36, s29
	.p2align	6
.LBB140_59:                             ;   Parent Loop BB140_9 Depth=1
                                        ; =>  This Inner Loop Header: Depth=2
	s_clause 0x1
	s_load_b64 s[38:39], s[22:23], 0x4
	s_load_b32 s37, s[22:23], 0xc
	s_add_u32 s22, s22, 12
	s_addc_u32 s23, s23, 0
	s_waitcnt lgkmcnt(0)
	v_mul_hi_u32 v8, s39, v7
	s_load_b32 s39, s[14:15], 0x0
	s_add_u32 s14, s14, 4
	s_addc_u32 s15, s15, 0
	s_add_i32 s36, s36, -1
	s_delay_alu instid0(SALU_CYCLE_1) | instskip(NEXT) | instid1(VALU_DEP_1)
	s_cmp_lg_u32 s36, 0
	v_add_nc_u32_e32 v8, v7, v8
	s_delay_alu instid0(VALU_DEP_1) | instskip(NEXT) | instid1(VALU_DEP_1)
	v_lshrrev_b32_e32 v10, s37, v8
	v_mul_lo_u32 v8, v10, s38
	s_delay_alu instid0(VALU_DEP_1) | instskip(SKIP_1) | instid1(VALU_DEP_1)
	v_sub_nc_u32_e32 v7, v7, v8
	s_waitcnt lgkmcnt(0)
	v_mad_u64_u32 v[8:9], null, v7, s39, v[1:2]
	v_mov_b32_e32 v7, v10
	s_delay_alu instid0(VALU_DEP_2)
	v_mov_b32_e32 v1, v8
	s_cbranch_scc1 .LBB140_59
.LBB140_60:                             ;   in Loop: Header=BB140_9 Depth=1
	s_cbranch_execnz .LBB140_63
.LBB140_61:                             ;   in Loop: Header=BB140_9 Depth=1
	v_mul_hi_u32 v1, v0, s6
	s_and_not1_b32 vcc_lo, exec_lo, s4
	s_delay_alu instid0(VALU_DEP_1) | instskip(NEXT) | instid1(VALU_DEP_1)
	v_add_nc_u32_e32 v1, v1, v0
	v_lshrrev_b32_e32 v7, s7, v1
	s_delay_alu instid0(VALU_DEP_1) | instskip(NEXT) | instid1(VALU_DEP_1)
	v_mul_lo_u32 v1, v7, s5
	v_sub_nc_u32_e32 v0, v0, v1
	s_delay_alu instid0(VALU_DEP_1)
	v_mul_lo_u32 v1, v0, s20
	s_cbranch_vccnz .LBB140_63
; %bb.62:                               ;   in Loop: Header=BB140_9 Depth=1
	v_mul_hi_u32 v0, s9, v7
	s_delay_alu instid0(VALU_DEP_1) | instskip(NEXT) | instid1(VALU_DEP_1)
	v_add_nc_u32_e32 v0, v7, v0
	v_lshrrev_b32_e32 v0, s10, v0
	s_delay_alu instid0(VALU_DEP_1) | instskip(NEXT) | instid1(VALU_DEP_1)
	v_mul_lo_u32 v0, v0, s8
	v_sub_nc_u32_e32 v0, v7, v0
	s_delay_alu instid0(VALU_DEP_1) | instskip(NEXT) | instid1(VALU_DEP_1)
	v_mad_u64_u32 v[7:8], null, v0, s21, v[1:2]
	v_mov_b32_e32 v1, v7
.LBB140_63:                             ;   in Loop: Header=BB140_9 Depth=1
	v_cvt_f32_u32_e32 v0, v2
	s_delay_alu instid0(VALU_DEP_1) | instskip(NEXT) | instid1(VALU_DEP_1)
	v_fmaak_f32 v0, 0x2f800000, v0, 0x2f800000
	v_cmp_lt_f32_e32 vcc_lo, v0, v38
	v_cndmask_b32_e64 v0, 0, 1, vcc_lo
	global_store_b16 v1, v0, s[12:13]
.LBB140_64:                             ;   in Loop: Header=BB140_9 Depth=1
	s_or_b32 exec_lo, exec_lo, s35
	v_add_co_u32 v0, vcc_lo, v13, s33
	v_add_co_ci_u32_e32 v1, vcc_lo, 0, v14, vcc_lo
	s_mov_b32 s35, exec_lo
	s_delay_alu instid0(VALU_DEP_1)
	v_cmpx_gt_i64_e64 s[16:17], v[0:1]
	s_cbranch_execz .LBB140_8
; %bb.65:                               ;   in Loop: Header=BB140_9 Depth=1
	s_and_not1_b32 vcc_lo, exec_lo, s11
	s_cbranch_vccnz .LBB140_71
; %bb.66:                               ;   in Loop: Header=BB140_9 Depth=1
	v_mov_b32_e32 v1, 0
	s_and_not1_b32 vcc_lo, exec_lo, s27
	s_cbranch_vccnz .LBB140_75
; %bb.67:                               ;   in Loop: Header=BB140_9 Depth=1
	s_and_not1_b32 vcc_lo, exec_lo, s30
	s_mov_b32 s14, 0
	s_cbranch_vccnz .LBB140_72
; %bb.68:                               ;   in Loop: Header=BB140_9 Depth=1
	v_dual_mov_b32 v1, 0 :: v_dual_mov_b32 v2, v0
	s_mov_b32 s36, 0
	s_mov_b64 s[14:15], s[18:19]
	s_mov_b64 s[22:23], s[0:1]
.LBB140_69:                             ;   Parent Loop BB140_9 Depth=1
                                        ; =>  This Inner Loop Header: Depth=2
	s_clause 0x1
	s_load_b256 s[40:47], s[14:15], 0x4
	s_load_b128 s[48:51], s[14:15], 0x24
	s_load_b128 s[52:55], s[22:23], 0x0
	s_add_u32 s14, s14, 48
	s_addc_u32 s15, s15, 0
	s_add_i32 s36, s36, 4
	s_add_u32 s22, s22, 16
	s_addc_u32 s23, s23, 0
	s_cmp_eq_u32 s31, s36
	s_waitcnt lgkmcnt(0)
	v_mul_hi_u32 v7, s41, v2
	s_delay_alu instid0(VALU_DEP_1) | instskip(NEXT) | instid1(VALU_DEP_1)
	v_add_nc_u32_e32 v7, v2, v7
	v_lshrrev_b32_e32 v7, s42, v7
	s_delay_alu instid0(VALU_DEP_1) | instskip(SKIP_1) | instid1(VALU_DEP_2)
	v_mul_hi_u32 v8, s44, v7
	v_mul_lo_u32 v16, v7, s40
	v_add_nc_u32_e32 v8, v7, v8
	s_delay_alu instid0(VALU_DEP_2) | instskip(NEXT) | instid1(VALU_DEP_2)
	v_sub_nc_u32_e32 v16, v2, v16
	v_lshrrev_b32_e32 v8, s45, v8
	s_delay_alu instid0(VALU_DEP_2) | instskip(NEXT) | instid1(VALU_DEP_2)
	v_mul_lo_u32 v16, v16, s52
	v_mul_hi_u32 v9, s47, v8
	v_mul_lo_u32 v41, v8, s43
	s_delay_alu instid0(VALU_DEP_2) | instskip(NEXT) | instid1(VALU_DEP_2)
	v_add_nc_u32_e32 v9, v8, v9
	v_sub_nc_u32_e32 v7, v7, v41
	s_delay_alu instid0(VALU_DEP_2) | instskip(NEXT) | instid1(VALU_DEP_2)
	v_lshrrev_b32_e32 v9, s48, v9
	v_mul_lo_u32 v7, v7, s53
	s_delay_alu instid0(VALU_DEP_2) | instskip(NEXT) | instid1(VALU_DEP_2)
	v_mul_hi_u32 v10, s50, v9
	v_add3_u32 v1, v16, v1, v7
	s_delay_alu instid0(VALU_DEP_2) | instskip(NEXT) | instid1(VALU_DEP_1)
	v_add_nc_u32_e32 v10, v9, v10
	v_lshrrev_b32_e32 v2, s51, v10
	v_mul_lo_u32 v10, v9, s46
	s_delay_alu instid0(VALU_DEP_2) | instskip(NEXT) | instid1(VALU_DEP_2)
	v_mul_lo_u32 v42, v2, s49
	v_sub_nc_u32_e32 v8, v8, v10
	s_delay_alu instid0(VALU_DEP_2) | instskip(NEXT) | instid1(VALU_DEP_2)
	v_sub_nc_u32_e32 v9, v9, v42
	v_mul_lo_u32 v8, v8, s54
	s_delay_alu instid0(VALU_DEP_2) | instskip(NEXT) | instid1(VALU_DEP_1)
	v_mul_lo_u32 v9, v9, s55
	v_add3_u32 v1, v8, v1, v9
	s_cbranch_scc0 .LBB140_69
; %bb.70:                               ;   in Loop: Header=BB140_9 Depth=1
	s_mov_b32 s14, s31
	s_and_not1_b32 vcc_lo, exec_lo, s34
	s_cbranch_vccz .LBB140_73
	s_branch .LBB140_75
.LBB140_71:                             ;   in Loop: Header=BB140_9 Depth=1
                                        ; implicit-def: $vgpr1
	s_branch .LBB140_76
.LBB140_72:                             ;   in Loop: Header=BB140_9 Depth=1
	v_mov_b32_e32 v2, v0
	s_and_not1_b32 vcc_lo, exec_lo, s34
	s_cbranch_vccnz .LBB140_75
.LBB140_73:                             ;   in Loop: Header=BB140_9 Depth=1
	s_lshl_b32 s15, s14, 2
	s_mul_i32 s22, s14, 12
	s_add_u32 s14, s0, s15
	s_addc_u32 s15, s1, 0
	s_add_u32 s22, s18, s22
	s_addc_u32 s23, s19, 0
	s_mov_b32 s36, s29
	.p2align	6
.LBB140_74:                             ;   Parent Loop BB140_9 Depth=1
                                        ; =>  This Inner Loop Header: Depth=2
	s_clause 0x1
	s_load_b64 s[38:39], s[22:23], 0x4
	s_load_b32 s37, s[22:23], 0xc
	s_add_u32 s22, s22, 12
	s_addc_u32 s23, s23, 0
	s_waitcnt lgkmcnt(0)
	v_mul_hi_u32 v7, s39, v2
	s_load_b32 s39, s[14:15], 0x0
	s_add_u32 s14, s14, 4
	s_addc_u32 s15, s15, 0
	s_add_i32 s36, s36, -1
	s_delay_alu instid0(SALU_CYCLE_1) | instskip(NEXT) | instid1(VALU_DEP_1)
	s_cmp_lg_u32 s36, 0
	v_add_nc_u32_e32 v7, v2, v7
	s_delay_alu instid0(VALU_DEP_1) | instskip(NEXT) | instid1(VALU_DEP_1)
	v_lshrrev_b32_e32 v9, s37, v7
	v_mul_lo_u32 v7, v9, s38
	s_delay_alu instid0(VALU_DEP_1) | instskip(SKIP_1) | instid1(VALU_DEP_1)
	v_sub_nc_u32_e32 v2, v2, v7
	s_waitcnt lgkmcnt(0)
	v_mad_u64_u32 v[7:8], null, v2, s39, v[1:2]
	s_delay_alu instid0(VALU_DEP_1)
	v_dual_mov_b32 v2, v9 :: v_dual_mov_b32 v1, v7
	s_cbranch_scc1 .LBB140_74
.LBB140_75:                             ;   in Loop: Header=BB140_9 Depth=1
	s_cbranch_execnz .LBB140_7
.LBB140_76:                             ;   in Loop: Header=BB140_9 Depth=1
	v_mul_hi_u32 v1, v0, s6
	s_and_not1_b32 vcc_lo, exec_lo, s4
	s_delay_alu instid0(VALU_DEP_1) | instskip(NEXT) | instid1(VALU_DEP_1)
	v_add_nc_u32_e32 v1, v1, v0
	v_lshrrev_b32_e32 v2, s7, v1
	s_delay_alu instid0(VALU_DEP_1) | instskip(NEXT) | instid1(VALU_DEP_1)
	v_mul_lo_u32 v1, v2, s5
	v_sub_nc_u32_e32 v0, v0, v1
	s_delay_alu instid0(VALU_DEP_1)
	v_mul_lo_u32 v1, v0, s20
	s_cbranch_vccnz .LBB140_7
; %bb.77:                               ;   in Loop: Header=BB140_9 Depth=1
	v_mul_hi_u32 v0, s9, v2
	s_delay_alu instid0(VALU_DEP_1) | instskip(NEXT) | instid1(VALU_DEP_1)
	v_add_nc_u32_e32 v0, v2, v0
	v_lshrrev_b32_e32 v0, s10, v0
	s_delay_alu instid0(VALU_DEP_1) | instskip(NEXT) | instid1(VALU_DEP_1)
	v_mul_lo_u32 v0, v0, s8
	v_sub_nc_u32_e32 v0, v2, v0
	s_delay_alu instid0(VALU_DEP_1) | instskip(NEXT) | instid1(VALU_DEP_1)
	v_mad_u64_u32 v[7:8], null, v0, s21, v[1:2]
	v_mov_b32_e32 v1, v7
	s_branch .LBB140_7
.LBB140_78:
	s_endpgm
.LBB140_79:
                                        ; implicit-def: $sgpr2_sgpr3
	s_branch .LBB140_4
	.section	.rodata,"a",@progbits
	.p2align	6, 0x0
	.amdhsa_kernel _ZN2at6native12_GLOBAL__N_143distribution_elementwise_grid_stride_kernelIfLi4EZNS0_9templates4cuda21uniform_and_transformIsfPNS_17CUDAGeneratorImplEZZZNS4_16bernoulli_kernelIS7_EEvRNS_18TensorIteratorBaseEdT_ENKUlvE_clEvENKUlvE3_clEvEUlfE_EEvSA_T1_T2_EUlP25hiprandStatePhilox4_32_10E0_ZNS1_27distribution_nullary_kernelIsf15HIP_vector_typeIfLj4EES7_SJ_SE_EEvSA_SG_RKT3_T4_EUlifE0_EEvlNS_15PhiloxCudaStateESF_SG_
		.amdhsa_group_segment_fixed_size 0
		.amdhsa_private_segment_fixed_size 0
		.amdhsa_kernarg_size 584
		.amdhsa_user_sgpr_count 15
		.amdhsa_user_sgpr_dispatch_ptr 0
		.amdhsa_user_sgpr_queue_ptr 0
		.amdhsa_user_sgpr_kernarg_segment_ptr 1
		.amdhsa_user_sgpr_dispatch_id 0
		.amdhsa_user_sgpr_private_segment_size 0
		.amdhsa_wavefront_size32 1
		.amdhsa_uses_dynamic_stack 0
		.amdhsa_enable_private_segment 0
		.amdhsa_system_sgpr_workgroup_id_x 1
		.amdhsa_system_sgpr_workgroup_id_y 0
		.amdhsa_system_sgpr_workgroup_id_z 0
		.amdhsa_system_sgpr_workgroup_info 0
		.amdhsa_system_vgpr_workitem_id 0
		.amdhsa_next_free_vgpr 45
		.amdhsa_next_free_sgpr 56
		.amdhsa_reserve_vcc 1
		.amdhsa_float_round_mode_32 0
		.amdhsa_float_round_mode_16_64 0
		.amdhsa_float_denorm_mode_32 3
		.amdhsa_float_denorm_mode_16_64 3
		.amdhsa_dx10_clamp 1
		.amdhsa_ieee_mode 1
		.amdhsa_fp16_overflow 0
		.amdhsa_workgroup_processor_mode 1
		.amdhsa_memory_ordered 1
		.amdhsa_forward_progress 0
		.amdhsa_shared_vgpr_count 0
		.amdhsa_exception_fp_ieee_invalid_op 0
		.amdhsa_exception_fp_denorm_src 0
		.amdhsa_exception_fp_ieee_div_zero 0
		.amdhsa_exception_fp_ieee_overflow 0
		.amdhsa_exception_fp_ieee_underflow 0
		.amdhsa_exception_fp_ieee_inexact 0
		.amdhsa_exception_int_div_zero 0
	.end_amdhsa_kernel
	.section	.text._ZN2at6native12_GLOBAL__N_143distribution_elementwise_grid_stride_kernelIfLi4EZNS0_9templates4cuda21uniform_and_transformIsfPNS_17CUDAGeneratorImplEZZZNS4_16bernoulli_kernelIS7_EEvRNS_18TensorIteratorBaseEdT_ENKUlvE_clEvENKUlvE3_clEvEUlfE_EEvSA_T1_T2_EUlP25hiprandStatePhilox4_32_10E0_ZNS1_27distribution_nullary_kernelIsf15HIP_vector_typeIfLj4EES7_SJ_SE_EEvSA_SG_RKT3_T4_EUlifE0_EEvlNS_15PhiloxCudaStateESF_SG_,"axG",@progbits,_ZN2at6native12_GLOBAL__N_143distribution_elementwise_grid_stride_kernelIfLi4EZNS0_9templates4cuda21uniform_and_transformIsfPNS_17CUDAGeneratorImplEZZZNS4_16bernoulli_kernelIS7_EEvRNS_18TensorIteratorBaseEdT_ENKUlvE_clEvENKUlvE3_clEvEUlfE_EEvSA_T1_T2_EUlP25hiprandStatePhilox4_32_10E0_ZNS1_27distribution_nullary_kernelIsf15HIP_vector_typeIfLj4EES7_SJ_SE_EEvSA_SG_RKT3_T4_EUlifE0_EEvlNS_15PhiloxCudaStateESF_SG_,comdat
.Lfunc_end140:
	.size	_ZN2at6native12_GLOBAL__N_143distribution_elementwise_grid_stride_kernelIfLi4EZNS0_9templates4cuda21uniform_and_transformIsfPNS_17CUDAGeneratorImplEZZZNS4_16bernoulli_kernelIS7_EEvRNS_18TensorIteratorBaseEdT_ENKUlvE_clEvENKUlvE3_clEvEUlfE_EEvSA_T1_T2_EUlP25hiprandStatePhilox4_32_10E0_ZNS1_27distribution_nullary_kernelIsf15HIP_vector_typeIfLj4EES7_SJ_SE_EEvSA_SG_RKT3_T4_EUlifE0_EEvlNS_15PhiloxCudaStateESF_SG_, .Lfunc_end140-_ZN2at6native12_GLOBAL__N_143distribution_elementwise_grid_stride_kernelIfLi4EZNS0_9templates4cuda21uniform_and_transformIsfPNS_17CUDAGeneratorImplEZZZNS4_16bernoulli_kernelIS7_EEvRNS_18TensorIteratorBaseEdT_ENKUlvE_clEvENKUlvE3_clEvEUlfE_EEvSA_T1_T2_EUlP25hiprandStatePhilox4_32_10E0_ZNS1_27distribution_nullary_kernelIsf15HIP_vector_typeIfLj4EES7_SJ_SE_EEvSA_SG_RKT3_T4_EUlifE0_EEvlNS_15PhiloxCudaStateESF_SG_
                                        ; -- End function
	.section	.AMDGPU.csdata,"",@progbits
; Kernel info:
; codeLenInByte = 5256
; NumSgprs: 58
; NumVgprs: 45
; ScratchSize: 0
; MemoryBound: 0
; FloatMode: 240
; IeeeMode: 1
; LDSByteSize: 0 bytes/workgroup (compile time only)
; SGPRBlocks: 7
; VGPRBlocks: 5
; NumSGPRsForWavesPerEU: 58
; NumVGPRsForWavesPerEU: 45
; Occupancy: 16
; WaveLimiterHint : 1
; COMPUTE_PGM_RSRC2:SCRATCH_EN: 0
; COMPUTE_PGM_RSRC2:USER_SGPR: 15
; COMPUTE_PGM_RSRC2:TRAP_HANDLER: 0
; COMPUTE_PGM_RSRC2:TGID_X_EN: 1
; COMPUTE_PGM_RSRC2:TGID_Y_EN: 0
; COMPUTE_PGM_RSRC2:TGID_Z_EN: 0
; COMPUTE_PGM_RSRC2:TIDIG_COMP_CNT: 0
	.section	.text._ZN2at6native12_GLOBAL__N_143distribution_elementwise_grid_stride_kernelIdLi2EZNS0_9templates4cuda21uniform_and_transformIddPNS_17CUDAGeneratorImplEZZZNS4_16bernoulli_kernelIS7_EEvRNS_18TensorIteratorBaseEdT_ENKUlvE_clEvENKUlvE4_clEvEUldE_EEvSA_T1_T2_EUlP25hiprandStatePhilox4_32_10E_ZNS1_27distribution_nullary_kernelIdd15HIP_vector_typeIdLj2EES7_SJ_SE_EEvSA_SG_RKT3_T4_EUlidE_EEvlNS_15PhiloxCudaStateESF_SG_,"axG",@progbits,_ZN2at6native12_GLOBAL__N_143distribution_elementwise_grid_stride_kernelIdLi2EZNS0_9templates4cuda21uniform_and_transformIddPNS_17CUDAGeneratorImplEZZZNS4_16bernoulli_kernelIS7_EEvRNS_18TensorIteratorBaseEdT_ENKUlvE_clEvENKUlvE4_clEvEUldE_EEvSA_T1_T2_EUlP25hiprandStatePhilox4_32_10E_ZNS1_27distribution_nullary_kernelIdd15HIP_vector_typeIdLj2EES7_SJ_SE_EEvSA_SG_RKT3_T4_EUlidE_EEvlNS_15PhiloxCudaStateESF_SG_,comdat
	.globl	_ZN2at6native12_GLOBAL__N_143distribution_elementwise_grid_stride_kernelIdLi2EZNS0_9templates4cuda21uniform_and_transformIddPNS_17CUDAGeneratorImplEZZZNS4_16bernoulli_kernelIS7_EEvRNS_18TensorIteratorBaseEdT_ENKUlvE_clEvENKUlvE4_clEvEUldE_EEvSA_T1_T2_EUlP25hiprandStatePhilox4_32_10E_ZNS1_27distribution_nullary_kernelIdd15HIP_vector_typeIdLj2EES7_SJ_SE_EEvSA_SG_RKT3_T4_EUlidE_EEvlNS_15PhiloxCudaStateESF_SG_ ; -- Begin function _ZN2at6native12_GLOBAL__N_143distribution_elementwise_grid_stride_kernelIdLi2EZNS0_9templates4cuda21uniform_and_transformIddPNS_17CUDAGeneratorImplEZZZNS4_16bernoulli_kernelIS7_EEvRNS_18TensorIteratorBaseEdT_ENKUlvE_clEvENKUlvE4_clEvEUldE_EEvSA_T1_T2_EUlP25hiprandStatePhilox4_32_10E_ZNS1_27distribution_nullary_kernelIdd15HIP_vector_typeIdLj2EES7_SJ_SE_EEvSA_SG_RKT3_T4_EUlidE_EEvlNS_15PhiloxCudaStateESF_SG_
	.p2align	8
	.type	_ZN2at6native12_GLOBAL__N_143distribution_elementwise_grid_stride_kernelIdLi2EZNS0_9templates4cuda21uniform_and_transformIddPNS_17CUDAGeneratorImplEZZZNS4_16bernoulli_kernelIS7_EEvRNS_18TensorIteratorBaseEdT_ENKUlvE_clEvENKUlvE4_clEvEUldE_EEvSA_T1_T2_EUlP25hiprandStatePhilox4_32_10E_ZNS1_27distribution_nullary_kernelIdd15HIP_vector_typeIdLj2EES7_SJ_SE_EEvSA_SG_RKT3_T4_EUlidE_EEvlNS_15PhiloxCudaStateESF_SG_,@function
_ZN2at6native12_GLOBAL__N_143distribution_elementwise_grid_stride_kernelIdLi2EZNS0_9templates4cuda21uniform_and_transformIddPNS_17CUDAGeneratorImplEZZZNS4_16bernoulli_kernelIS7_EEvRNS_18TensorIteratorBaseEdT_ENKUlvE_clEvENKUlvE4_clEvEUldE_EEvSA_T1_T2_EUlP25hiprandStatePhilox4_32_10E_ZNS1_27distribution_nullary_kernelIdd15HIP_vector_typeIdLj2EES7_SJ_SE_EEvSA_SG_RKT3_T4_EUlidE_EEvlNS_15PhiloxCudaStateESF_SG_: ; @_ZN2at6native12_GLOBAL__N_143distribution_elementwise_grid_stride_kernelIdLi2EZNS0_9templates4cuda21uniform_and_transformIddPNS_17CUDAGeneratorImplEZZZNS4_16bernoulli_kernelIS7_EEvRNS_18TensorIteratorBaseEdT_ENKUlvE_clEvENKUlvE4_clEvEUldE_EEvSA_T1_T2_EUlP25hiprandStatePhilox4_32_10E_ZNS1_27distribution_nullary_kernelIdd15HIP_vector_typeIdLj2EES7_SJ_SE_EEvSA_SG_RKT3_T4_EUlidE_EEvlNS_15PhiloxCudaStateESF_SG_
; %bb.0:
	s_clause 0x2
	s_load_b64 s[8:9], s[0:1], 0x10
	s_load_b128 s[4:7], s[0:1], 0x0
	s_load_b32 s2, s[0:1], 0x20
	s_waitcnt lgkmcnt(0)
	v_dual_mov_b32 v2, s8 :: v_dual_mov_b32 v3, s9
	v_dual_mov_b32 v12, s7 :: v_dual_mov_b32 v11, s6
	s_bitcmp0_b32 s2, 0
	s_mov_b32 s2, 0
	s_cbranch_scc1 .LBB141_2
; %bb.1:
	v_dual_mov_b32 v1, s8 :: v_dual_mov_b32 v2, s9
	v_dual_mov_b32 v4, s6 :: v_dual_mov_b32 v5, s7
	s_load_b64 s[6:7], s[0:1], 0x18
	flat_load_b64 v[2:3], v[1:2]
	flat_load_b64 v[11:12], v[4:5]
	s_waitcnt vmcnt(1) lgkmcnt(0)
	v_add_co_u32 v2, vcc_lo, v2, s6
	v_add_co_ci_u32_e32 v3, vcc_lo, s7, v3, vcc_lo
.LBB141_2:
	s_clause 0x1
	s_load_b32 s3, s[0:1], 0x54
	s_load_b32 s11, s[0:1], 0x48
	s_waitcnt lgkmcnt(0)
	s_and_b32 s10, s3, 0xffff
	s_add_u32 s6, s4, -1
	s_mul_i32 s8, s11, s10
	s_addc_u32 s3, s5, -1
	s_lshl_b32 s9, s8, 1
	s_cmp_lg_u64 s[2:3], 0
	s_cbranch_scc0 .LBB141_23
; %bb.3:
	v_cvt_f32_ubyte0_e32 v1, 0
	v_cvt_f32_u32_e32 v4, s9
	s_sub_u32 s12, 0, s9
	s_subb_u32 s13, 0, 0
	s_delay_alu instid0(VALU_DEP_1) | instskip(NEXT) | instid1(VALU_DEP_1)
	v_fmamk_f32 v1, v1, 0x4f800000, v4
	v_rcp_f32_e32 v1, v1
	s_waitcnt_depctr 0xfff
	v_mul_f32_e32 v1, 0x5f7ffffc, v1
	s_delay_alu instid0(VALU_DEP_1) | instskip(NEXT) | instid1(VALU_DEP_1)
	v_mul_f32_e32 v4, 0x2f800000, v1
	v_trunc_f32_e32 v4, v4
	s_delay_alu instid0(VALU_DEP_1) | instskip(SKIP_1) | instid1(VALU_DEP_2)
	v_fmamk_f32 v1, v4, 0xcf800000, v1
	v_cvt_u32_f32_e32 v4, v4
	v_cvt_u32_f32_e32 v1, v1
	s_delay_alu instid0(VALU_DEP_2) | instskip(NEXT) | instid1(VALU_DEP_2)
	v_readfirstlane_b32 s2, v4
	v_readfirstlane_b32 s7, v1
	s_delay_alu instid0(VALU_DEP_2) | instskip(NEXT) | instid1(VALU_DEP_1)
	s_mul_i32 s14, s12, s2
	s_mul_hi_u32 s17, s12, s7
	s_mul_i32 s16, s13, s7
	s_add_i32 s14, s17, s14
	s_mul_i32 s18, s12, s7
	s_add_i32 s14, s14, s16
	s_mul_hi_u32 s17, s7, s18
	s_mul_hi_u32 s19, s2, s18
	s_mul_i32 s16, s2, s18
	s_mul_hi_u32 s18, s7, s14
	s_mul_i32 s7, s7, s14
	s_mul_hi_u32 s20, s2, s14
	s_add_u32 s7, s17, s7
	s_addc_u32 s17, 0, s18
	s_add_u32 s7, s7, s16
	s_mul_i32 s14, s2, s14
	s_addc_u32 s7, s17, s19
	s_addc_u32 s16, s20, 0
	s_add_u32 s7, s7, s14
	s_addc_u32 s14, 0, s16
	v_add_co_u32 v1, s7, v1, s7
	s_delay_alu instid0(VALU_DEP_1) | instskip(SKIP_1) | instid1(VALU_DEP_1)
	s_cmp_lg_u32 s7, 0
	s_addc_u32 s2, s2, s14
	v_readfirstlane_b32 s7, v1
	s_mul_i32 s14, s12, s2
	s_delay_alu instid0(VALU_DEP_1)
	s_mul_hi_u32 s16, s12, s7
	s_mul_i32 s13, s13, s7
	s_add_i32 s14, s16, s14
	s_mul_i32 s12, s12, s7
	s_add_i32 s14, s14, s13
	s_mul_hi_u32 s16, s2, s12
	s_mul_i32 s17, s2, s12
	s_mul_hi_u32 s12, s7, s12
	s_mul_hi_u32 s18, s7, s14
	s_mul_i32 s7, s7, s14
	s_mul_hi_u32 s13, s2, s14
	s_add_u32 s7, s12, s7
	s_addc_u32 s12, 0, s18
	s_add_u32 s7, s7, s17
	s_mul_i32 s14, s2, s14
	s_addc_u32 s7, s12, s16
	s_addc_u32 s12, s13, 0
	s_add_u32 s7, s7, s14
	s_addc_u32 s12, 0, s12
	v_add_co_u32 v1, s7, v1, s7
	s_delay_alu instid0(VALU_DEP_1) | instskip(SKIP_2) | instid1(VALU_DEP_1)
	s_cmp_lg_u32 s7, 0
	s_addc_u32 s7, s2, s12
	s_ashr_i32 s12, s3, 31
	v_readfirstlane_b32 s14, v1
	s_add_u32 s2, s6, s12
	s_mov_b32 s13, s12
	s_addc_u32 s3, s3, s12
	s_delay_alu instid0(SALU_CYCLE_1) | instskip(NEXT) | instid1(SALU_CYCLE_1)
	s_xor_b64 s[2:3], s[2:3], s[12:13]
	s_mul_i32 s17, s2, s7
	s_mul_hi_u32 s18, s2, s14
	s_mul_hi_u32 s16, s2, s7
	;; [unrolled: 1-line block ×3, first 2 shown]
	s_mul_i32 s14, s3, s14
	s_add_u32 s17, s18, s17
	s_addc_u32 s16, 0, s16
	s_mul_hi_u32 s19, s3, s7
	s_add_u32 s14, s17, s14
	s_mul_i32 s7, s3, s7
	s_addc_u32 s14, s16, s20
	s_addc_u32 s16, s19, 0
	s_add_u32 s7, s14, s7
	s_addc_u32 s14, 0, s16
	s_mul_i32 s17, s9, s7
	s_add_u32 s16, s7, 1
	v_sub_co_u32 v1, s2, s2, s17
	s_mul_hi_u32 s17, s9, s7
	s_addc_u32 s18, s14, 0
	s_mul_i32 s19, s9, s14
	s_delay_alu instid0(VALU_DEP_1)
	v_sub_co_u32 v4, s20, v1, s9
	s_add_u32 s21, s7, 2
	s_addc_u32 s22, s14, 0
	s_add_i32 s17, s17, s19
	s_cmp_lg_u32 s2, 0
	v_readfirstlane_b32 s2, v4
	s_subb_u32 s3, s3, s17
	s_cmp_lg_u32 s20, 0
	s_subb_u32 s17, s3, 0
	s_delay_alu instid0(VALU_DEP_1) | instskip(SKIP_4) | instid1(SALU_CYCLE_1)
	s_cmp_ge_u32 s2, s9
	s_cselect_b32 s2, -1, 0
	s_cmp_eq_u32 s17, 0
	v_readfirstlane_b32 s17, v1
	s_cselect_b32 s2, s2, -1
	s_cmp_lg_u32 s2, 0
	s_cselect_b32 s2, s21, s16
	s_cselect_b32 s16, s22, s18
	s_cmp_ge_u32 s17, s9
	s_cselect_b32 s17, -1, 0
	s_cmp_eq_u32 s3, 0
	s_cselect_b32 s3, s17, -1
	s_delay_alu instid0(SALU_CYCLE_1) | instskip(SKIP_2) | instid1(SALU_CYCLE_1)
	s_cmp_lg_u32 s3, 0
	s_cselect_b32 s3, s16, s14
	s_cselect_b32 s2, s2, s7
	s_xor_b64 s[2:3], s[2:3], s[12:13]
	s_delay_alu instid0(SALU_CYCLE_1)
	s_sub_u32 s2, s2, s12
	s_subb_u32 s3, s3, s12
	s_cbranch_execnz .LBB141_5
.LBB141_4:
	v_cvt_f32_u32_e32 v1, s9
	s_sub_i32 s3, 0, s9
	s_delay_alu instid0(VALU_DEP_1) | instskip(SKIP_2) | instid1(VALU_DEP_1)
	v_rcp_iflag_f32_e32 v1, v1
	s_waitcnt_depctr 0xfff
	v_mul_f32_e32 v1, 0x4f7ffffe, v1
	v_cvt_u32_f32_e32 v1, v1
	s_delay_alu instid0(VALU_DEP_1) | instskip(NEXT) | instid1(VALU_DEP_1)
	v_readfirstlane_b32 s2, v1
	s_mul_i32 s3, s3, s2
	s_delay_alu instid0(SALU_CYCLE_1) | instskip(NEXT) | instid1(SALU_CYCLE_1)
	s_mul_hi_u32 s3, s2, s3
	s_add_i32 s2, s2, s3
	s_delay_alu instid0(SALU_CYCLE_1) | instskip(NEXT) | instid1(SALU_CYCLE_1)
	s_mul_hi_u32 s2, s6, s2
	s_mul_i32 s3, s2, s9
	s_delay_alu instid0(SALU_CYCLE_1)
	s_sub_i32 s3, s6, s3
	s_add_i32 s6, s2, 1
	s_sub_i32 s7, s3, s9
	s_cmp_ge_u32 s3, s9
	s_cselect_b32 s2, s6, s2
	s_cselect_b32 s3, s7, s3
	s_add_i32 s6, s2, 1
	s_cmp_ge_u32 s3, s9
	s_mov_b32 s3, 0
	s_cselect_b32 s2, s6, s2
.LBB141_5:
	v_mov_b32_e32 v13, 0
	s_add_u32 s2, s2, 1
	s_addc_u32 s3, s3, 0
	s_mul_hi_u32 s6, s11, s10
	s_mul_hi_u32 s7, s8, s2
	v_mov_b32_e32 v1, v13
	s_mul_i32 s3, s8, s3
	s_mul_i32 s6, s6, s2
	s_add_i32 s3, s7, s3
	s_mul_i32 s2, s8, s2
	v_mad_u64_u32 v[15:16], null, s10, s15, v[0:1]
	s_add_i32 s3, s3, s6
	s_mov_b32 s6, exec_lo
	s_lshl_b64 s[2:3], s[2:3], 1
	s_delay_alu instid0(VALU_DEP_1) | instid1(SALU_CYCLE_1)
	v_cmpx_gt_i64_e64 s[2:3], v[15:16]
	s_cbranch_execz .LBB141_22
; %bb.6:
	v_alignbit_b32 v19, v3, v2, 2
	v_mad_u64_u32 v[6:7], null, 0xcd9e8d57, v15, 0
	v_lshrrev_b32_e32 v20, 2, v3
	s_waitcnt vmcnt(0)
	v_dual_mov_b32 v14, v12 :: v_dual_and_b32 v35, 3, v2
	v_mad_u64_u32 v[4:5], null, 0xd2511f53, v19, 0
	v_add_co_u32 v22, null, 0x9e3779b9, v11
	v_xor3_b32 v3, v11, v7, v20
	s_delay_alu instid0(VALU_DEP_4) | instskip(SKIP_2) | instid1(VALU_DEP_4)
	v_add_co_u32 v21, null, 0xbb67ae85, v14
	v_add_co_u32 v23, null, 0x3c6ef372, v11
	v_xor_b32_e32 v1, v5, v12
	v_mad_u64_u32 v[7:8], null, 0xd2511f53, v3, 0
	v_add_co_u32 v24, null, 0x76cf5d0a, v14
	s_delay_alu instid0(VALU_DEP_3) | instskip(SKIP_2) | instid1(VALU_DEP_3)
	v_xor_b32_e32 v1, v1, v16
	v_add_co_u32 v25, null, 0x32370b8f, v14
	v_add_co_u32 v26, null, 0xdaa66d2b, v11
	v_mad_u64_u32 v[9:10], null, 0xcd9e8d57, v1, 0
	v_xor3_b32 v1, v21, v8, v4
	v_add_co_u32 v27, null, 0x78dde6e4, v11
	v_add_co_u32 v28, null, 0xed9eba14, v14
	s_delay_alu instid0(VALU_DEP_3) | instskip(SKIP_3) | instid1(VALU_DEP_3)
	v_mad_u64_u32 v[3:4], null, 0xcd9e8d57, v1, 0
	v_xor3_b32 v8, v22, v10, v6
	v_add_co_u32 v29, null, 0xa9066899, v14
	v_add_co_u32 v30, null, 0x1715609d, v11
	v_mad_u64_u32 v[5:6], null, 0xd2511f53, v8, 0
	v_xor3_b32 v1, v23, v4, v9
	v_add_co_u32 v31, null, 0xb54cda56, v11
	v_add_co_u32 v32, null, 0x646e171e, v14
	;; [unrolled: 1-line block ×3, first 2 shown]
	v_xor3_b32 v4, v24, v6, v7
	v_mad_u64_u32 v[6:7], null, 0xd2511f53, v1, 0
	v_add_co_u32 v34, null, 0x5384540f, v11
	s_delay_alu instid0(VALU_DEP_3)
	v_mad_u64_u32 v[8:9], null, 0xcd9e8d57, v4, 0
	s_clause 0x2
	s_load_b64 s[6:7], s[0:1], 0x30
	s_load_b32 s12, s[0:1], 0x38
	s_load_b64 s[0:1], s[0:1], 0x40
	v_add_co_u32 v37, null, 0xf1bbcdc8, v11
	v_xor3_b32 v1, v25, v7, v5
	v_add_co_u32 v38, null, 0xdb3d7428, v14
	v_xor3_b32 v5, v26, v9, v3
	v_dual_mov_b32 v40, v15 :: v_dual_add_nc_u32 v39, 0x96a522ad, v12
	s_delay_alu instid0(VALU_DEP_4) | instskip(NEXT) | instid1(VALU_DEP_3)
	v_mad_u64_u32 v[3:4], null, 0xcd9e8d57, v1, 0
	v_mad_u64_u32 v[9:10], null, 0xd2511f53, v5, 0
	v_mov_b32_e32 v43, v16
	s_delay_alu instid0(VALU_DEP_3) | instskip(NEXT) | instid1(VALU_DEP_3)
	v_xor3_b32 v1, v27, v4, v8
	v_xor3_b32 v8, v28, v10, v6
	s_delay_alu instid0(VALU_DEP_2) | instskip(NEXT) | instid1(VALU_DEP_2)
	v_mad_u64_u32 v[4:5], null, 0xd2511f53, v1, 0
	v_mad_u64_u32 v[6:7], null, 0xcd9e8d57, v8, 0
	s_delay_alu instid0(VALU_DEP_2) | instskip(NEXT) | instid1(VALU_DEP_2)
	v_xor3_b32 v1, v29, v5, v9
	v_xor3_b32 v3, v30, v7, v3
	s_delay_alu instid0(VALU_DEP_2) | instskip(NEXT) | instid1(VALU_DEP_2)
	v_mad_u64_u32 v[7:8], null, 0xcd9e8d57, v1, 0
	v_mad_u64_u32 v[9:10], null, 0xd2511f53, v3, 0
	s_delay_alu instid0(VALU_DEP_2) | instskip(NEXT) | instid1(VALU_DEP_2)
	;; [unrolled: 6-line block ×3, first 2 shown]
	v_xor3_b32 v1, v33, v4, v9
	v_xor3_b32 v2, v34, v6, v7
	s_delay_alu instid0(VALU_DEP_2) | instskip(NEXT) | instid1(VALU_DEP_2)
	v_mad_u64_u32 v[6:7], null, 0xcd9e8d57, v1, 0
	v_mad_u64_u32 v[8:9], null, 0xd2511f53, v2, 0
	v_mad_u64_u32 v[17:18], null, s15, s10, v[0:1]
	s_add_i32 s15, s15, s11
	s_waitcnt lgkmcnt(0)
	s_mul_i32 s11, s11, s12
	s_delay_alu instid0(VALU_DEP_3) | instskip(SKIP_1) | instid1(VALU_DEP_3)
	v_xor3_b32 v1, v37, v7, v5
	s_mul_i32 s11, s11, s10
	v_xor3_b32 v7, v38, v9, v3
	s_lshl_b32 s11, s11, 1
	v_mul_lo_u32 v41, s12, v17
	v_mad_u64_u32 v[3:4], null, s15, s10, v[0:1]
	v_mad_u64_u32 v[4:5], null, 0xd2511f53, v1, 0
	;; [unrolled: 1-line block ×3, first 2 shown]
	v_add_nc_u32_e32 v36, 0x8ff34781, v11
	s_mov_b32 s10, 0
	s_delay_alu instid0(VALU_DEP_4) | instskip(SKIP_1) | instid1(VALU_DEP_4)
	v_mul_lo_u32 v42, s12, v3
	s_mov_b32 s12, 0
	v_mov_b32_e32 v3, v4
	s_delay_alu instid0(VALU_DEP_4)
	v_xor3_b32 v0, v2, v6, v36
	v_xor3_b32 v2, v5, v8, v39
	s_branch .LBB141_8
.LBB141_7:                              ;   in Loop: Header=BB141_8 Depth=1
	s_or_b32 exec_lo, exec_lo, s13
	v_add_co_u32 v15, vcc_lo, v15, s9
	v_add_co_ci_u32_e32 v16, vcc_lo, 0, v16, vcc_lo
	v_mov_b32_e32 v7, v17
	v_dual_mov_b32 v0, v4 :: v_dual_mov_b32 v1, v5
	s_delay_alu instid0(VALU_DEP_3) | instskip(NEXT) | instid1(VALU_DEP_3)
	v_cmp_le_i64_e32 vcc_lo, s[2:3], v[15:16]
	v_dual_mov_b32 v2, v6 :: v_dual_mov_b32 v3, v7
	s_add_i32 s12, s12, s11
	s_waitcnt_vscnt null, 0x0
	s_barrier
	s_or_b32 s10, vcc_lo, s10
	buffer_gl0_inv
	s_and_not1_b32 exec_lo, exec_lo, s10
	s_cbranch_execz .LBB141_22
.LBB141_8:                              ; =>This Inner Loop Header: Depth=1
	v_add_co_u32 v19, vcc_lo, v19, 1
	s_delay_alu instid0(VALU_DEP_1) | instskip(SKIP_2) | instid1(VALU_DEP_1)
	v_cndmask_b32_e64 v4, 0, 1, vcc_lo
	v_add_co_ci_u32_e32 v20, vcc_lo, 0, v20, vcc_lo
	s_mov_b32 s13, exec_lo
	v_cmp_eq_u32_e32 vcc_lo, 0, v20
	s_delay_alu instid0(VALU_DEP_3) | instskip(NEXT) | instid1(VALU_DEP_1)
	v_cndmask_b32_e32 v4, 0, v4, vcc_lo
	v_add_nc_u32_e32 v40, v4, v40
	s_delay_alu instid0(VALU_DEP_1) | instskip(SKIP_2) | instid1(VALU_DEP_2)
	v_cmp_eq_u32_e32 vcc_lo, 0, v40
	v_mad_u64_u32 v[6:7], null, 0xcd9e8d57, v40, 0
	v_cndmask_b32_e32 v4, 0, v4, vcc_lo
	v_xor3_b32 v9, v7, v11, v20
	s_delay_alu instid0(VALU_DEP_2) | instskip(SKIP_1) | instid1(VALU_DEP_3)
	v_add_nc_u32_e32 v43, v4, v43
	v_mad_u64_u32 v[4:5], null, 0xd2511f53, v19, 0
	v_mad_u64_u32 v[7:8], null, 0xd2511f53, v9, 0
	s_delay_alu instid0(VALU_DEP_2) | instskip(NEXT) | instid1(VALU_DEP_2)
	v_xor_b32_e32 v5, v5, v12
	v_xor3_b32 v8, v21, v8, v4
	s_delay_alu instid0(VALU_DEP_2) | instskip(NEXT) | instid1(VALU_DEP_1)
	v_xor_b32_e32 v5, v43, v5
	v_mad_u64_u32 v[9:10], null, 0xcd9e8d57, v5, 0
	s_delay_alu instid0(VALU_DEP_3) | instskip(NEXT) | instid1(VALU_DEP_2)
	v_mad_u64_u32 v[4:5], null, 0xcd9e8d57, v8, 0
	v_xor3_b32 v6, v22, v10, v6
	s_delay_alu instid0(VALU_DEP_2) | instskip(NEXT) | instid1(VALU_DEP_2)
	v_xor3_b32 v8, v23, v5, v9
	v_mad_u64_u32 v[17:18], null, 0xd2511f53, v6, 0
	s_delay_alu instid0(VALU_DEP_2) | instskip(NEXT) | instid1(VALU_DEP_2)
	v_mad_u64_u32 v[5:6], null, 0xd2511f53, v8, 0
	v_xor3_b32 v9, v24, v18, v7
	s_delay_alu instid0(VALU_DEP_2) | instskip(NEXT) | instid1(VALU_DEP_2)
	v_xor3_b32 v6, v25, v6, v17
	v_mad_u64_u32 v[7:8], null, 0xcd9e8d57, v9, 0
	s_delay_alu instid0(VALU_DEP_1) | instskip(NEXT) | instid1(VALU_DEP_3)
	v_xor3_b32 v4, v26, v8, v4
	v_mad_u64_u32 v[8:9], null, 0xcd9e8d57, v6, 0
	s_delay_alu instid0(VALU_DEP_2) | instskip(NEXT) | instid1(VALU_DEP_2)
	v_mad_u64_u32 v[17:18], null, 0xd2511f53, v4, 0
	v_xor3_b32 v6, v27, v9, v7
	s_delay_alu instid0(VALU_DEP_2) | instskip(NEXT) | instid1(VALU_DEP_2)
	v_xor3_b32 v9, v28, v18, v5
	v_mad_u64_u32 v[4:5], null, 0xd2511f53, v6, 0
	s_delay_alu instid0(VALU_DEP_2) | instskip(NEXT) | instid1(VALU_DEP_2)
	v_mad_u64_u32 v[6:7], null, 0xcd9e8d57, v9, 0
	v_xor3_b32 v5, v29, v5, v17
	s_delay_alu instid0(VALU_DEP_2) | instskip(NEXT) | instid1(VALU_DEP_2)
	;; [unrolled: 6-line block ×6, first 2 shown]
	v_xor3_b32 v4, v6, v7, v36
	v_mov_b32_e32 v6, v10
	v_cmpx_lt_i32_e32 1, v35
	s_xor_b32 s13, exec_lo, s13
	s_cbranch_execnz .LBB141_14
; %bb.9:                                ;   in Loop: Header=BB141_8 Depth=1
	s_and_not1_saveexec_b32 s13, s13
	s_cbranch_execnz .LBB141_19
.LBB141_10:                             ;   in Loop: Header=BB141_8 Depth=1
	s_or_b32 exec_lo, exec_lo, s13
	s_delay_alu instid0(SALU_CYCLE_1)
	s_mov_b32 s13, exec_lo
	v_cmpx_gt_i64_e64 s[4:5], v[15:16]
	s_cbranch_execz .LBB141_12
.LBB141_11:                             ;   in Loop: Header=BB141_8 Depth=1
	v_lshrrev_b32_e32 v1, 11, v1
	s_delay_alu instid0(VALU_DEP_1) | instskip(SKIP_1) | instid1(VALU_DEP_2)
	v_cvt_f64_u32_e32 v[7:8], v1
	v_cvt_f64_u32_e32 v[0:1], v0
	v_ldexp_f64 v[7:8], v[7:8], 32
	s_delay_alu instid0(VALU_DEP_1) | instskip(SKIP_1) | instid1(VALU_DEP_1)
	v_add_f64 v[0:1], v[7:8], v[0:1]
	v_add_nc_u32_e32 v7, s12, v41
	v_ashrrev_i32_e32 v8, 31, v7
	v_add_co_u32 v7, vcc_lo, s6, v7
	s_delay_alu instid0(VALU_DEP_2) | instskip(SKIP_1) | instid1(VALU_DEP_1)
	v_add_co_ci_u32_e32 v8, vcc_lo, s7, v8, vcc_lo
	v_fma_f64 v[0:1], 0x3ca00000, v[0:1], 0x3ca00000
	v_cmp_gt_f64_e32 vcc_lo, s[0:1], v[0:1]
	v_cndmask_b32_e64 v14, 0, 0x3ff00000, vcc_lo
	global_store_b64 v[7:8], v[13:14], off
.LBB141_12:                             ;   in Loop: Header=BB141_8 Depth=1
	s_or_b32 exec_lo, exec_lo, s13
	v_add_co_u32 v0, vcc_lo, s8, v15
	v_add_co_ci_u32_e32 v1, vcc_lo, 0, v16, vcc_lo
	s_mov_b32 s13, exec_lo
	s_delay_alu instid0(VALU_DEP_1)
	v_cmpx_gt_i64_e64 s[4:5], v[0:1]
	s_cbranch_execz .LBB141_7
; %bb.13:                               ;   in Loop: Header=BB141_8 Depth=1
	v_lshrrev_b32_e32 v0, 11, v3
	v_cvt_f64_u32_e32 v[2:3], v2
	s_delay_alu instid0(VALU_DEP_2) | instskip(NEXT) | instid1(VALU_DEP_1)
	v_cvt_f64_u32_e32 v[0:1], v0
	v_ldexp_f64 v[0:1], v[0:1], 32
	s_delay_alu instid0(VALU_DEP_1) | instskip(SKIP_1) | instid1(VALU_DEP_1)
	v_add_f64 v[0:1], v[0:1], v[2:3]
	v_add_nc_u32_e32 v2, s12, v42
	v_ashrrev_i32_e32 v3, 31, v2
	v_add_co_u32 v2, vcc_lo, s6, v2
	s_delay_alu instid0(VALU_DEP_2) | instskip(SKIP_1) | instid1(VALU_DEP_1)
	v_add_co_ci_u32_e32 v3, vcc_lo, s7, v3, vcc_lo
	v_fma_f64 v[0:1], 0x3ca00000, v[0:1], 0x3ca00000
	v_cmp_gt_f64_e32 vcc_lo, s[0:1], v[0:1]
	v_cndmask_b32_e64 v14, 0, 0x3ff00000, vcc_lo
	global_store_b64 v[2:3], v[13:14], off
	s_branch .LBB141_7
.LBB141_14:                             ;   in Loop: Header=BB141_8 Depth=1
	s_mov_b32 s14, exec_lo
	v_cmpx_lt_i32_e32 2, v35
	s_xor_b32 s14, exec_lo, s14
; %bb.15:                               ;   in Loop: Header=BB141_8 Depth=1
	v_dual_mov_b32 v7, v3 :: v_dual_mov_b32 v8, v4
	v_mov_b32_e32 v9, v5
	s_delay_alu instid0(VALU_DEP_2) | instskip(NEXT) | instid1(VALU_DEP_2)
	v_dual_mov_b32 v0, v7 :: v_dual_mov_b32 v1, v8
	v_dual_mov_b32 v2, v9 :: v_dual_mov_b32 v3, v10
; %bb.16:                               ;   in Loop: Header=BB141_8 Depth=1
	s_and_not1_saveexec_b32 s14, s14
; %bb.17:                               ;   in Loop: Header=BB141_8 Depth=1
	s_delay_alu instid0(VALU_DEP_1)
	v_dual_mov_b32 v0, v2 :: v_dual_mov_b32 v1, v3
	v_dual_mov_b32 v2, v4 :: v_dual_mov_b32 v3, v5
; %bb.18:                               ;   in Loop: Header=BB141_8 Depth=1
	s_or_b32 exec_lo, exec_lo, s14
	s_and_not1_saveexec_b32 s13, s13
	s_cbranch_execz .LBB141_10
.LBB141_19:                             ;   in Loop: Header=BB141_8 Depth=1
	s_mov_b32 s14, exec_lo
	v_cmpx_eq_u32_e32 1, v35
; %bb.20:                               ;   in Loop: Header=BB141_8 Depth=1
	v_dual_mov_b32 v0, v1 :: v_dual_mov_b32 v1, v2
	v_dual_mov_b32 v2, v3 :: v_dual_mov_b32 v3, v4
; %bb.21:                               ;   in Loop: Header=BB141_8 Depth=1
	s_or_b32 exec_lo, exec_lo, s14
	s_delay_alu instid0(SALU_CYCLE_1) | instskip(NEXT) | instid1(SALU_CYCLE_1)
	s_or_b32 exec_lo, exec_lo, s13
	s_mov_b32 s13, exec_lo
	v_cmpx_gt_i64_e64 s[4:5], v[15:16]
	s_cbranch_execnz .LBB141_11
	s_branch .LBB141_12
.LBB141_22:
	s_endpgm
.LBB141_23:
                                        ; implicit-def: $sgpr2_sgpr3
	s_branch .LBB141_4
	.section	.rodata,"a",@progbits
	.p2align	6, 0x0
	.amdhsa_kernel _ZN2at6native12_GLOBAL__N_143distribution_elementwise_grid_stride_kernelIdLi2EZNS0_9templates4cuda21uniform_and_transformIddPNS_17CUDAGeneratorImplEZZZNS4_16bernoulli_kernelIS7_EEvRNS_18TensorIteratorBaseEdT_ENKUlvE_clEvENKUlvE4_clEvEUldE_EEvSA_T1_T2_EUlP25hiprandStatePhilox4_32_10E_ZNS1_27distribution_nullary_kernelIdd15HIP_vector_typeIdLj2EES7_SJ_SE_EEvSA_SG_RKT3_T4_EUlidE_EEvlNS_15PhiloxCudaStateESF_SG_
		.amdhsa_group_segment_fixed_size 0
		.amdhsa_private_segment_fixed_size 0
		.amdhsa_kernarg_size 328
		.amdhsa_user_sgpr_count 15
		.amdhsa_user_sgpr_dispatch_ptr 0
		.amdhsa_user_sgpr_queue_ptr 0
		.amdhsa_user_sgpr_kernarg_segment_ptr 1
		.amdhsa_user_sgpr_dispatch_id 0
		.amdhsa_user_sgpr_private_segment_size 0
		.amdhsa_wavefront_size32 1
		.amdhsa_uses_dynamic_stack 0
		.amdhsa_enable_private_segment 0
		.amdhsa_system_sgpr_workgroup_id_x 1
		.amdhsa_system_sgpr_workgroup_id_y 0
		.amdhsa_system_sgpr_workgroup_id_z 0
		.amdhsa_system_sgpr_workgroup_info 0
		.amdhsa_system_vgpr_workitem_id 0
		.amdhsa_next_free_vgpr 44
		.amdhsa_next_free_sgpr 23
		.amdhsa_reserve_vcc 1
		.amdhsa_float_round_mode_32 0
		.amdhsa_float_round_mode_16_64 0
		.amdhsa_float_denorm_mode_32 3
		.amdhsa_float_denorm_mode_16_64 3
		.amdhsa_dx10_clamp 1
		.amdhsa_ieee_mode 1
		.amdhsa_fp16_overflow 0
		.amdhsa_workgroup_processor_mode 1
		.amdhsa_memory_ordered 1
		.amdhsa_forward_progress 0
		.amdhsa_shared_vgpr_count 0
		.amdhsa_exception_fp_ieee_invalid_op 0
		.amdhsa_exception_fp_denorm_src 0
		.amdhsa_exception_fp_ieee_div_zero 0
		.amdhsa_exception_fp_ieee_overflow 0
		.amdhsa_exception_fp_ieee_underflow 0
		.amdhsa_exception_fp_ieee_inexact 0
		.amdhsa_exception_int_div_zero 0
	.end_amdhsa_kernel
	.section	.text._ZN2at6native12_GLOBAL__N_143distribution_elementwise_grid_stride_kernelIdLi2EZNS0_9templates4cuda21uniform_and_transformIddPNS_17CUDAGeneratorImplEZZZNS4_16bernoulli_kernelIS7_EEvRNS_18TensorIteratorBaseEdT_ENKUlvE_clEvENKUlvE4_clEvEUldE_EEvSA_T1_T2_EUlP25hiprandStatePhilox4_32_10E_ZNS1_27distribution_nullary_kernelIdd15HIP_vector_typeIdLj2EES7_SJ_SE_EEvSA_SG_RKT3_T4_EUlidE_EEvlNS_15PhiloxCudaStateESF_SG_,"axG",@progbits,_ZN2at6native12_GLOBAL__N_143distribution_elementwise_grid_stride_kernelIdLi2EZNS0_9templates4cuda21uniform_and_transformIddPNS_17CUDAGeneratorImplEZZZNS4_16bernoulli_kernelIS7_EEvRNS_18TensorIteratorBaseEdT_ENKUlvE_clEvENKUlvE4_clEvEUldE_EEvSA_T1_T2_EUlP25hiprandStatePhilox4_32_10E_ZNS1_27distribution_nullary_kernelIdd15HIP_vector_typeIdLj2EES7_SJ_SE_EEvSA_SG_RKT3_T4_EUlidE_EEvlNS_15PhiloxCudaStateESF_SG_,comdat
.Lfunc_end141:
	.size	_ZN2at6native12_GLOBAL__N_143distribution_elementwise_grid_stride_kernelIdLi2EZNS0_9templates4cuda21uniform_and_transformIddPNS_17CUDAGeneratorImplEZZZNS4_16bernoulli_kernelIS7_EEvRNS_18TensorIteratorBaseEdT_ENKUlvE_clEvENKUlvE4_clEvEUldE_EEvSA_T1_T2_EUlP25hiprandStatePhilox4_32_10E_ZNS1_27distribution_nullary_kernelIdd15HIP_vector_typeIdLj2EES7_SJ_SE_EEvSA_SG_RKT3_T4_EUlidE_EEvlNS_15PhiloxCudaStateESF_SG_, .Lfunc_end141-_ZN2at6native12_GLOBAL__N_143distribution_elementwise_grid_stride_kernelIdLi2EZNS0_9templates4cuda21uniform_and_transformIddPNS_17CUDAGeneratorImplEZZZNS4_16bernoulli_kernelIS7_EEvRNS_18TensorIteratorBaseEdT_ENKUlvE_clEvENKUlvE4_clEvEUldE_EEvSA_T1_T2_EUlP25hiprandStatePhilox4_32_10E_ZNS1_27distribution_nullary_kernelIdd15HIP_vector_typeIdLj2EES7_SJ_SE_EEvSA_SG_RKT3_T4_EUlidE_EEvlNS_15PhiloxCudaStateESF_SG_
                                        ; -- End function
	.section	.AMDGPU.csdata,"",@progbits
; Kernel info:
; codeLenInByte = 2748
; NumSgprs: 25
; NumVgprs: 44
; ScratchSize: 0
; MemoryBound: 0
; FloatMode: 240
; IeeeMode: 1
; LDSByteSize: 0 bytes/workgroup (compile time only)
; SGPRBlocks: 3
; VGPRBlocks: 5
; NumSGPRsForWavesPerEU: 25
; NumVGPRsForWavesPerEU: 44
; Occupancy: 16
; WaveLimiterHint : 0
; COMPUTE_PGM_RSRC2:SCRATCH_EN: 0
; COMPUTE_PGM_RSRC2:USER_SGPR: 15
; COMPUTE_PGM_RSRC2:TRAP_HANDLER: 0
; COMPUTE_PGM_RSRC2:TGID_X_EN: 1
; COMPUTE_PGM_RSRC2:TGID_Y_EN: 0
; COMPUTE_PGM_RSRC2:TGID_Z_EN: 0
; COMPUTE_PGM_RSRC2:TIDIG_COMP_CNT: 0
	.section	.text._ZN2at6native12_GLOBAL__N_143distribution_elementwise_grid_stride_kernelIdLi2EZNS0_9templates4cuda21uniform_and_transformIddPNS_17CUDAGeneratorImplEZZZNS4_16bernoulli_kernelIS7_EEvRNS_18TensorIteratorBaseEdT_ENKUlvE_clEvENKUlvE4_clEvEUldE_EEvSA_T1_T2_EUlP25hiprandStatePhilox4_32_10E_ZNS1_27distribution_nullary_kernelIdd15HIP_vector_typeIdLj2EES7_SJ_SE_EEvSA_SG_RKT3_T4_EUlidE0_EEvlNS_15PhiloxCudaStateESF_SG_,"axG",@progbits,_ZN2at6native12_GLOBAL__N_143distribution_elementwise_grid_stride_kernelIdLi2EZNS0_9templates4cuda21uniform_and_transformIddPNS_17CUDAGeneratorImplEZZZNS4_16bernoulli_kernelIS7_EEvRNS_18TensorIteratorBaseEdT_ENKUlvE_clEvENKUlvE4_clEvEUldE_EEvSA_T1_T2_EUlP25hiprandStatePhilox4_32_10E_ZNS1_27distribution_nullary_kernelIdd15HIP_vector_typeIdLj2EES7_SJ_SE_EEvSA_SG_RKT3_T4_EUlidE0_EEvlNS_15PhiloxCudaStateESF_SG_,comdat
	.globl	_ZN2at6native12_GLOBAL__N_143distribution_elementwise_grid_stride_kernelIdLi2EZNS0_9templates4cuda21uniform_and_transformIddPNS_17CUDAGeneratorImplEZZZNS4_16bernoulli_kernelIS7_EEvRNS_18TensorIteratorBaseEdT_ENKUlvE_clEvENKUlvE4_clEvEUldE_EEvSA_T1_T2_EUlP25hiprandStatePhilox4_32_10E_ZNS1_27distribution_nullary_kernelIdd15HIP_vector_typeIdLj2EES7_SJ_SE_EEvSA_SG_RKT3_T4_EUlidE0_EEvlNS_15PhiloxCudaStateESF_SG_ ; -- Begin function _ZN2at6native12_GLOBAL__N_143distribution_elementwise_grid_stride_kernelIdLi2EZNS0_9templates4cuda21uniform_and_transformIddPNS_17CUDAGeneratorImplEZZZNS4_16bernoulli_kernelIS7_EEvRNS_18TensorIteratorBaseEdT_ENKUlvE_clEvENKUlvE4_clEvEUldE_EEvSA_T1_T2_EUlP25hiprandStatePhilox4_32_10E_ZNS1_27distribution_nullary_kernelIdd15HIP_vector_typeIdLj2EES7_SJ_SE_EEvSA_SG_RKT3_T4_EUlidE0_EEvlNS_15PhiloxCudaStateESF_SG_
	.p2align	8
	.type	_ZN2at6native12_GLOBAL__N_143distribution_elementwise_grid_stride_kernelIdLi2EZNS0_9templates4cuda21uniform_and_transformIddPNS_17CUDAGeneratorImplEZZZNS4_16bernoulli_kernelIS7_EEvRNS_18TensorIteratorBaseEdT_ENKUlvE_clEvENKUlvE4_clEvEUldE_EEvSA_T1_T2_EUlP25hiprandStatePhilox4_32_10E_ZNS1_27distribution_nullary_kernelIdd15HIP_vector_typeIdLj2EES7_SJ_SE_EEvSA_SG_RKT3_T4_EUlidE0_EEvlNS_15PhiloxCudaStateESF_SG_,@function
_ZN2at6native12_GLOBAL__N_143distribution_elementwise_grid_stride_kernelIdLi2EZNS0_9templates4cuda21uniform_and_transformIddPNS_17CUDAGeneratorImplEZZZNS4_16bernoulli_kernelIS7_EEvRNS_18TensorIteratorBaseEdT_ENKUlvE_clEvENKUlvE4_clEvEUldE_EEvSA_T1_T2_EUlP25hiprandStatePhilox4_32_10E_ZNS1_27distribution_nullary_kernelIdd15HIP_vector_typeIdLj2EES7_SJ_SE_EEvSA_SG_RKT3_T4_EUlidE0_EEvlNS_15PhiloxCudaStateESF_SG_: ; @_ZN2at6native12_GLOBAL__N_143distribution_elementwise_grid_stride_kernelIdLi2EZNS0_9templates4cuda21uniform_and_transformIddPNS_17CUDAGeneratorImplEZZZNS4_16bernoulli_kernelIS7_EEvRNS_18TensorIteratorBaseEdT_ENKUlvE_clEvENKUlvE4_clEvEUldE_EEvSA_T1_T2_EUlP25hiprandStatePhilox4_32_10E_ZNS1_27distribution_nullary_kernelIdd15HIP_vector_typeIdLj2EES7_SJ_SE_EEvSA_SG_RKT3_T4_EUlidE0_EEvlNS_15PhiloxCudaStateESF_SG_
; %bb.0:
	s_clause 0x2
	s_load_b64 s[4:5], s[0:1], 0x10
	s_load_b128 s[16:19], s[0:1], 0x0
	s_load_b32 s2, s[0:1], 0x20
	s_waitcnt lgkmcnt(0)
	v_dual_mov_b32 v2, s4 :: v_dual_mov_b32 v3, s5
	v_dual_mov_b32 v11, s18 :: v_dual_mov_b32 v12, s19
	s_bitcmp0_b32 s2, 0
	s_mov_b32 s2, 0
	s_cbranch_scc1 .LBB142_2
; %bb.1:
	v_dual_mov_b32 v1, s4 :: v_dual_mov_b32 v2, s5
	v_dual_mov_b32 v4, s18 :: v_dual_mov_b32 v5, s19
	s_load_b64 s[4:5], s[0:1], 0x18
	flat_load_b64 v[2:3], v[1:2]
	flat_load_b64 v[11:12], v[4:5]
	s_waitcnt vmcnt(1) lgkmcnt(0)
	v_add_co_u32 v2, vcc_lo, v2, s4
	v_add_co_ci_u32_e32 v3, vcc_lo, s5, v3, vcc_lo
.LBB142_2:
	s_clause 0x1
	s_load_b32 s3, s[0:1], 0x154
	s_load_b32 s5, s[0:1], 0x148
	s_waitcnt lgkmcnt(0)
	s_and_b32 s4, s3, 0xffff
	s_add_u32 s6, s16, -1
	s_mul_i32 s26, s5, s4
	s_addc_u32 s3, s17, -1
	s_lshl_b32 s27, s26, 1
	s_cmp_lg_u64 s[2:3], 0
	s_cbranch_scc0 .LBB142_49
; %bb.3:
	v_cvt_f32_ubyte0_e32 v1, 0
	v_cvt_f32_u32_e32 v4, s27
	s_sub_u32 s8, 0, s27
	s_subb_u32 s9, 0, 0
	s_delay_alu instid0(VALU_DEP_1) | instskip(NEXT) | instid1(VALU_DEP_1)
	v_fmamk_f32 v1, v1, 0x4f800000, v4
	v_rcp_f32_e32 v1, v1
	s_waitcnt_depctr 0xfff
	v_mul_f32_e32 v1, 0x5f7ffffc, v1
	s_delay_alu instid0(VALU_DEP_1) | instskip(NEXT) | instid1(VALU_DEP_1)
	v_mul_f32_e32 v4, 0x2f800000, v1
	v_trunc_f32_e32 v4, v4
	s_delay_alu instid0(VALU_DEP_1) | instskip(SKIP_1) | instid1(VALU_DEP_2)
	v_fmamk_f32 v1, v4, 0xcf800000, v1
	v_cvt_u32_f32_e32 v4, v4
	v_cvt_u32_f32_e32 v1, v1
	s_delay_alu instid0(VALU_DEP_2) | instskip(NEXT) | instid1(VALU_DEP_2)
	v_readfirstlane_b32 s2, v4
	v_readfirstlane_b32 s7, v1
	s_delay_alu instid0(VALU_DEP_2) | instskip(NEXT) | instid1(VALU_DEP_1)
	s_mul_i32 s10, s8, s2
	s_mul_hi_u32 s12, s8, s7
	s_mul_i32 s11, s9, s7
	s_add_i32 s10, s12, s10
	s_mul_i32 s13, s8, s7
	s_add_i32 s10, s10, s11
	s_mul_hi_u32 s12, s7, s13
	s_mul_hi_u32 s14, s2, s13
	s_mul_i32 s11, s2, s13
	s_mul_hi_u32 s13, s7, s10
	s_mul_i32 s7, s7, s10
	s_mul_hi_u32 s18, s2, s10
	s_add_u32 s7, s12, s7
	s_addc_u32 s12, 0, s13
	s_add_u32 s7, s7, s11
	s_mul_i32 s10, s2, s10
	s_addc_u32 s7, s12, s14
	s_addc_u32 s11, s18, 0
	s_add_u32 s7, s7, s10
	s_addc_u32 s10, 0, s11
	v_add_co_u32 v1, s7, v1, s7
	s_delay_alu instid0(VALU_DEP_1) | instskip(SKIP_1) | instid1(VALU_DEP_1)
	s_cmp_lg_u32 s7, 0
	s_addc_u32 s2, s2, s10
	v_readfirstlane_b32 s7, v1
	s_mul_i32 s10, s8, s2
	s_delay_alu instid0(VALU_DEP_1)
	s_mul_hi_u32 s11, s8, s7
	s_mul_i32 s9, s9, s7
	s_add_i32 s10, s11, s10
	s_mul_i32 s8, s8, s7
	s_add_i32 s10, s10, s9
	s_mul_hi_u32 s11, s2, s8
	s_mul_i32 s12, s2, s8
	s_mul_hi_u32 s8, s7, s8
	s_mul_hi_u32 s13, s7, s10
	s_mul_i32 s7, s7, s10
	s_mul_hi_u32 s9, s2, s10
	s_add_u32 s7, s8, s7
	s_addc_u32 s8, 0, s13
	s_add_u32 s7, s7, s12
	s_mul_i32 s10, s2, s10
	s_addc_u32 s7, s8, s11
	s_addc_u32 s8, s9, 0
	s_add_u32 s7, s7, s10
	s_addc_u32 s8, 0, s8
	v_add_co_u32 v1, s7, v1, s7
	s_delay_alu instid0(VALU_DEP_1) | instskip(SKIP_2) | instid1(VALU_DEP_1)
	s_cmp_lg_u32 s7, 0
	s_addc_u32 s7, s2, s8
	s_ashr_i32 s8, s3, 31
	v_readfirstlane_b32 s10, v1
	s_add_u32 s2, s6, s8
	s_mov_b32 s9, s8
	s_addc_u32 s3, s3, s8
	s_delay_alu instid0(SALU_CYCLE_1) | instskip(NEXT) | instid1(SALU_CYCLE_1)
	s_xor_b64 s[2:3], s[2:3], s[8:9]
	s_mul_i32 s12, s2, s7
	s_mul_hi_u32 s13, s2, s10
	s_mul_hi_u32 s11, s2, s7
	;; [unrolled: 1-line block ×3, first 2 shown]
	s_mul_i32 s10, s3, s10
	s_add_u32 s12, s13, s12
	s_addc_u32 s11, 0, s11
	s_mul_hi_u32 s14, s3, s7
	s_add_u32 s10, s12, s10
	s_mul_i32 s7, s3, s7
	s_addc_u32 s10, s11, s18
	s_addc_u32 s11, s14, 0
	s_add_u32 s7, s10, s7
	s_addc_u32 s10, 0, s11
	s_mul_i32 s12, s27, s7
	s_add_u32 s11, s7, 1
	v_sub_co_u32 v1, s2, s2, s12
	s_mul_hi_u32 s12, s27, s7
	s_addc_u32 s13, s10, 0
	s_mul_i32 s14, s27, s10
	s_delay_alu instid0(VALU_DEP_1)
	v_sub_co_u32 v4, s18, v1, s27
	s_add_u32 s19, s7, 2
	s_addc_u32 s20, s10, 0
	s_add_i32 s12, s12, s14
	s_cmp_lg_u32 s2, 0
	v_readfirstlane_b32 s2, v4
	s_subb_u32 s3, s3, s12
	s_cmp_lg_u32 s18, 0
	s_subb_u32 s12, s3, 0
	s_delay_alu instid0(VALU_DEP_1) | instskip(SKIP_4) | instid1(SALU_CYCLE_1)
	s_cmp_ge_u32 s2, s27
	s_cselect_b32 s2, -1, 0
	s_cmp_eq_u32 s12, 0
	v_readfirstlane_b32 s12, v1
	s_cselect_b32 s2, s2, -1
	s_cmp_lg_u32 s2, 0
	s_cselect_b32 s2, s19, s11
	s_cselect_b32 s11, s20, s13
	s_cmp_ge_u32 s12, s27
	s_cselect_b32 s12, -1, 0
	s_cmp_eq_u32 s3, 0
	s_cselect_b32 s3, s12, -1
	s_delay_alu instid0(SALU_CYCLE_1) | instskip(SKIP_2) | instid1(SALU_CYCLE_1)
	s_cmp_lg_u32 s3, 0
	s_cselect_b32 s3, s11, s10
	s_cselect_b32 s2, s2, s7
	s_xor_b64 s[2:3], s[2:3], s[8:9]
	s_delay_alu instid0(SALU_CYCLE_1)
	s_sub_u32 s2, s2, s8
	s_subb_u32 s3, s3, s8
	s_cbranch_execnz .LBB142_5
.LBB142_4:
	v_cvt_f32_u32_e32 v1, s27
	s_sub_i32 s3, 0, s27
	s_delay_alu instid0(VALU_DEP_1) | instskip(SKIP_2) | instid1(VALU_DEP_1)
	v_rcp_iflag_f32_e32 v1, v1
	s_waitcnt_depctr 0xfff
	v_mul_f32_e32 v1, 0x4f7ffffe, v1
	v_cvt_u32_f32_e32 v1, v1
	s_delay_alu instid0(VALU_DEP_1) | instskip(NEXT) | instid1(VALU_DEP_1)
	v_readfirstlane_b32 s2, v1
	s_mul_i32 s3, s3, s2
	s_delay_alu instid0(SALU_CYCLE_1) | instskip(NEXT) | instid1(SALU_CYCLE_1)
	s_mul_hi_u32 s3, s2, s3
	s_add_i32 s2, s2, s3
	s_delay_alu instid0(SALU_CYCLE_1) | instskip(NEXT) | instid1(SALU_CYCLE_1)
	s_mul_hi_u32 s2, s6, s2
	s_mul_i32 s3, s2, s27
	s_delay_alu instid0(SALU_CYCLE_1)
	s_sub_i32 s3, s6, s3
	s_add_i32 s6, s2, 1
	s_sub_i32 s7, s3, s27
	s_cmp_ge_u32 s3, s27
	s_cselect_b32 s2, s6, s2
	s_cselect_b32 s3, s7, s3
	s_add_i32 s6, s2, 1
	s_cmp_ge_u32 s3, s27
	s_mov_b32 s3, 0
	s_cselect_b32 s2, s6, s2
.LBB142_5:
	v_mov_b32_e32 v13, 0
	s_add_u32 s2, s2, 1
	s_addc_u32 s3, s3, 0
	s_mul_hi_u32 s5, s5, s4
	s_mul_hi_u32 s6, s26, s2
	v_mov_b32_e32 v1, v13
	s_mul_i32 s3, s26, s3
	s_mul_i32 s5, s5, s2
	s_add_i32 s3, s6, s3
	s_mul_i32 s2, s26, s2
	v_mad_u64_u32 v[15:16], null, s4, s15, v[0:1]
	s_add_i32 s3, s3, s5
	s_mov_b32 s4, exec_lo
	s_lshl_b64 s[2:3], s[2:3], 1
	s_delay_alu instid0(VALU_DEP_1) | instid1(SALU_CYCLE_1)
	v_cmpx_gt_i64_e64 s[2:3], v[15:16]
	s_cbranch_execz .LBB142_48
; %bb.6:
	v_alignbit_b32 v19, v3, v2, 2
	v_mad_u64_u32 v[4:5], null, 0xcd9e8d57, v15, 0
	v_lshrrev_b32_e32 v20, 2, v3
	s_waitcnt vmcnt(0)
	v_dual_mov_b32 v9, v12 :: v_dual_add_nc_u32 v30, 0x8ff34781, v11
	v_mad_u64_u32 v[0:1], null, 0xd2511f53, v19, 0
	v_add_co_u32 v22, null, 0x9e3779b9, v11
	v_xor3_b32 v3, v11, v5, v20
	s_delay_alu instid0(VALU_DEP_4) | instskip(SKIP_2) | instid1(VALU_DEP_4)
	v_add_co_u32 v21, null, 0xbb67ae85, v9
	v_add_co_u32 v23, null, 0x3c6ef372, v11
	v_xor_b32_e32 v1, v1, v12
	v_mad_u64_u32 v[5:6], null, 0xd2511f53, v3, 0
	v_add_co_u32 v24, null, 0x76cf5d0a, v9
	s_delay_alu instid0(VALU_DEP_3) | instskip(SKIP_2) | instid1(VALU_DEP_3)
	v_xor_b32_e32 v1, v1, v16
	v_add_co_u32 v25, null, 0x32370b8f, v9
	v_add_co_u32 v26, null, 0xdaa66d2b, v11
	v_mad_u64_u32 v[7:8], null, 0xcd9e8d57, v1, 0
	v_xor3_b32 v3, v21, v6, v0
	v_add_co_u32 v27, null, 0x78dde6e4, v11
	v_add_co_u32 v28, null, 0xed9eba14, v9
	s_delay_alu instid0(VALU_DEP_3) | instskip(SKIP_3) | instid1(VALU_DEP_3)
	v_mad_u64_u32 v[0:1], null, 0xcd9e8d57, v3, 0
	v_xor3_b32 v6, v22, v8, v4
	v_dual_mov_b32 v40, v15 :: v_dual_and_b32 v29, 3, v2
	v_add_co_u32 v31, null, 0xa9066899, v9
	v_mad_u64_u32 v[3:4], null, 0xd2511f53, v6, 0
	v_xor3_b32 v1, v23, v1, v7
	v_add_co_u32 v32, null, 0x1715609d, v11
	v_add_co_u32 v34, null, 0xb54cda56, v11
	;; [unrolled: 1-line block ×3, first 2 shown]
	v_xor3_b32 v8, v24, v4, v5
	v_mad_u64_u32 v[4:5], null, 0xd2511f53, v1, 0
	s_load_b256 s[4:11], s[0:1], 0x30
	v_add_co_u32 v33, null, 0x5384540f, v11
	s_delay_alu instid0(VALU_DEP_3) | instskip(SKIP_1) | instid1(VALU_DEP_4)
	v_mad_u64_u32 v[6:7], null, 0xcd9e8d57, v8, 0
	v_add_co_u32 v37, null, 0x1fd5c5a3, v9
	v_xor3_b32 v3, v25, v5, v3
	v_add_co_u32 v36, null, 0xf1bbcdc8, v11
	v_add_co_u32 v38, null, 0xdb3d7428, v9
	v_xor3_b32 v5, v26, v7, v0
	s_delay_alu instid0(VALU_DEP_4)
	v_mad_u64_u32 v[0:1], null, 0xcd9e8d57, v3, 0
	s_add_u32 s18, s0, 48
	s_clause 0x1
	s_load_b64 s[20:21], s[0:1], 0xf4
	s_load_b128 s[12:15], s[0:1], 0x138
	v_mad_u64_u32 v[7:8], null, 0xd2511f53, v5, 0
	s_addc_u32 s19, s1, 0
	s_waitcnt lgkmcnt(0)
	s_add_i32 s22, s4, -1
	v_xor3_b32 v3, v27, v1, v6
	s_cmp_gt_u32 s22, 1
	v_add_nc_u32_e32 v39, 0x96a522ad, v12
	s_cselect_b32 s11, -1, 0
	v_xor3_b32 v5, v28, v8, v4
	v_mad_u64_u32 v[1:2], null, 0xd2511f53, v3, 0
	s_cmp_lg_u32 s4, 0
	v_mov_b32_e32 v41, v16
	s_delay_alu instid0(VALU_DEP_3) | instskip(SKIP_2) | instid1(VALU_DEP_3)
	v_mad_u64_u32 v[3:4], null, 0xcd9e8d57, v5, 0
	s_cselect_b32 s29, -1, 0
	s_add_u32 s0, s0, 0xf4
	v_xor3_b32 v2, v31, v2, v7
	s_addc_u32 s1, s1, 0
	s_min_u32 s23, s22, 15
	s_cmp_gt_u32 s4, 1
	s_delay_alu instid0(VALU_DEP_2) | instskip(SKIP_3) | instid1(VALU_DEP_2)
	v_xor3_b32 v0, v32, v4, v0
	v_mad_u64_u32 v[4:5], null, 0xcd9e8d57, v2, 0
	s_cselect_b32 s4, -1, 0
	s_add_i32 s23, s23, 1
	v_mad_u64_u32 v[6:7], null, 0xd2511f53, v0, 0
	s_and_b32 s30, s23, 3
	s_cmp_lg_u32 s22, 2
	s_delay_alu instid0(VALU_DEP_2) | instskip(SKIP_3) | instid1(VALU_DEP_2)
	v_xor3_b32 v2, v34, v5, v3
	s_cselect_b32 s31, -1, 0
	s_and_b32 s33, s23, 28
	s_cmp_lg_u32 s30, 0
	v_xor3_b32 v5, v35, v7, v1
	v_mad_u64_u32 v[0:1], null, 0xd2511f53, v2, 0
	s_mov_b32 s28, 0
	s_cselect_b32 s34, -1, 0
	s_delay_alu instid0(VALU_DEP_2) | instskip(NEXT) | instid1(VALU_DEP_2)
	v_mad_u64_u32 v[2:3], null, 0xcd9e8d57, v5, 0
	v_xor3_b32 v1, v37, v1, v6
	s_delay_alu instid0(VALU_DEP_2) | instskip(NEXT) | instid1(VALU_DEP_2)
	v_xor3_b32 v3, v33, v3, v4
	v_mad_u64_u32 v[4:5], null, 0xcd9e8d57, v1, 0
	s_delay_alu instid0(VALU_DEP_2) | instskip(NEXT) | instid1(VALU_DEP_2)
	v_mad_u64_u32 v[6:7], null, 0xd2511f53, v3, 0
	v_xor3_b32 v1, v36, v5, v2
	s_delay_alu instid0(VALU_DEP_2) | instskip(NEXT) | instid1(VALU_DEP_2)
	v_xor3_b32 v0, v38, v7, v0
	v_mad_u64_u32 v[7:8], null, 0xd2511f53, v1, 0
	s_delay_alu instid0(VALU_DEP_2) | instskip(NEXT) | instid1(VALU_DEP_2)
	v_mad_u64_u32 v[1:2], null, 0xcd9e8d57, v0, 0
	v_mov_b32_e32 v3, v7
	s_delay_alu instid0(VALU_DEP_2) | instskip(NEXT) | instid1(VALU_DEP_4)
	v_xor3_b32 v0, v2, v4, v30
	v_xor3_b32 v2, v8, v6, v39
	s_branch .LBB142_9
.LBB142_7:                              ;   in Loop: Header=BB142_9 Depth=1
	v_lshrrev_b32_e32 v0, 11, v3
	v_cvt_f64_u32_e32 v[2:3], v2
	s_delay_alu instid0(VALU_DEP_2) | instskip(NEXT) | instid1(VALU_DEP_1)
	v_cvt_f64_u32_e32 v[7:8], v0
	v_ldexp_f64 v[7:8], v[7:8], 32
	s_delay_alu instid0(VALU_DEP_1) | instskip(NEXT) | instid1(VALU_DEP_1)
	v_add_f64 v[2:3], v[7:8], v[2:3]
	v_fma_f64 v[2:3], 0x3ca00000, v[2:3], 0x3ca00000
	s_delay_alu instid0(VALU_DEP_1)
	v_cmp_gt_f64_e32 vcc_lo, s[14:15], v[2:3]
	v_cndmask_b32_e64 v14, 0, 0x3ff00000, vcc_lo
	global_store_b64 v1, v[13:14], s[12:13]
.LBB142_8:                              ;   in Loop: Header=BB142_9 Depth=1
	s_or_b32 exec_lo, exec_lo, s35
	v_add_co_u32 v15, vcc_lo, v15, s27
	v_add_co_ci_u32_e32 v16, vcc_lo, 0, v16, vcc_lo
	v_mov_b32_e32 v7, v17
	v_dual_mov_b32 v0, v4 :: v_dual_mov_b32 v1, v5
	s_delay_alu instid0(VALU_DEP_3) | instskip(NEXT) | instid1(VALU_DEP_3)
	v_cmp_le_i64_e32 vcc_lo, s[2:3], v[15:16]
	v_dual_mov_b32 v2, v6 :: v_dual_mov_b32 v3, v7
	s_waitcnt_vscnt null, 0x0
	s_barrier
	buffer_gl0_inv
	s_or_b32 s28, vcc_lo, s28
	s_delay_alu instid0(SALU_CYCLE_1)
	s_and_not1_b32 exec_lo, exec_lo, s28
	s_cbranch_execz .LBB142_48
.LBB142_9:                              ; =>This Loop Header: Depth=1
                                        ;     Child Loop BB142_24 Depth 2
                                        ;     Child Loop BB142_29 Depth 2
	;; [unrolled: 1-line block ×4, first 2 shown]
	v_add_co_u32 v19, vcc_lo, v19, 1
	s_delay_alu instid0(VALU_DEP_1) | instskip(SKIP_2) | instid1(VALU_DEP_1)
	v_cndmask_b32_e64 v4, 0, 1, vcc_lo
	v_add_co_ci_u32_e32 v20, vcc_lo, 0, v20, vcc_lo
	s_mov_b32 s22, exec_lo
	v_cmp_eq_u32_e32 vcc_lo, 0, v20
	s_delay_alu instid0(VALU_DEP_3) | instskip(NEXT) | instid1(VALU_DEP_1)
	v_cndmask_b32_e32 v4, 0, v4, vcc_lo
	v_add_nc_u32_e32 v40, v4, v40
	s_delay_alu instid0(VALU_DEP_1) | instskip(SKIP_2) | instid1(VALU_DEP_2)
	v_cmp_eq_u32_e32 vcc_lo, 0, v40
	v_mad_u64_u32 v[6:7], null, 0xcd9e8d57, v40, 0
	v_cndmask_b32_e32 v4, 0, v4, vcc_lo
	v_xor3_b32 v9, v7, v11, v20
	s_delay_alu instid0(VALU_DEP_2) | instskip(SKIP_1) | instid1(VALU_DEP_3)
	v_add_nc_u32_e32 v41, v4, v41
	v_mad_u64_u32 v[4:5], null, 0xd2511f53, v19, 0
	v_mad_u64_u32 v[7:8], null, 0xd2511f53, v9, 0
	s_delay_alu instid0(VALU_DEP_2) | instskip(NEXT) | instid1(VALU_DEP_2)
	v_xor_b32_e32 v5, v5, v12
	v_xor3_b32 v8, v21, v8, v4
	s_delay_alu instid0(VALU_DEP_2) | instskip(NEXT) | instid1(VALU_DEP_1)
	v_xor_b32_e32 v5, v41, v5
	v_mad_u64_u32 v[9:10], null, 0xcd9e8d57, v5, 0
	s_delay_alu instid0(VALU_DEP_3) | instskip(NEXT) | instid1(VALU_DEP_2)
	v_mad_u64_u32 v[4:5], null, 0xcd9e8d57, v8, 0
	v_xor3_b32 v6, v22, v10, v6
	s_delay_alu instid0(VALU_DEP_2) | instskip(NEXT) | instid1(VALU_DEP_2)
	v_xor3_b32 v8, v23, v5, v9
	v_mad_u64_u32 v[17:18], null, 0xd2511f53, v6, 0
	s_delay_alu instid0(VALU_DEP_2) | instskip(NEXT) | instid1(VALU_DEP_2)
	v_mad_u64_u32 v[5:6], null, 0xd2511f53, v8, 0
	v_xor3_b32 v9, v24, v18, v7
	s_delay_alu instid0(VALU_DEP_2) | instskip(NEXT) | instid1(VALU_DEP_2)
	v_xor3_b32 v6, v25, v6, v17
	v_mad_u64_u32 v[7:8], null, 0xcd9e8d57, v9, 0
	s_delay_alu instid0(VALU_DEP_1) | instskip(NEXT) | instid1(VALU_DEP_3)
	v_xor3_b32 v4, v26, v8, v4
	v_mad_u64_u32 v[8:9], null, 0xcd9e8d57, v6, 0
	s_delay_alu instid0(VALU_DEP_2) | instskip(NEXT) | instid1(VALU_DEP_2)
	v_mad_u64_u32 v[17:18], null, 0xd2511f53, v4, 0
	v_xor3_b32 v6, v27, v9, v7
	s_delay_alu instid0(VALU_DEP_2) | instskip(NEXT) | instid1(VALU_DEP_2)
	v_xor3_b32 v9, v28, v18, v5
	v_mad_u64_u32 v[4:5], null, 0xd2511f53, v6, 0
	s_delay_alu instid0(VALU_DEP_2) | instskip(NEXT) | instid1(VALU_DEP_2)
	v_mad_u64_u32 v[6:7], null, 0xcd9e8d57, v9, 0
	v_xor3_b32 v5, v31, v5, v17
	s_delay_alu instid0(VALU_DEP_2) | instskip(NEXT) | instid1(VALU_DEP_2)
	;; [unrolled: 6-line block ×6, first 2 shown]
	v_xor3_b32 v4, v6, v7, v30
	v_mov_b32_e32 v6, v10
	v_cmpx_lt_i32_e32 1, v29
	s_xor_b32 s22, exec_lo, s22
	s_cbranch_execnz .LBB142_12
; %bb.10:                               ;   in Loop: Header=BB142_9 Depth=1
	s_and_not1_saveexec_b32 s22, s22
	s_cbranch_execnz .LBB142_17
.LBB142_11:                             ;   in Loop: Header=BB142_9 Depth=1
	s_or_b32 exec_lo, exec_lo, s22
	s_delay_alu instid0(SALU_CYCLE_1)
	s_mov_b32 s35, exec_lo
	v_cmpx_gt_i64_e64 s[16:17], v[15:16]
	s_cbranch_execnz .LBB142_20
	s_branch .LBB142_34
.LBB142_12:                             ;   in Loop: Header=BB142_9 Depth=1
	s_mov_b32 s23, exec_lo
	v_cmpx_lt_i32_e32 2, v29
	s_xor_b32 s23, exec_lo, s23
; %bb.13:                               ;   in Loop: Header=BB142_9 Depth=1
	v_dual_mov_b32 v7, v3 :: v_dual_mov_b32 v8, v4
	v_mov_b32_e32 v9, v5
	s_delay_alu instid0(VALU_DEP_2) | instskip(NEXT) | instid1(VALU_DEP_2)
	v_dual_mov_b32 v0, v7 :: v_dual_mov_b32 v1, v8
	v_dual_mov_b32 v2, v9 :: v_dual_mov_b32 v3, v10
; %bb.14:                               ;   in Loop: Header=BB142_9 Depth=1
	s_and_not1_saveexec_b32 s23, s23
; %bb.15:                               ;   in Loop: Header=BB142_9 Depth=1
	s_delay_alu instid0(VALU_DEP_1)
	v_dual_mov_b32 v0, v2 :: v_dual_mov_b32 v1, v3
	v_dual_mov_b32 v2, v4 :: v_dual_mov_b32 v3, v5
; %bb.16:                               ;   in Loop: Header=BB142_9 Depth=1
	s_or_b32 exec_lo, exec_lo, s23
	s_and_not1_saveexec_b32 s22, s22
	s_cbranch_execz .LBB142_11
.LBB142_17:                             ;   in Loop: Header=BB142_9 Depth=1
	s_mov_b32 s23, exec_lo
	v_cmpx_eq_u32_e32 1, v29
; %bb.18:                               ;   in Loop: Header=BB142_9 Depth=1
	v_dual_mov_b32 v0, v1 :: v_dual_mov_b32 v1, v2
	v_dual_mov_b32 v2, v3 :: v_dual_mov_b32 v3, v4
; %bb.19:                               ;   in Loop: Header=BB142_9 Depth=1
	s_or_b32 exec_lo, exec_lo, s23
	s_delay_alu instid0(SALU_CYCLE_1) | instskip(NEXT) | instid1(SALU_CYCLE_1)
	s_or_b32 exec_lo, exec_lo, s22
	s_mov_b32 s35, exec_lo
	v_cmpx_gt_i64_e64 s[16:17], v[15:16]
	s_cbranch_execz .LBB142_34
.LBB142_20:                             ;   in Loop: Header=BB142_9 Depth=1
	s_and_not1_b32 vcc_lo, exec_lo, s11
	s_cbranch_vccnz .LBB142_26
; %bb.21:                               ;   in Loop: Header=BB142_9 Depth=1
	v_mov_b32_e32 v7, 0
	s_and_not1_b32 vcc_lo, exec_lo, s29
	s_cbranch_vccnz .LBB142_30
; %bb.22:                               ;   in Loop: Header=BB142_9 Depth=1
	s_and_not1_b32 vcc_lo, exec_lo, s31
	s_mov_b32 s22, 0
	s_cbranch_vccnz .LBB142_27
; %bb.23:                               ;   in Loop: Header=BB142_9 Depth=1
	v_dual_mov_b32 v7, 0 :: v_dual_mov_b32 v8, v15
	s_mov_b32 s36, 0
	s_mov_b64 s[22:23], s[18:19]
	s_mov_b64 s[24:25], s[0:1]
.LBB142_24:                             ;   Parent Loop BB142_9 Depth=1
                                        ; =>  This Inner Loop Header: Depth=2
	s_clause 0x1
	s_load_b256 s[40:47], s[22:23], 0x4
	s_load_b128 s[48:51], s[22:23], 0x24
	s_load_b128 s[52:55], s[24:25], 0x0
	s_add_u32 s22, s22, 48
	s_addc_u32 s23, s23, 0
	s_add_i32 s36, s36, 4
	s_add_u32 s24, s24, 16
	s_addc_u32 s25, s25, 0
	s_cmp_lg_u32 s33, s36
	s_waitcnt lgkmcnt(0)
	v_mul_hi_u32 v9, s41, v8
	s_delay_alu instid0(VALU_DEP_1) | instskip(NEXT) | instid1(VALU_DEP_1)
	v_add_nc_u32_e32 v9, v8, v9
	v_lshrrev_b32_e32 v9, s42, v9
	s_delay_alu instid0(VALU_DEP_1) | instskip(SKIP_1) | instid1(VALU_DEP_2)
	v_mul_hi_u32 v10, s44, v9
	v_mul_lo_u32 v42, v9, s40
	v_add_nc_u32_e32 v10, v9, v10
	s_delay_alu instid0(VALU_DEP_2) | instskip(NEXT) | instid1(VALU_DEP_2)
	v_sub_nc_u32_e32 v42, v8, v42
	v_lshrrev_b32_e32 v10, s45, v10
	s_delay_alu instid0(VALU_DEP_2) | instskip(NEXT) | instid1(VALU_DEP_2)
	v_mul_lo_u32 v42, v42, s52
	v_mul_hi_u32 v14, s47, v10
	v_mul_lo_u32 v43, v10, s43
	s_delay_alu instid0(VALU_DEP_2) | instskip(NEXT) | instid1(VALU_DEP_2)
	v_add_nc_u32_e32 v14, v10, v14
	v_sub_nc_u32_e32 v9, v9, v43
	s_delay_alu instid0(VALU_DEP_2) | instskip(NEXT) | instid1(VALU_DEP_2)
	v_lshrrev_b32_e32 v14, s48, v14
	v_mul_lo_u32 v9, v9, s53
	s_delay_alu instid0(VALU_DEP_2) | instskip(NEXT) | instid1(VALU_DEP_2)
	v_mul_hi_u32 v18, s50, v14
	v_add3_u32 v7, v42, v7, v9
	s_delay_alu instid0(VALU_DEP_2) | instskip(NEXT) | instid1(VALU_DEP_1)
	v_add_nc_u32_e32 v18, v14, v18
	v_lshrrev_b32_e32 v8, s51, v18
	v_mul_lo_u32 v18, v14, s46
	s_delay_alu instid0(VALU_DEP_2) | instskip(NEXT) | instid1(VALU_DEP_2)
	v_mul_lo_u32 v44, v8, s49
	v_sub_nc_u32_e32 v10, v10, v18
	s_delay_alu instid0(VALU_DEP_2) | instskip(NEXT) | instid1(VALU_DEP_2)
	v_sub_nc_u32_e32 v14, v14, v44
	v_mul_lo_u32 v10, v10, s54
	s_delay_alu instid0(VALU_DEP_2) | instskip(NEXT) | instid1(VALU_DEP_1)
	v_mul_lo_u32 v14, v14, s55
	v_add3_u32 v7, v10, v7, v14
	s_cbranch_scc1 .LBB142_24
; %bb.25:                               ;   in Loop: Header=BB142_9 Depth=1
	s_mov_b32 s22, s33
	s_and_not1_b32 vcc_lo, exec_lo, s34
	s_cbranch_vccz .LBB142_28
	s_branch .LBB142_30
.LBB142_26:                             ;   in Loop: Header=BB142_9 Depth=1
                                        ; implicit-def: $vgpr7
	s_branch .LBB142_31
.LBB142_27:                             ;   in Loop: Header=BB142_9 Depth=1
	v_mov_b32_e32 v8, v15
	s_and_not1_b32 vcc_lo, exec_lo, s34
	s_cbranch_vccnz .LBB142_30
.LBB142_28:                             ;   in Loop: Header=BB142_9 Depth=1
	s_lshl_b32 s23, s22, 2
	s_mul_i32 s24, s22, 12
	s_add_u32 s22, s0, s23
	s_addc_u32 s23, s1, 0
	s_add_u32 s24, s18, s24
	s_addc_u32 s25, s19, 0
	s_mov_b32 s36, s30
	.p2align	6
.LBB142_29:                             ;   Parent Loop BB142_9 Depth=1
                                        ; =>  This Inner Loop Header: Depth=2
	s_clause 0x1
	s_load_b64 s[38:39], s[24:25], 0x4
	s_load_b32 s37, s[24:25], 0xc
	s_add_u32 s24, s24, 12
	s_addc_u32 s25, s25, 0
	s_waitcnt lgkmcnt(0)
	v_mul_hi_u32 v9, s39, v8
	s_load_b32 s39, s[22:23], 0x0
	s_add_u32 s22, s22, 4
	s_addc_u32 s23, s23, 0
	s_add_i32 s36, s36, -1
	s_delay_alu instid0(SALU_CYCLE_1) | instskip(NEXT) | instid1(VALU_DEP_1)
	s_cmp_lg_u32 s36, 0
	v_add_nc_u32_e32 v9, v8, v9
	s_delay_alu instid0(VALU_DEP_1) | instskip(NEXT) | instid1(VALU_DEP_1)
	v_lshrrev_b32_e32 v14, s37, v9
	v_mul_lo_u32 v9, v14, s38
	s_delay_alu instid0(VALU_DEP_1) | instskip(SKIP_1) | instid1(VALU_DEP_1)
	v_sub_nc_u32_e32 v8, v8, v9
	s_waitcnt lgkmcnt(0)
	v_mad_u64_u32 v[9:10], null, v8, s39, v[7:8]
	s_delay_alu instid0(VALU_DEP_1)
	v_dual_mov_b32 v8, v14 :: v_dual_mov_b32 v7, v9
	s_cbranch_scc1 .LBB142_29
.LBB142_30:                             ;   in Loop: Header=BB142_9 Depth=1
	s_cbranch_execnz .LBB142_33
.LBB142_31:                             ;   in Loop: Header=BB142_9 Depth=1
	v_mul_hi_u32 v7, v15, s6
	s_and_not1_b32 vcc_lo, exec_lo, s4
	s_delay_alu instid0(VALU_DEP_1) | instskip(NEXT) | instid1(VALU_DEP_1)
	v_add_nc_u32_e32 v7, v7, v15
	v_lshrrev_b32_e32 v8, s7, v7
	s_delay_alu instid0(VALU_DEP_1) | instskip(NEXT) | instid1(VALU_DEP_1)
	v_mul_lo_u32 v7, v8, s5
	v_sub_nc_u32_e32 v7, v15, v7
	s_delay_alu instid0(VALU_DEP_1)
	v_mul_lo_u32 v7, v7, s20
	s_cbranch_vccnz .LBB142_33
; %bb.32:                               ;   in Loop: Header=BB142_9 Depth=1
	v_mul_hi_u32 v9, s9, v8
	s_delay_alu instid0(VALU_DEP_1) | instskip(NEXT) | instid1(VALU_DEP_1)
	v_add_nc_u32_e32 v9, v8, v9
	v_lshrrev_b32_e32 v9, s10, v9
	s_delay_alu instid0(VALU_DEP_1) | instskip(NEXT) | instid1(VALU_DEP_1)
	v_mul_lo_u32 v9, v9, s8
	v_sub_nc_u32_e32 v10, v8, v9
	s_delay_alu instid0(VALU_DEP_1) | instskip(NEXT) | instid1(VALU_DEP_1)
	v_mad_u64_u32 v[8:9], null, v10, s21, v[7:8]
	v_mov_b32_e32 v7, v8
.LBB142_33:                             ;   in Loop: Header=BB142_9 Depth=1
	v_lshrrev_b32_e32 v1, 11, v1
	s_delay_alu instid0(VALU_DEP_1) | instskip(SKIP_1) | instid1(VALU_DEP_2)
	v_cvt_f64_u32_e32 v[8:9], v1
	v_cvt_f64_u32_e32 v[0:1], v0
	v_ldexp_f64 v[8:9], v[8:9], 32
	s_delay_alu instid0(VALU_DEP_1) | instskip(NEXT) | instid1(VALU_DEP_1)
	v_add_f64 v[0:1], v[8:9], v[0:1]
	v_fma_f64 v[0:1], 0x3ca00000, v[0:1], 0x3ca00000
	s_delay_alu instid0(VALU_DEP_1)
	v_cmp_gt_f64_e32 vcc_lo, s[14:15], v[0:1]
	v_cndmask_b32_e64 v14, 0, 0x3ff00000, vcc_lo
	global_store_b64 v7, v[13:14], s[12:13]
.LBB142_34:                             ;   in Loop: Header=BB142_9 Depth=1
	s_or_b32 exec_lo, exec_lo, s35
	v_add_co_u32 v0, vcc_lo, v15, s26
	v_add_co_ci_u32_e32 v1, vcc_lo, 0, v16, vcc_lo
	s_mov_b32 s35, exec_lo
	s_delay_alu instid0(VALU_DEP_1)
	v_cmpx_gt_i64_e64 s[16:17], v[0:1]
	s_cbranch_execz .LBB142_8
; %bb.35:                               ;   in Loop: Header=BB142_9 Depth=1
	s_and_not1_b32 vcc_lo, exec_lo, s11
	s_cbranch_vccnz .LBB142_41
; %bb.36:                               ;   in Loop: Header=BB142_9 Depth=1
	v_mov_b32_e32 v1, 0
	s_and_not1_b32 vcc_lo, exec_lo, s29
	s_cbranch_vccnz .LBB142_45
; %bb.37:                               ;   in Loop: Header=BB142_9 Depth=1
	s_and_not1_b32 vcc_lo, exec_lo, s31
	s_mov_b32 s22, 0
	s_cbranch_vccnz .LBB142_42
; %bb.38:                               ;   in Loop: Header=BB142_9 Depth=1
	v_mov_b32_e32 v1, 0
	v_mov_b32_e32 v7, v0
	s_mov_b32 s36, 0
	s_mov_b64 s[22:23], s[18:19]
	s_mov_b64 s[24:25], s[0:1]
.LBB142_39:                             ;   Parent Loop BB142_9 Depth=1
                                        ; =>  This Inner Loop Header: Depth=2
	s_clause 0x1
	s_load_b256 s[40:47], s[22:23], 0x4
	s_load_b128 s[48:51], s[22:23], 0x24
	s_load_b128 s[52:55], s[24:25], 0x0
	s_add_u32 s22, s22, 48
	s_addc_u32 s23, s23, 0
	s_add_i32 s36, s36, 4
	s_add_u32 s24, s24, 16
	s_addc_u32 s25, s25, 0
	s_cmp_eq_u32 s33, s36
	s_waitcnt lgkmcnt(0)
	v_mul_hi_u32 v8, s41, v7
	s_delay_alu instid0(VALU_DEP_1) | instskip(NEXT) | instid1(VALU_DEP_1)
	v_add_nc_u32_e32 v8, v7, v8
	v_lshrrev_b32_e32 v8, s42, v8
	s_delay_alu instid0(VALU_DEP_1) | instskip(SKIP_1) | instid1(VALU_DEP_2)
	v_mul_hi_u32 v9, s44, v8
	v_mul_lo_u32 v18, v8, s40
	v_add_nc_u32_e32 v9, v8, v9
	s_delay_alu instid0(VALU_DEP_2) | instskip(NEXT) | instid1(VALU_DEP_2)
	v_sub_nc_u32_e32 v18, v7, v18
	v_lshrrev_b32_e32 v9, s45, v9
	s_delay_alu instid0(VALU_DEP_2) | instskip(NEXT) | instid1(VALU_DEP_2)
	v_mul_lo_u32 v18, v18, s52
	v_mul_hi_u32 v10, s47, v9
	v_mul_lo_u32 v42, v9, s43
	s_delay_alu instid0(VALU_DEP_2) | instskip(NEXT) | instid1(VALU_DEP_2)
	v_add_nc_u32_e32 v10, v9, v10
	v_sub_nc_u32_e32 v8, v8, v42
	s_delay_alu instid0(VALU_DEP_2) | instskip(NEXT) | instid1(VALU_DEP_2)
	v_lshrrev_b32_e32 v10, s48, v10
	v_mul_lo_u32 v8, v8, s53
	s_delay_alu instid0(VALU_DEP_2) | instskip(NEXT) | instid1(VALU_DEP_2)
	v_mul_hi_u32 v14, s50, v10
	v_add3_u32 v1, v18, v1, v8
	s_delay_alu instid0(VALU_DEP_2) | instskip(NEXT) | instid1(VALU_DEP_1)
	v_add_nc_u32_e32 v14, v10, v14
	v_lshrrev_b32_e32 v7, s51, v14
	v_mul_lo_u32 v14, v10, s46
	s_delay_alu instid0(VALU_DEP_2) | instskip(NEXT) | instid1(VALU_DEP_2)
	v_mul_lo_u32 v43, v7, s49
	v_sub_nc_u32_e32 v9, v9, v14
	s_delay_alu instid0(VALU_DEP_2) | instskip(NEXT) | instid1(VALU_DEP_2)
	v_sub_nc_u32_e32 v10, v10, v43
	v_mul_lo_u32 v9, v9, s54
	s_delay_alu instid0(VALU_DEP_2) | instskip(NEXT) | instid1(VALU_DEP_1)
	v_mul_lo_u32 v10, v10, s55
	v_add3_u32 v1, v9, v1, v10
	s_cbranch_scc0 .LBB142_39
; %bb.40:                               ;   in Loop: Header=BB142_9 Depth=1
	s_mov_b32 s22, s33
	s_and_not1_b32 vcc_lo, exec_lo, s34
	s_cbranch_vccz .LBB142_43
	s_branch .LBB142_45
.LBB142_41:                             ;   in Loop: Header=BB142_9 Depth=1
                                        ; implicit-def: $vgpr1
	s_branch .LBB142_46
.LBB142_42:                             ;   in Loop: Header=BB142_9 Depth=1
	v_mov_b32_e32 v7, v0
	s_and_not1_b32 vcc_lo, exec_lo, s34
	s_cbranch_vccnz .LBB142_45
.LBB142_43:                             ;   in Loop: Header=BB142_9 Depth=1
	s_lshl_b32 s23, s22, 2
	s_mul_i32 s24, s22, 12
	s_add_u32 s22, s0, s23
	s_addc_u32 s23, s1, 0
	s_add_u32 s24, s18, s24
	s_addc_u32 s25, s19, 0
	s_mov_b32 s36, s30
	.p2align	6
.LBB142_44:                             ;   Parent Loop BB142_9 Depth=1
                                        ; =>  This Inner Loop Header: Depth=2
	s_clause 0x1
	s_load_b64 s[38:39], s[24:25], 0x4
	s_load_b32 s37, s[24:25], 0xc
	s_add_u32 s24, s24, 12
	s_addc_u32 s25, s25, 0
	s_waitcnt lgkmcnt(0)
	v_mul_hi_u32 v8, s39, v7
	s_load_b32 s39, s[22:23], 0x0
	s_add_u32 s22, s22, 4
	s_addc_u32 s23, s23, 0
	s_add_i32 s36, s36, -1
	s_delay_alu instid0(SALU_CYCLE_1) | instskip(NEXT) | instid1(VALU_DEP_1)
	s_cmp_lg_u32 s36, 0
	v_add_nc_u32_e32 v8, v7, v8
	s_delay_alu instid0(VALU_DEP_1) | instskip(NEXT) | instid1(VALU_DEP_1)
	v_lshrrev_b32_e32 v10, s37, v8
	v_mul_lo_u32 v8, v10, s38
	s_delay_alu instid0(VALU_DEP_1) | instskip(SKIP_1) | instid1(VALU_DEP_1)
	v_sub_nc_u32_e32 v7, v7, v8
	s_waitcnt lgkmcnt(0)
	v_mad_u64_u32 v[8:9], null, v7, s39, v[1:2]
	v_mov_b32_e32 v7, v10
	s_delay_alu instid0(VALU_DEP_2)
	v_mov_b32_e32 v1, v8
	s_cbranch_scc1 .LBB142_44
.LBB142_45:                             ;   in Loop: Header=BB142_9 Depth=1
	s_cbranch_execnz .LBB142_7
.LBB142_46:                             ;   in Loop: Header=BB142_9 Depth=1
	v_mul_hi_u32 v1, v0, s6
	s_and_not1_b32 vcc_lo, exec_lo, s4
	s_delay_alu instid0(VALU_DEP_1) | instskip(NEXT) | instid1(VALU_DEP_1)
	v_add_nc_u32_e32 v1, v1, v0
	v_lshrrev_b32_e32 v7, s7, v1
	s_delay_alu instid0(VALU_DEP_1) | instskip(NEXT) | instid1(VALU_DEP_1)
	v_mul_lo_u32 v1, v7, s5
	v_sub_nc_u32_e32 v0, v0, v1
	s_delay_alu instid0(VALU_DEP_1)
	v_mul_lo_u32 v1, v0, s20
	s_cbranch_vccnz .LBB142_7
; %bb.47:                               ;   in Loop: Header=BB142_9 Depth=1
	v_mul_hi_u32 v0, s9, v7
	s_delay_alu instid0(VALU_DEP_1) | instskip(NEXT) | instid1(VALU_DEP_1)
	v_add_nc_u32_e32 v0, v7, v0
	v_lshrrev_b32_e32 v0, s10, v0
	s_delay_alu instid0(VALU_DEP_1) | instskip(NEXT) | instid1(VALU_DEP_1)
	v_mul_lo_u32 v0, v0, s8
	v_sub_nc_u32_e32 v0, v7, v0
	s_delay_alu instid0(VALU_DEP_1) | instskip(NEXT) | instid1(VALU_DEP_1)
	v_mad_u64_u32 v[7:8], null, v0, s21, v[1:2]
	v_mov_b32_e32 v1, v7
	s_branch .LBB142_7
.LBB142_48:
	s_endpgm
.LBB142_49:
                                        ; implicit-def: $sgpr2_sgpr3
	s_branch .LBB142_4
	.section	.rodata,"a",@progbits
	.p2align	6, 0x0
	.amdhsa_kernel _ZN2at6native12_GLOBAL__N_143distribution_elementwise_grid_stride_kernelIdLi2EZNS0_9templates4cuda21uniform_and_transformIddPNS_17CUDAGeneratorImplEZZZNS4_16bernoulli_kernelIS7_EEvRNS_18TensorIteratorBaseEdT_ENKUlvE_clEvENKUlvE4_clEvEUldE_EEvSA_T1_T2_EUlP25hiprandStatePhilox4_32_10E_ZNS1_27distribution_nullary_kernelIdd15HIP_vector_typeIdLj2EES7_SJ_SE_EEvSA_SG_RKT3_T4_EUlidE0_EEvlNS_15PhiloxCudaStateESF_SG_
		.amdhsa_group_segment_fixed_size 0
		.amdhsa_private_segment_fixed_size 0
		.amdhsa_kernarg_size 584
		.amdhsa_user_sgpr_count 15
		.amdhsa_user_sgpr_dispatch_ptr 0
		.amdhsa_user_sgpr_queue_ptr 0
		.amdhsa_user_sgpr_kernarg_segment_ptr 1
		.amdhsa_user_sgpr_dispatch_id 0
		.amdhsa_user_sgpr_private_segment_size 0
		.amdhsa_wavefront_size32 1
		.amdhsa_uses_dynamic_stack 0
		.amdhsa_enable_private_segment 0
		.amdhsa_system_sgpr_workgroup_id_x 1
		.amdhsa_system_sgpr_workgroup_id_y 0
		.amdhsa_system_sgpr_workgroup_id_z 0
		.amdhsa_system_sgpr_workgroup_info 0
		.amdhsa_system_vgpr_workitem_id 0
		.amdhsa_next_free_vgpr 45
		.amdhsa_next_free_sgpr 56
		.amdhsa_reserve_vcc 1
		.amdhsa_float_round_mode_32 0
		.amdhsa_float_round_mode_16_64 0
		.amdhsa_float_denorm_mode_32 3
		.amdhsa_float_denorm_mode_16_64 3
		.amdhsa_dx10_clamp 1
		.amdhsa_ieee_mode 1
		.amdhsa_fp16_overflow 0
		.amdhsa_workgroup_processor_mode 1
		.amdhsa_memory_ordered 1
		.amdhsa_forward_progress 0
		.amdhsa_shared_vgpr_count 0
		.amdhsa_exception_fp_ieee_invalid_op 0
		.amdhsa_exception_fp_denorm_src 0
		.amdhsa_exception_fp_ieee_div_zero 0
		.amdhsa_exception_fp_ieee_overflow 0
		.amdhsa_exception_fp_ieee_underflow 0
		.amdhsa_exception_fp_ieee_inexact 0
		.amdhsa_exception_int_div_zero 0
	.end_amdhsa_kernel
	.section	.text._ZN2at6native12_GLOBAL__N_143distribution_elementwise_grid_stride_kernelIdLi2EZNS0_9templates4cuda21uniform_and_transformIddPNS_17CUDAGeneratorImplEZZZNS4_16bernoulli_kernelIS7_EEvRNS_18TensorIteratorBaseEdT_ENKUlvE_clEvENKUlvE4_clEvEUldE_EEvSA_T1_T2_EUlP25hiprandStatePhilox4_32_10E_ZNS1_27distribution_nullary_kernelIdd15HIP_vector_typeIdLj2EES7_SJ_SE_EEvSA_SG_RKT3_T4_EUlidE0_EEvlNS_15PhiloxCudaStateESF_SG_,"axG",@progbits,_ZN2at6native12_GLOBAL__N_143distribution_elementwise_grid_stride_kernelIdLi2EZNS0_9templates4cuda21uniform_and_transformIddPNS_17CUDAGeneratorImplEZZZNS4_16bernoulli_kernelIS7_EEvRNS_18TensorIteratorBaseEdT_ENKUlvE_clEvENKUlvE4_clEvEUldE_EEvSA_T1_T2_EUlP25hiprandStatePhilox4_32_10E_ZNS1_27distribution_nullary_kernelIdd15HIP_vector_typeIdLj2EES7_SJ_SE_EEvSA_SG_RKT3_T4_EUlidE0_EEvlNS_15PhiloxCudaStateESF_SG_,comdat
.Lfunc_end142:
	.size	_ZN2at6native12_GLOBAL__N_143distribution_elementwise_grid_stride_kernelIdLi2EZNS0_9templates4cuda21uniform_and_transformIddPNS_17CUDAGeneratorImplEZZZNS4_16bernoulli_kernelIS7_EEvRNS_18TensorIteratorBaseEdT_ENKUlvE_clEvENKUlvE4_clEvEUldE_EEvSA_T1_T2_EUlP25hiprandStatePhilox4_32_10E_ZNS1_27distribution_nullary_kernelIdd15HIP_vector_typeIdLj2EES7_SJ_SE_EEvSA_SG_RKT3_T4_EUlidE0_EEvlNS_15PhiloxCudaStateESF_SG_, .Lfunc_end142-_ZN2at6native12_GLOBAL__N_143distribution_elementwise_grid_stride_kernelIdLi2EZNS0_9templates4cuda21uniform_and_transformIddPNS_17CUDAGeneratorImplEZZZNS4_16bernoulli_kernelIS7_EEvRNS_18TensorIteratorBaseEdT_ENKUlvE_clEvENKUlvE4_clEvEUldE_EEvSA_T1_T2_EUlP25hiprandStatePhilox4_32_10E_ZNS1_27distribution_nullary_kernelIdd15HIP_vector_typeIdLj2EES7_SJ_SE_EEvSA_SG_RKT3_T4_EUlidE0_EEvlNS_15PhiloxCudaStateESF_SG_
                                        ; -- End function
	.section	.AMDGPU.csdata,"",@progbits
; Kernel info:
; codeLenInByte = 3952
; NumSgprs: 58
; NumVgprs: 45
; ScratchSize: 0
; MemoryBound: 0
; FloatMode: 240
; IeeeMode: 1
; LDSByteSize: 0 bytes/workgroup (compile time only)
; SGPRBlocks: 7
; VGPRBlocks: 5
; NumSGPRsForWavesPerEU: 58
; NumVGPRsForWavesPerEU: 45
; Occupancy: 16
; WaveLimiterHint : 1
; COMPUTE_PGM_RSRC2:SCRATCH_EN: 0
; COMPUTE_PGM_RSRC2:USER_SGPR: 15
; COMPUTE_PGM_RSRC2:TRAP_HANDLER: 0
; COMPUTE_PGM_RSRC2:TGID_X_EN: 1
; COMPUTE_PGM_RSRC2:TGID_Y_EN: 0
; COMPUTE_PGM_RSRC2:TGID_Z_EN: 0
; COMPUTE_PGM_RSRC2:TIDIG_COMP_CNT: 0
	.section	.text._ZN2at6native12_GLOBAL__N_143distribution_elementwise_grid_stride_kernelIdLi2EZNS0_9templates4cuda21uniform_and_transformIddPNS_17CUDAGeneratorImplEZZZNS4_16bernoulli_kernelIS7_EEvRNS_18TensorIteratorBaseEdT_ENKUlvE_clEvENKUlvE4_clEvEUldE_EEvSA_T1_T2_EUlP25hiprandStatePhilox4_32_10E0_ZNS1_27distribution_nullary_kernelIdd15HIP_vector_typeIfLj4EES7_SJ_SE_EEvSA_SG_RKT3_T4_EUlidE_EEvlNS_15PhiloxCudaStateESF_SG_,"axG",@progbits,_ZN2at6native12_GLOBAL__N_143distribution_elementwise_grid_stride_kernelIdLi2EZNS0_9templates4cuda21uniform_and_transformIddPNS_17CUDAGeneratorImplEZZZNS4_16bernoulli_kernelIS7_EEvRNS_18TensorIteratorBaseEdT_ENKUlvE_clEvENKUlvE4_clEvEUldE_EEvSA_T1_T2_EUlP25hiprandStatePhilox4_32_10E0_ZNS1_27distribution_nullary_kernelIdd15HIP_vector_typeIfLj4EES7_SJ_SE_EEvSA_SG_RKT3_T4_EUlidE_EEvlNS_15PhiloxCudaStateESF_SG_,comdat
	.globl	_ZN2at6native12_GLOBAL__N_143distribution_elementwise_grid_stride_kernelIdLi2EZNS0_9templates4cuda21uniform_and_transformIddPNS_17CUDAGeneratorImplEZZZNS4_16bernoulli_kernelIS7_EEvRNS_18TensorIteratorBaseEdT_ENKUlvE_clEvENKUlvE4_clEvEUldE_EEvSA_T1_T2_EUlP25hiprandStatePhilox4_32_10E0_ZNS1_27distribution_nullary_kernelIdd15HIP_vector_typeIfLj4EES7_SJ_SE_EEvSA_SG_RKT3_T4_EUlidE_EEvlNS_15PhiloxCudaStateESF_SG_ ; -- Begin function _ZN2at6native12_GLOBAL__N_143distribution_elementwise_grid_stride_kernelIdLi2EZNS0_9templates4cuda21uniform_and_transformIddPNS_17CUDAGeneratorImplEZZZNS4_16bernoulli_kernelIS7_EEvRNS_18TensorIteratorBaseEdT_ENKUlvE_clEvENKUlvE4_clEvEUldE_EEvSA_T1_T2_EUlP25hiprandStatePhilox4_32_10E0_ZNS1_27distribution_nullary_kernelIdd15HIP_vector_typeIfLj4EES7_SJ_SE_EEvSA_SG_RKT3_T4_EUlidE_EEvlNS_15PhiloxCudaStateESF_SG_
	.p2align	8
	.type	_ZN2at6native12_GLOBAL__N_143distribution_elementwise_grid_stride_kernelIdLi2EZNS0_9templates4cuda21uniform_and_transformIddPNS_17CUDAGeneratorImplEZZZNS4_16bernoulli_kernelIS7_EEvRNS_18TensorIteratorBaseEdT_ENKUlvE_clEvENKUlvE4_clEvEUldE_EEvSA_T1_T2_EUlP25hiprandStatePhilox4_32_10E0_ZNS1_27distribution_nullary_kernelIdd15HIP_vector_typeIfLj4EES7_SJ_SE_EEvSA_SG_RKT3_T4_EUlidE_EEvlNS_15PhiloxCudaStateESF_SG_,@function
_ZN2at6native12_GLOBAL__N_143distribution_elementwise_grid_stride_kernelIdLi2EZNS0_9templates4cuda21uniform_and_transformIddPNS_17CUDAGeneratorImplEZZZNS4_16bernoulli_kernelIS7_EEvRNS_18TensorIteratorBaseEdT_ENKUlvE_clEvENKUlvE4_clEvEUldE_EEvSA_T1_T2_EUlP25hiprandStatePhilox4_32_10E0_ZNS1_27distribution_nullary_kernelIdd15HIP_vector_typeIfLj4EES7_SJ_SE_EEvSA_SG_RKT3_T4_EUlidE_EEvlNS_15PhiloxCudaStateESF_SG_: ; @_ZN2at6native12_GLOBAL__N_143distribution_elementwise_grid_stride_kernelIdLi2EZNS0_9templates4cuda21uniform_and_transformIddPNS_17CUDAGeneratorImplEZZZNS4_16bernoulli_kernelIS7_EEvRNS_18TensorIteratorBaseEdT_ENKUlvE_clEvENKUlvE4_clEvEUldE_EEvSA_T1_T2_EUlP25hiprandStatePhilox4_32_10E0_ZNS1_27distribution_nullary_kernelIdd15HIP_vector_typeIfLj4EES7_SJ_SE_EEvSA_SG_RKT3_T4_EUlidE_EEvlNS_15PhiloxCudaStateESF_SG_
; %bb.0:
	s_clause 0x2
	s_load_b64 s[8:9], s[0:1], 0x10
	s_load_b128 s[4:7], s[0:1], 0x0
	s_load_b32 s2, s[0:1], 0x20
	s_waitcnt lgkmcnt(0)
	v_dual_mov_b32 v2, s8 :: v_dual_mov_b32 v3, s9
	v_dual_mov_b32 v9, s7 :: v_dual_mov_b32 v8, s6
	s_bitcmp0_b32 s2, 0
	s_mov_b32 s2, 0
	s_cbranch_scc1 .LBB143_2
; %bb.1:
	v_dual_mov_b32 v1, s8 :: v_dual_mov_b32 v2, s9
	v_dual_mov_b32 v4, s6 :: v_dual_mov_b32 v5, s7
	s_load_b64 s[6:7], s[0:1], 0x18
	flat_load_b64 v[2:3], v[1:2]
	flat_load_b64 v[8:9], v[4:5]
	s_waitcnt vmcnt(1) lgkmcnt(0)
	v_add_co_u32 v2, vcc_lo, v2, s6
	v_add_co_ci_u32_e32 v3, vcc_lo, s7, v3, vcc_lo
.LBB143_2:
	s_clause 0x1
	s_load_b32 s3, s[0:1], 0x54
	s_load_b32 s11, s[0:1], 0x48
	s_waitcnt lgkmcnt(0)
	s_and_b32 s10, s3, 0xffff
	s_add_u32 s6, s4, -1
	s_mul_i32 s8, s11, s10
	s_addc_u32 s3, s5, -1
	s_lshl_b32 s9, s8, 1
	s_cmp_lg_u64 s[2:3], 0
	s_cbranch_scc0 .LBB143_23
; %bb.3:
	v_cvt_f32_ubyte0_e32 v1, 0
	v_cvt_f32_u32_e32 v4, s9
	s_sub_u32 s12, 0, s9
	s_subb_u32 s13, 0, 0
	s_delay_alu instid0(VALU_DEP_1) | instskip(NEXT) | instid1(VALU_DEP_1)
	v_fmamk_f32 v1, v1, 0x4f800000, v4
	v_rcp_f32_e32 v1, v1
	s_waitcnt_depctr 0xfff
	v_mul_f32_e32 v1, 0x5f7ffffc, v1
	s_delay_alu instid0(VALU_DEP_1) | instskip(NEXT) | instid1(VALU_DEP_1)
	v_mul_f32_e32 v4, 0x2f800000, v1
	v_trunc_f32_e32 v4, v4
	s_delay_alu instid0(VALU_DEP_1) | instskip(SKIP_1) | instid1(VALU_DEP_2)
	v_fmamk_f32 v1, v4, 0xcf800000, v1
	v_cvt_u32_f32_e32 v4, v4
	v_cvt_u32_f32_e32 v1, v1
	s_delay_alu instid0(VALU_DEP_2) | instskip(NEXT) | instid1(VALU_DEP_2)
	v_readfirstlane_b32 s2, v4
	v_readfirstlane_b32 s7, v1
	s_delay_alu instid0(VALU_DEP_2) | instskip(NEXT) | instid1(VALU_DEP_1)
	s_mul_i32 s14, s12, s2
	s_mul_hi_u32 s17, s12, s7
	s_mul_i32 s16, s13, s7
	s_add_i32 s14, s17, s14
	s_mul_i32 s18, s12, s7
	s_add_i32 s14, s14, s16
	s_mul_hi_u32 s17, s7, s18
	s_mul_hi_u32 s19, s2, s18
	s_mul_i32 s16, s2, s18
	s_mul_hi_u32 s18, s7, s14
	s_mul_i32 s7, s7, s14
	s_mul_hi_u32 s20, s2, s14
	s_add_u32 s7, s17, s7
	s_addc_u32 s17, 0, s18
	s_add_u32 s7, s7, s16
	s_mul_i32 s14, s2, s14
	s_addc_u32 s7, s17, s19
	s_addc_u32 s16, s20, 0
	s_add_u32 s7, s7, s14
	s_addc_u32 s14, 0, s16
	v_add_co_u32 v1, s7, v1, s7
	s_delay_alu instid0(VALU_DEP_1) | instskip(SKIP_1) | instid1(VALU_DEP_1)
	s_cmp_lg_u32 s7, 0
	s_addc_u32 s2, s2, s14
	v_readfirstlane_b32 s7, v1
	s_mul_i32 s14, s12, s2
	s_delay_alu instid0(VALU_DEP_1)
	s_mul_hi_u32 s16, s12, s7
	s_mul_i32 s13, s13, s7
	s_add_i32 s14, s16, s14
	s_mul_i32 s12, s12, s7
	s_add_i32 s14, s14, s13
	s_mul_hi_u32 s16, s2, s12
	s_mul_i32 s17, s2, s12
	s_mul_hi_u32 s12, s7, s12
	s_mul_hi_u32 s18, s7, s14
	s_mul_i32 s7, s7, s14
	s_mul_hi_u32 s13, s2, s14
	s_add_u32 s7, s12, s7
	s_addc_u32 s12, 0, s18
	s_add_u32 s7, s7, s17
	s_mul_i32 s14, s2, s14
	s_addc_u32 s7, s12, s16
	s_addc_u32 s12, s13, 0
	s_add_u32 s7, s7, s14
	s_addc_u32 s12, 0, s12
	v_add_co_u32 v1, s7, v1, s7
	s_delay_alu instid0(VALU_DEP_1) | instskip(SKIP_2) | instid1(VALU_DEP_1)
	s_cmp_lg_u32 s7, 0
	s_addc_u32 s7, s2, s12
	s_ashr_i32 s12, s3, 31
	v_readfirstlane_b32 s14, v1
	s_add_u32 s2, s6, s12
	s_mov_b32 s13, s12
	s_addc_u32 s3, s3, s12
	s_delay_alu instid0(SALU_CYCLE_1) | instskip(NEXT) | instid1(SALU_CYCLE_1)
	s_xor_b64 s[2:3], s[2:3], s[12:13]
	s_mul_i32 s17, s2, s7
	s_mul_hi_u32 s18, s2, s14
	s_mul_hi_u32 s16, s2, s7
	s_mul_hi_u32 s20, s3, s14
	s_mul_i32 s14, s3, s14
	s_add_u32 s17, s18, s17
	s_addc_u32 s16, 0, s16
	s_mul_hi_u32 s19, s3, s7
	s_add_u32 s14, s17, s14
	s_mul_i32 s7, s3, s7
	s_addc_u32 s14, s16, s20
	s_addc_u32 s16, s19, 0
	s_add_u32 s7, s14, s7
	s_addc_u32 s14, 0, s16
	s_mul_i32 s17, s9, s7
	s_add_u32 s16, s7, 1
	v_sub_co_u32 v1, s2, s2, s17
	s_mul_hi_u32 s17, s9, s7
	s_addc_u32 s18, s14, 0
	s_mul_i32 s19, s9, s14
	s_delay_alu instid0(VALU_DEP_1)
	v_sub_co_u32 v4, s20, v1, s9
	s_add_u32 s21, s7, 2
	s_addc_u32 s22, s14, 0
	s_add_i32 s17, s17, s19
	s_cmp_lg_u32 s2, 0
	v_readfirstlane_b32 s2, v4
	s_subb_u32 s3, s3, s17
	s_cmp_lg_u32 s20, 0
	s_subb_u32 s17, s3, 0
	s_delay_alu instid0(VALU_DEP_1) | instskip(SKIP_4) | instid1(SALU_CYCLE_1)
	s_cmp_ge_u32 s2, s9
	s_cselect_b32 s2, -1, 0
	s_cmp_eq_u32 s17, 0
	v_readfirstlane_b32 s17, v1
	s_cselect_b32 s2, s2, -1
	s_cmp_lg_u32 s2, 0
	s_cselect_b32 s2, s21, s16
	s_cselect_b32 s16, s22, s18
	s_cmp_ge_u32 s17, s9
	s_cselect_b32 s17, -1, 0
	s_cmp_eq_u32 s3, 0
	s_cselect_b32 s3, s17, -1
	s_delay_alu instid0(SALU_CYCLE_1) | instskip(SKIP_2) | instid1(SALU_CYCLE_1)
	s_cmp_lg_u32 s3, 0
	s_cselect_b32 s3, s16, s14
	s_cselect_b32 s2, s2, s7
	s_xor_b64 s[2:3], s[2:3], s[12:13]
	s_delay_alu instid0(SALU_CYCLE_1)
	s_sub_u32 s2, s2, s12
	s_subb_u32 s3, s3, s12
	s_cbranch_execnz .LBB143_5
.LBB143_4:
	v_cvt_f32_u32_e32 v1, s9
	s_sub_i32 s3, 0, s9
	s_delay_alu instid0(VALU_DEP_1) | instskip(SKIP_2) | instid1(VALU_DEP_1)
	v_rcp_iflag_f32_e32 v1, v1
	s_waitcnt_depctr 0xfff
	v_mul_f32_e32 v1, 0x4f7ffffe, v1
	v_cvt_u32_f32_e32 v1, v1
	s_delay_alu instid0(VALU_DEP_1) | instskip(NEXT) | instid1(VALU_DEP_1)
	v_readfirstlane_b32 s2, v1
	s_mul_i32 s3, s3, s2
	s_delay_alu instid0(SALU_CYCLE_1) | instskip(NEXT) | instid1(SALU_CYCLE_1)
	s_mul_hi_u32 s3, s2, s3
	s_add_i32 s2, s2, s3
	s_delay_alu instid0(SALU_CYCLE_1) | instskip(NEXT) | instid1(SALU_CYCLE_1)
	s_mul_hi_u32 s2, s6, s2
	s_mul_i32 s3, s2, s9
	s_delay_alu instid0(SALU_CYCLE_1)
	s_sub_i32 s3, s6, s3
	s_add_i32 s6, s2, 1
	s_sub_i32 s7, s3, s9
	s_cmp_ge_u32 s3, s9
	s_cselect_b32 s2, s6, s2
	s_cselect_b32 s3, s7, s3
	s_add_i32 s6, s2, 1
	s_cmp_ge_u32 s3, s9
	s_mov_b32 s3, 0
	s_cselect_b32 s2, s6, s2
.LBB143_5:
	v_mov_b32_e32 v10, 0
	s_add_u32 s2, s2, 1
	s_addc_u32 s3, s3, 0
	s_mul_hi_u32 s6, s11, s10
	s_mul_hi_u32 s7, s8, s2
	v_mov_b32_e32 v1, v10
	s_mul_i32 s3, s8, s3
	s_mul_i32 s6, s6, s2
	s_add_i32 s3, s7, s3
	s_mul_i32 s2, s8, s2
	v_mad_u64_u32 v[12:13], null, s10, s15, v[0:1]
	s_add_i32 s3, s3, s6
	s_mov_b32 s6, exec_lo
	s_lshl_b64 s[2:3], s[2:3], 1
	s_delay_alu instid0(VALU_DEP_1) | instid1(SALU_CYCLE_1)
	v_cmpx_gt_i64_e64 s[2:3], v[12:13]
	s_cbranch_execz .LBB143_22
; %bb.6:
	v_alignbit_b32 v16, v3, v2, 2
	v_mad_u64_u32 v[6:7], null, 0xcd9e8d57, v12, 0
	v_lshrrev_b32_e32 v17, 2, v3
	s_waitcnt vmcnt(0)
	v_mov_b32_e32 v11, v9
	v_mad_u64_u32 v[4:5], null, 0xd2511f53, v16, 0
	v_add_co_u32 v19, null, 0x9e3779b9, v8
	v_xor3_b32 v3, v8, v7, v17
	s_delay_alu instid0(VALU_DEP_4) | instskip(SKIP_2) | instid1(VALU_DEP_4)
	v_add_co_u32 v18, null, 0xbb67ae85, v11
	v_add_co_u32 v20, null, 0x3c6ef372, v8
	v_xor_b32_e32 v1, v5, v9
	v_mad_u64_u32 v[14:15], null, 0xd2511f53, v3, 0
	v_add_co_u32 v21, null, 0x76cf5d0a, v11
	s_delay_alu instid0(VALU_DEP_3) | instskip(SKIP_2) | instid1(VALU_DEP_3)
	v_xor_b32_e32 v1, v1, v13
	v_add_co_u32 v24, null, 0x78dde6e4, v8
	v_add_co_u32 v25, null, 0xed9eba14, v11
	v_mad_u64_u32 v[22:23], null, 0xcd9e8d57, v1, 0
	v_xor3_b32 v1, v18, v15, v4
	v_add_co_u32 v26, null, 0xa9066899, v11
	v_add_co_u32 v27, null, 0x1715609d, v8
	s_delay_alu instid0(VALU_DEP_3) | instskip(SKIP_3) | instid1(VALU_DEP_3)
	v_mad_u64_u32 v[3:4], null, 0xcd9e8d57, v1, 0
	v_xor3_b32 v7, v19, v23, v6
	v_add_co_u32 v23, null, 0xdaa66d2b, v8
	v_add_co_u32 v30, null, 0x1fd5c5a3, v11
	v_mad_u64_u32 v[5:6], null, 0xd2511f53, v7, 0
	v_xor3_b32 v1, v20, v4, v22
	v_add_co_u32 v22, null, 0x32370b8f, v11
	v_add_co_u32 v31, null, 0x5384540f, v8
	s_clause 0x2
	s_load_b64 s[6:7], s[0:1], 0x30
	s_load_b32 s12, s[0:1], 0x38
	s_load_b64 s[0:1], s[0:1], 0x40
	v_xor3_b32 v4, v21, v6, v14
	v_mad_u64_u32 v[6:7], null, 0xd2511f53, v1, 0
	v_add_co_u32 v34, null, 0xf1bbcdc8, v8
	s_delay_alu instid0(VALU_DEP_3) | instskip(SKIP_1) | instid1(VALU_DEP_4)
	v_mad_u64_u32 v[14:15], null, 0xcd9e8d57, v4, 0
	v_dual_mov_b32 v37, v12 :: v_dual_add_nc_u32 v36, 0x96a522ad, v9
	v_xor3_b32 v1, v22, v7, v5
	v_mov_b32_e32 v40, v13
	s_delay_alu instid0(VALU_DEP_4) | instskip(NEXT) | instid1(VALU_DEP_3)
	v_xor3_b32 v5, v23, v15, v3
	v_mad_u64_u32 v[3:4], null, 0xcd9e8d57, v1, 0
	s_delay_alu instid0(VALU_DEP_2) | instskip(NEXT) | instid1(VALU_DEP_2)
	v_mad_u64_u32 v[28:29], null, 0xd2511f53, v5, 0
	v_xor3_b32 v1, v24, v4, v14
	s_delay_alu instid0(VALU_DEP_2) | instskip(NEXT) | instid1(VALU_DEP_2)
	v_xor3_b32 v14, v25, v29, v6
	v_mad_u64_u32 v[4:5], null, 0xd2511f53, v1, 0
	v_add_co_u32 v29, null, 0x646e171e, v11
	s_delay_alu instid0(VALU_DEP_3) | instskip(NEXT) | instid1(VALU_DEP_3)
	v_mad_u64_u32 v[6:7], null, 0xcd9e8d57, v14, 0
	v_xor3_b32 v1, v26, v5, v28
	v_add_co_u32 v28, null, 0xb54cda56, v8
	s_delay_alu instid0(VALU_DEP_3) | instskip(NEXT) | instid1(VALU_DEP_3)
	v_xor3_b32 v3, v27, v7, v3
	v_mad_u64_u32 v[14:15], null, 0xcd9e8d57, v1, 0
	s_delay_alu instid0(VALU_DEP_2) | instskip(NEXT) | instid1(VALU_DEP_2)
	v_mad_u64_u32 v[32:33], null, 0xd2511f53, v3, 0
	v_xor3_b32 v1, v28, v15, v6
	s_delay_alu instid0(VALU_DEP_2) | instskip(NEXT) | instid1(VALU_DEP_2)
	v_xor3_b32 v7, v29, v33, v4
	v_mad_u64_u32 v[3:4], null, 0xd2511f53, v1, 0
	v_add_nc_u32_e32 v33, 0x8ff34781, v8
	s_delay_alu instid0(VALU_DEP_3) | instskip(NEXT) | instid1(VALU_DEP_3)
	v_mad_u64_u32 v[5:6], null, 0xcd9e8d57, v7, 0
	v_xor3_b32 v1, v30, v4, v32
	v_and_b32_e32 v32, 3, v2
	v_add_co_u32 v35, null, 0xdb3d7428, v11
	s_delay_alu instid0(VALU_DEP_4) | instskip(NEXT) | instid1(VALU_DEP_4)
	v_xor3_b32 v2, v31, v6, v14
	v_mad_u64_u32 v[6:7], null, 0xcd9e8d57, v1, 0
	v_mad_u64_u32 v[38:39], null, s15, s10, v[0:1]
	s_delay_alu instid0(VALU_DEP_3) | instskip(SKIP_3) | instid1(VALU_DEP_3)
	v_mad_u64_u32 v[14:15], null, 0xd2511f53, v2, 0
	s_add_i32 s15, s15, s11
	s_waitcnt lgkmcnt(0)
	s_mul_i32 s11, s11, s12
	v_xor3_b32 v1, v34, v7, v5
	s_mul_i32 s11, s11, s10
	s_delay_alu instid0(VALU_DEP_3) | instskip(SKIP_4) | instid1(VALU_DEP_3)
	v_mul_lo_u32 v38, s12, v38
	s_lshl_b32 s11, s11, 1
	v_xor3_b32 v7, v35, v15, v3
	v_mad_u64_u32 v[3:4], null, s15, s10, v[0:1]
	v_mad_u64_u32 v[4:5], null, 0xd2511f53, v1, 0
	;; [unrolled: 1-line block ×3, first 2 shown]
	s_mov_b32 s10, 0
	s_delay_alu instid0(VALU_DEP_3) | instskip(SKIP_1) | instid1(VALU_DEP_3)
	v_mul_lo_u32 v39, s12, v3
	s_mov_b32 s12, 0
	v_mov_b32_e32 v3, v4
	s_delay_alu instid0(VALU_DEP_3)
	v_xor3_b32 v0, v2, v6, v33
	v_xor3_b32 v2, v5, v14, v36
	s_branch .LBB143_8
.LBB143_7:                              ;   in Loop: Header=BB143_8 Depth=1
	s_or_b32 exec_lo, exec_lo, s13
	v_add_co_u32 v12, vcc_lo, v12, s9
	v_add_co_ci_u32_e32 v13, vcc_lo, 0, v13, vcc_lo
	v_mov_b32_e32 v7, v14
	v_dual_mov_b32 v0, v4 :: v_dual_mov_b32 v1, v5
	s_delay_alu instid0(VALU_DEP_3) | instskip(NEXT) | instid1(VALU_DEP_3)
	v_cmp_le_i64_e32 vcc_lo, s[2:3], v[12:13]
	v_dual_mov_b32 v2, v6 :: v_dual_mov_b32 v3, v7
	s_add_i32 s12, s12, s11
	s_waitcnt_vscnt null, 0x0
	s_barrier
	s_or_b32 s10, vcc_lo, s10
	buffer_gl0_inv
	s_and_not1_b32 exec_lo, exec_lo, s10
	s_cbranch_execz .LBB143_22
.LBB143_8:                              ; =>This Inner Loop Header: Depth=1
	v_add_co_u32 v16, vcc_lo, v16, 1
	s_delay_alu instid0(VALU_DEP_1) | instskip(SKIP_2) | instid1(VALU_DEP_1)
	v_cndmask_b32_e64 v4, 0, 1, vcc_lo
	v_add_co_ci_u32_e32 v17, vcc_lo, 0, v17, vcc_lo
	s_mov_b32 s13, exec_lo
	v_cmp_eq_u32_e32 vcc_lo, 0, v17
	s_delay_alu instid0(VALU_DEP_3) | instskip(NEXT) | instid1(VALU_DEP_1)
	v_cndmask_b32_e32 v4, 0, v4, vcc_lo
	v_add_nc_u32_e32 v37, v4, v37
	s_delay_alu instid0(VALU_DEP_1) | instskip(SKIP_2) | instid1(VALU_DEP_2)
	v_cmp_eq_u32_e32 vcc_lo, 0, v37
	v_cndmask_b32_e32 v4, 0, v4, vcc_lo
	v_mad_u64_u32 v[6:7], null, 0xcd9e8d57, v37, 0
	v_add_nc_u32_e32 v40, v4, v40
	v_mad_u64_u32 v[4:5], null, 0xd2511f53, v16, 0
	s_delay_alu instid0(VALU_DEP_3) | instskip(NEXT) | instid1(VALU_DEP_2)
	v_xor3_b32 v7, v7, v8, v17
	v_xor_b32_e32 v5, v5, v9
	s_delay_alu instid0(VALU_DEP_2) | instskip(NEXT) | instid1(VALU_DEP_2)
	v_mad_u64_u32 v[41:42], null, 0xd2511f53, v7, 0
	v_xor_b32_e32 v5, v40, v5
	s_delay_alu instid0(VALU_DEP_2) | instskip(NEXT) | instid1(VALU_DEP_2)
	v_xor3_b32 v11, v18, v42, v4
	v_mad_u64_u32 v[14:15], null, 0xcd9e8d57, v5, 0
	s_delay_alu instid0(VALU_DEP_1) | instskip(NEXT) | instid1(VALU_DEP_1)
	v_xor3_b32 v6, v19, v15, v6
	v_mad_u64_u32 v[4:5], null, 0xd2511f53, v6, 0
	s_delay_alu instid0(VALU_DEP_4) | instskip(NEXT) | instid1(VALU_DEP_2)
	v_mad_u64_u32 v[6:7], null, 0xcd9e8d57, v11, 0
	v_xor3_b32 v5, v21, v5, v41
	s_delay_alu instid0(VALU_DEP_2) | instskip(NEXT) | instid1(VALU_DEP_2)
	v_xor3_b32 v7, v20, v7, v14
	v_mad_u64_u32 v[14:15], null, 0xcd9e8d57, v5, 0
	s_delay_alu instid0(VALU_DEP_2) | instskip(NEXT) | instid1(VALU_DEP_2)
	v_mad_u64_u32 v[41:42], null, 0xd2511f53, v7, 0
	v_xor3_b32 v6, v23, v15, v6
	s_delay_alu instid0(VALU_DEP_2) | instskip(NEXT) | instid1(VALU_DEP_2)
	v_xor3_b32 v11, v22, v42, v4
	v_mad_u64_u32 v[4:5], null, 0xd2511f53, v6, 0
	s_delay_alu instid0(VALU_DEP_2) | instskip(NEXT) | instid1(VALU_DEP_2)
	;; [unrolled: 6-line block ×7, first 2 shown]
	v_mad_u64_u32 v[14:15], null, 0xd2511f53, v11, 0
	v_xor3_b32 v4, v6, v4, v33
	s_delay_alu instid0(VALU_DEP_2)
	v_xor3_b32 v6, v15, v42, v36
	v_cmpx_lt_i32_e32 1, v32
	s_xor_b32 s13, exec_lo, s13
	s_cbranch_execnz .LBB143_14
; %bb.9:                                ;   in Loop: Header=BB143_8 Depth=1
	s_and_not1_saveexec_b32 s13, s13
	s_cbranch_execnz .LBB143_19
.LBB143_10:                             ;   in Loop: Header=BB143_8 Depth=1
	s_or_b32 exec_lo, exec_lo, s13
	s_delay_alu instid0(SALU_CYCLE_1)
	s_mov_b32 s13, exec_lo
	v_cmpx_gt_i64_e64 s[4:5], v[12:13]
	s_cbranch_execz .LBB143_12
.LBB143_11:                             ;   in Loop: Header=BB143_8 Depth=1
	v_cvt_f32_u32_e32 v0, v0
	s_delay_alu instid0(VALU_DEP_1) | instskip(NEXT) | instid1(VALU_DEP_1)
	v_fmaak_f32 v0, 0x2f800000, v0, 0x2f800000
	v_cvt_f64_f32_e32 v[2:3], v0
	v_add_nc_u32_e32 v0, s12, v38
	s_delay_alu instid0(VALU_DEP_1) | instskip(SKIP_1) | instid1(VALU_DEP_2)
	v_ashrrev_i32_e32 v7, 31, v0
	v_add_co_u32 v41, vcc_lo, s6, v0
	v_add_co_ci_u32_e32 v42, vcc_lo, s7, v7, vcc_lo
	v_cmp_gt_f64_e32 vcc_lo, s[0:1], v[2:3]
	v_cndmask_b32_e64 v11, 0, 0x3ff00000, vcc_lo
	global_store_b64 v[41:42], v[10:11], off
.LBB143_12:                             ;   in Loop: Header=BB143_8 Depth=1
	s_or_b32 exec_lo, exec_lo, s13
	v_add_co_u32 v2, vcc_lo, s8, v12
	v_add_co_ci_u32_e32 v3, vcc_lo, 0, v13, vcc_lo
	s_mov_b32 s13, exec_lo
	s_delay_alu instid0(VALU_DEP_1)
	v_cmpx_gt_i64_e64 s[4:5], v[2:3]
	s_cbranch_execz .LBB143_7
; %bb.13:                               ;   in Loop: Header=BB143_8 Depth=1
	v_cvt_f32_u32_e32 v0, v1
	v_add_nc_u32_e32 v2, s12, v39
	s_delay_alu instid0(VALU_DEP_2) | instskip(NEXT) | instid1(VALU_DEP_2)
	v_fmaak_f32 v0, 0x2f800000, v0, 0x2f800000
	v_ashrrev_i32_e32 v3, 31, v2
	v_add_co_u32 v2, vcc_lo, s6, v2
	s_delay_alu instid0(VALU_DEP_3) | instskip(NEXT) | instid1(VALU_DEP_3)
	v_cvt_f64_f32_e32 v[0:1], v0
	v_add_co_ci_u32_e32 v3, vcc_lo, s7, v3, vcc_lo
	s_delay_alu instid0(VALU_DEP_2)
	v_cmp_gt_f64_e32 vcc_lo, s[0:1], v[0:1]
	v_cndmask_b32_e64 v11, 0, 0x3ff00000, vcc_lo
	global_store_b64 v[2:3], v[10:11], off
	s_branch .LBB143_7
.LBB143_14:                             ;   in Loop: Header=BB143_8 Depth=1
	s_mov_b32 s14, exec_lo
	v_cmpx_lt_i32_e32 2, v32
	s_xor_b32 s14, exec_lo, s14
; %bb.15:                               ;   in Loop: Header=BB143_8 Depth=1
	v_dual_mov_b32 v0, v3 :: v_dual_mov_b32 v1, v4
; %bb.16:                               ;   in Loop: Header=BB143_8 Depth=1
	s_and_not1_saveexec_b32 s14, s14
; %bb.17:                               ;   in Loop: Header=BB143_8 Depth=1
	v_dual_mov_b32 v0, v2 :: v_dual_mov_b32 v1, v3
; %bb.18:                               ;   in Loop: Header=BB143_8 Depth=1
	s_or_b32 exec_lo, exec_lo, s14
	s_and_not1_saveexec_b32 s13, s13
	s_cbranch_execz .LBB143_10
.LBB143_19:                             ;   in Loop: Header=BB143_8 Depth=1
	s_mov_b32 s14, exec_lo
	v_cmpx_eq_u32_e32 1, v32
; %bb.20:                               ;   in Loop: Header=BB143_8 Depth=1
	v_dual_mov_b32 v0, v1 :: v_dual_mov_b32 v1, v2
; %bb.21:                               ;   in Loop: Header=BB143_8 Depth=1
	s_or_b32 exec_lo, exec_lo, s14
	s_delay_alu instid0(SALU_CYCLE_1) | instskip(NEXT) | instid1(SALU_CYCLE_1)
	s_or_b32 exec_lo, exec_lo, s13
	s_mov_b32 s13, exec_lo
	v_cmpx_gt_i64_e64 s[4:5], v[12:13]
	s_cbranch_execnz .LBB143_11
	s_branch .LBB143_12
.LBB143_22:
	s_endpgm
.LBB143_23:
                                        ; implicit-def: $sgpr2_sgpr3
	s_branch .LBB143_4
	.section	.rodata,"a",@progbits
	.p2align	6, 0x0
	.amdhsa_kernel _ZN2at6native12_GLOBAL__N_143distribution_elementwise_grid_stride_kernelIdLi2EZNS0_9templates4cuda21uniform_and_transformIddPNS_17CUDAGeneratorImplEZZZNS4_16bernoulli_kernelIS7_EEvRNS_18TensorIteratorBaseEdT_ENKUlvE_clEvENKUlvE4_clEvEUldE_EEvSA_T1_T2_EUlP25hiprandStatePhilox4_32_10E0_ZNS1_27distribution_nullary_kernelIdd15HIP_vector_typeIfLj4EES7_SJ_SE_EEvSA_SG_RKT3_T4_EUlidE_EEvlNS_15PhiloxCudaStateESF_SG_
		.amdhsa_group_segment_fixed_size 0
		.amdhsa_private_segment_fixed_size 0
		.amdhsa_kernarg_size 328
		.amdhsa_user_sgpr_count 15
		.amdhsa_user_sgpr_dispatch_ptr 0
		.amdhsa_user_sgpr_queue_ptr 0
		.amdhsa_user_sgpr_kernarg_segment_ptr 1
		.amdhsa_user_sgpr_dispatch_id 0
		.amdhsa_user_sgpr_private_segment_size 0
		.amdhsa_wavefront_size32 1
		.amdhsa_uses_dynamic_stack 0
		.amdhsa_enable_private_segment 0
		.amdhsa_system_sgpr_workgroup_id_x 1
		.amdhsa_system_sgpr_workgroup_id_y 0
		.amdhsa_system_sgpr_workgroup_id_z 0
		.amdhsa_system_sgpr_workgroup_info 0
		.amdhsa_system_vgpr_workitem_id 0
		.amdhsa_next_free_vgpr 44
		.amdhsa_next_free_sgpr 23
		.amdhsa_reserve_vcc 1
		.amdhsa_float_round_mode_32 0
		.amdhsa_float_round_mode_16_64 0
		.amdhsa_float_denorm_mode_32 3
		.amdhsa_float_denorm_mode_16_64 3
		.amdhsa_dx10_clamp 1
		.amdhsa_ieee_mode 1
		.amdhsa_fp16_overflow 0
		.amdhsa_workgroup_processor_mode 1
		.amdhsa_memory_ordered 1
		.amdhsa_forward_progress 0
		.amdhsa_shared_vgpr_count 0
		.amdhsa_exception_fp_ieee_invalid_op 0
		.amdhsa_exception_fp_denorm_src 0
		.amdhsa_exception_fp_ieee_div_zero 0
		.amdhsa_exception_fp_ieee_overflow 0
		.amdhsa_exception_fp_ieee_underflow 0
		.amdhsa_exception_fp_ieee_inexact 0
		.amdhsa_exception_int_div_zero 0
	.end_amdhsa_kernel
	.section	.text._ZN2at6native12_GLOBAL__N_143distribution_elementwise_grid_stride_kernelIdLi2EZNS0_9templates4cuda21uniform_and_transformIddPNS_17CUDAGeneratorImplEZZZNS4_16bernoulli_kernelIS7_EEvRNS_18TensorIteratorBaseEdT_ENKUlvE_clEvENKUlvE4_clEvEUldE_EEvSA_T1_T2_EUlP25hiprandStatePhilox4_32_10E0_ZNS1_27distribution_nullary_kernelIdd15HIP_vector_typeIfLj4EES7_SJ_SE_EEvSA_SG_RKT3_T4_EUlidE_EEvlNS_15PhiloxCudaStateESF_SG_,"axG",@progbits,_ZN2at6native12_GLOBAL__N_143distribution_elementwise_grid_stride_kernelIdLi2EZNS0_9templates4cuda21uniform_and_transformIddPNS_17CUDAGeneratorImplEZZZNS4_16bernoulli_kernelIS7_EEvRNS_18TensorIteratorBaseEdT_ENKUlvE_clEvENKUlvE4_clEvEUldE_EEvSA_T1_T2_EUlP25hiprandStatePhilox4_32_10E0_ZNS1_27distribution_nullary_kernelIdd15HIP_vector_typeIfLj4EES7_SJ_SE_EEvSA_SG_RKT3_T4_EUlidE_EEvlNS_15PhiloxCudaStateESF_SG_,comdat
.Lfunc_end143:
	.size	_ZN2at6native12_GLOBAL__N_143distribution_elementwise_grid_stride_kernelIdLi2EZNS0_9templates4cuda21uniform_and_transformIddPNS_17CUDAGeneratorImplEZZZNS4_16bernoulli_kernelIS7_EEvRNS_18TensorIteratorBaseEdT_ENKUlvE_clEvENKUlvE4_clEvEUldE_EEvSA_T1_T2_EUlP25hiprandStatePhilox4_32_10E0_ZNS1_27distribution_nullary_kernelIdd15HIP_vector_typeIfLj4EES7_SJ_SE_EEvSA_SG_RKT3_T4_EUlidE_EEvlNS_15PhiloxCudaStateESF_SG_, .Lfunc_end143-_ZN2at6native12_GLOBAL__N_143distribution_elementwise_grid_stride_kernelIdLi2EZNS0_9templates4cuda21uniform_and_transformIddPNS_17CUDAGeneratorImplEZZZNS4_16bernoulli_kernelIS7_EEvRNS_18TensorIteratorBaseEdT_ENKUlvE_clEvENKUlvE4_clEvEUldE_EEvSA_T1_T2_EUlP25hiprandStatePhilox4_32_10E0_ZNS1_27distribution_nullary_kernelIdd15HIP_vector_typeIfLj4EES7_SJ_SE_EEvSA_SG_RKT3_T4_EUlidE_EEvlNS_15PhiloxCudaStateESF_SG_
                                        ; -- End function
	.section	.AMDGPU.csdata,"",@progbits
; Kernel info:
; codeLenInByte = 2652
; NumSgprs: 25
; NumVgprs: 44
; ScratchSize: 0
; MemoryBound: 0
; FloatMode: 240
; IeeeMode: 1
; LDSByteSize: 0 bytes/workgroup (compile time only)
; SGPRBlocks: 3
; VGPRBlocks: 5
; NumSGPRsForWavesPerEU: 25
; NumVGPRsForWavesPerEU: 44
; Occupancy: 16
; WaveLimiterHint : 0
; COMPUTE_PGM_RSRC2:SCRATCH_EN: 0
; COMPUTE_PGM_RSRC2:USER_SGPR: 15
; COMPUTE_PGM_RSRC2:TRAP_HANDLER: 0
; COMPUTE_PGM_RSRC2:TGID_X_EN: 1
; COMPUTE_PGM_RSRC2:TGID_Y_EN: 0
; COMPUTE_PGM_RSRC2:TGID_Z_EN: 0
; COMPUTE_PGM_RSRC2:TIDIG_COMP_CNT: 0
	.section	.text._ZN2at6native12_GLOBAL__N_143distribution_elementwise_grid_stride_kernelIdLi2EZNS0_9templates4cuda21uniform_and_transformIddPNS_17CUDAGeneratorImplEZZZNS4_16bernoulli_kernelIS7_EEvRNS_18TensorIteratorBaseEdT_ENKUlvE_clEvENKUlvE4_clEvEUldE_EEvSA_T1_T2_EUlP25hiprandStatePhilox4_32_10E0_ZNS1_27distribution_nullary_kernelIdd15HIP_vector_typeIfLj4EES7_SJ_SE_EEvSA_SG_RKT3_T4_EUlidE0_EEvlNS_15PhiloxCudaStateESF_SG_,"axG",@progbits,_ZN2at6native12_GLOBAL__N_143distribution_elementwise_grid_stride_kernelIdLi2EZNS0_9templates4cuda21uniform_and_transformIddPNS_17CUDAGeneratorImplEZZZNS4_16bernoulli_kernelIS7_EEvRNS_18TensorIteratorBaseEdT_ENKUlvE_clEvENKUlvE4_clEvEUldE_EEvSA_T1_T2_EUlP25hiprandStatePhilox4_32_10E0_ZNS1_27distribution_nullary_kernelIdd15HIP_vector_typeIfLj4EES7_SJ_SE_EEvSA_SG_RKT3_T4_EUlidE0_EEvlNS_15PhiloxCudaStateESF_SG_,comdat
	.globl	_ZN2at6native12_GLOBAL__N_143distribution_elementwise_grid_stride_kernelIdLi2EZNS0_9templates4cuda21uniform_and_transformIddPNS_17CUDAGeneratorImplEZZZNS4_16bernoulli_kernelIS7_EEvRNS_18TensorIteratorBaseEdT_ENKUlvE_clEvENKUlvE4_clEvEUldE_EEvSA_T1_T2_EUlP25hiprandStatePhilox4_32_10E0_ZNS1_27distribution_nullary_kernelIdd15HIP_vector_typeIfLj4EES7_SJ_SE_EEvSA_SG_RKT3_T4_EUlidE0_EEvlNS_15PhiloxCudaStateESF_SG_ ; -- Begin function _ZN2at6native12_GLOBAL__N_143distribution_elementwise_grid_stride_kernelIdLi2EZNS0_9templates4cuda21uniform_and_transformIddPNS_17CUDAGeneratorImplEZZZNS4_16bernoulli_kernelIS7_EEvRNS_18TensorIteratorBaseEdT_ENKUlvE_clEvENKUlvE4_clEvEUldE_EEvSA_T1_T2_EUlP25hiprandStatePhilox4_32_10E0_ZNS1_27distribution_nullary_kernelIdd15HIP_vector_typeIfLj4EES7_SJ_SE_EEvSA_SG_RKT3_T4_EUlidE0_EEvlNS_15PhiloxCudaStateESF_SG_
	.p2align	8
	.type	_ZN2at6native12_GLOBAL__N_143distribution_elementwise_grid_stride_kernelIdLi2EZNS0_9templates4cuda21uniform_and_transformIddPNS_17CUDAGeneratorImplEZZZNS4_16bernoulli_kernelIS7_EEvRNS_18TensorIteratorBaseEdT_ENKUlvE_clEvENKUlvE4_clEvEUldE_EEvSA_T1_T2_EUlP25hiprandStatePhilox4_32_10E0_ZNS1_27distribution_nullary_kernelIdd15HIP_vector_typeIfLj4EES7_SJ_SE_EEvSA_SG_RKT3_T4_EUlidE0_EEvlNS_15PhiloxCudaStateESF_SG_,@function
_ZN2at6native12_GLOBAL__N_143distribution_elementwise_grid_stride_kernelIdLi2EZNS0_9templates4cuda21uniform_and_transformIddPNS_17CUDAGeneratorImplEZZZNS4_16bernoulli_kernelIS7_EEvRNS_18TensorIteratorBaseEdT_ENKUlvE_clEvENKUlvE4_clEvEUldE_EEvSA_T1_T2_EUlP25hiprandStatePhilox4_32_10E0_ZNS1_27distribution_nullary_kernelIdd15HIP_vector_typeIfLj4EES7_SJ_SE_EEvSA_SG_RKT3_T4_EUlidE0_EEvlNS_15PhiloxCudaStateESF_SG_: ; @_ZN2at6native12_GLOBAL__N_143distribution_elementwise_grid_stride_kernelIdLi2EZNS0_9templates4cuda21uniform_and_transformIddPNS_17CUDAGeneratorImplEZZZNS4_16bernoulli_kernelIS7_EEvRNS_18TensorIteratorBaseEdT_ENKUlvE_clEvENKUlvE4_clEvEUldE_EEvSA_T1_T2_EUlP25hiprandStatePhilox4_32_10E0_ZNS1_27distribution_nullary_kernelIdd15HIP_vector_typeIfLj4EES7_SJ_SE_EEvSA_SG_RKT3_T4_EUlidE0_EEvlNS_15PhiloxCudaStateESF_SG_
; %bb.0:
	s_clause 0x2
	s_load_b64 s[4:5], s[0:1], 0x10
	s_load_b128 s[16:19], s[0:1], 0x0
	s_load_b32 s2, s[0:1], 0x20
	s_waitcnt lgkmcnt(0)
	v_dual_mov_b32 v2, s4 :: v_dual_mov_b32 v3, s5
	v_dual_mov_b32 v8, s18 :: v_dual_mov_b32 v9, s19
	s_bitcmp0_b32 s2, 0
	s_mov_b32 s2, 0
	s_cbranch_scc1 .LBB144_2
; %bb.1:
	v_dual_mov_b32 v1, s4 :: v_dual_mov_b32 v2, s5
	v_dual_mov_b32 v4, s18 :: v_dual_mov_b32 v5, s19
	s_load_b64 s[4:5], s[0:1], 0x18
	flat_load_b64 v[2:3], v[1:2]
	flat_load_b64 v[8:9], v[4:5]
	s_waitcnt vmcnt(1) lgkmcnt(0)
	v_add_co_u32 v2, vcc_lo, v2, s4
	v_add_co_ci_u32_e32 v3, vcc_lo, s5, v3, vcc_lo
.LBB144_2:
	s_clause 0x1
	s_load_b32 s3, s[0:1], 0x154
	s_load_b32 s5, s[0:1], 0x148
	s_waitcnt lgkmcnt(0)
	s_and_b32 s4, s3, 0xffff
	s_add_u32 s6, s16, -1
	s_mul_i32 s26, s5, s4
	s_addc_u32 s3, s17, -1
	s_lshl_b32 s27, s26, 1
	s_cmp_lg_u64 s[2:3], 0
	s_cbranch_scc0 .LBB144_49
; %bb.3:
	v_cvt_f32_ubyte0_e32 v1, 0
	v_cvt_f32_u32_e32 v4, s27
	s_sub_u32 s8, 0, s27
	s_subb_u32 s9, 0, 0
	s_delay_alu instid0(VALU_DEP_1) | instskip(NEXT) | instid1(VALU_DEP_1)
	v_fmamk_f32 v1, v1, 0x4f800000, v4
	v_rcp_f32_e32 v1, v1
	s_waitcnt_depctr 0xfff
	v_mul_f32_e32 v1, 0x5f7ffffc, v1
	s_delay_alu instid0(VALU_DEP_1) | instskip(NEXT) | instid1(VALU_DEP_1)
	v_mul_f32_e32 v4, 0x2f800000, v1
	v_trunc_f32_e32 v4, v4
	s_delay_alu instid0(VALU_DEP_1) | instskip(SKIP_1) | instid1(VALU_DEP_2)
	v_fmamk_f32 v1, v4, 0xcf800000, v1
	v_cvt_u32_f32_e32 v4, v4
	v_cvt_u32_f32_e32 v1, v1
	s_delay_alu instid0(VALU_DEP_2) | instskip(NEXT) | instid1(VALU_DEP_2)
	v_readfirstlane_b32 s2, v4
	v_readfirstlane_b32 s7, v1
	s_delay_alu instid0(VALU_DEP_2) | instskip(NEXT) | instid1(VALU_DEP_1)
	s_mul_i32 s10, s8, s2
	s_mul_hi_u32 s12, s8, s7
	s_mul_i32 s11, s9, s7
	s_add_i32 s10, s12, s10
	s_mul_i32 s13, s8, s7
	s_add_i32 s10, s10, s11
	s_mul_hi_u32 s12, s7, s13
	s_mul_hi_u32 s14, s2, s13
	s_mul_i32 s11, s2, s13
	s_mul_hi_u32 s13, s7, s10
	s_mul_i32 s7, s7, s10
	s_mul_hi_u32 s18, s2, s10
	s_add_u32 s7, s12, s7
	s_addc_u32 s12, 0, s13
	s_add_u32 s7, s7, s11
	s_mul_i32 s10, s2, s10
	s_addc_u32 s7, s12, s14
	s_addc_u32 s11, s18, 0
	s_add_u32 s7, s7, s10
	s_addc_u32 s10, 0, s11
	v_add_co_u32 v1, s7, v1, s7
	s_delay_alu instid0(VALU_DEP_1) | instskip(SKIP_1) | instid1(VALU_DEP_1)
	s_cmp_lg_u32 s7, 0
	s_addc_u32 s2, s2, s10
	v_readfirstlane_b32 s7, v1
	s_mul_i32 s10, s8, s2
	s_delay_alu instid0(VALU_DEP_1)
	s_mul_hi_u32 s11, s8, s7
	s_mul_i32 s9, s9, s7
	s_add_i32 s10, s11, s10
	s_mul_i32 s8, s8, s7
	s_add_i32 s10, s10, s9
	s_mul_hi_u32 s11, s2, s8
	s_mul_i32 s12, s2, s8
	s_mul_hi_u32 s8, s7, s8
	s_mul_hi_u32 s13, s7, s10
	s_mul_i32 s7, s7, s10
	s_mul_hi_u32 s9, s2, s10
	s_add_u32 s7, s8, s7
	s_addc_u32 s8, 0, s13
	s_add_u32 s7, s7, s12
	s_mul_i32 s10, s2, s10
	s_addc_u32 s7, s8, s11
	s_addc_u32 s8, s9, 0
	s_add_u32 s7, s7, s10
	s_addc_u32 s8, 0, s8
	v_add_co_u32 v1, s7, v1, s7
	s_delay_alu instid0(VALU_DEP_1) | instskip(SKIP_2) | instid1(VALU_DEP_1)
	s_cmp_lg_u32 s7, 0
	s_addc_u32 s7, s2, s8
	s_ashr_i32 s8, s3, 31
	v_readfirstlane_b32 s10, v1
	s_add_u32 s2, s6, s8
	s_mov_b32 s9, s8
	s_addc_u32 s3, s3, s8
	s_delay_alu instid0(SALU_CYCLE_1) | instskip(NEXT) | instid1(SALU_CYCLE_1)
	s_xor_b64 s[2:3], s[2:3], s[8:9]
	s_mul_i32 s12, s2, s7
	s_mul_hi_u32 s13, s2, s10
	s_mul_hi_u32 s11, s2, s7
	;; [unrolled: 1-line block ×3, first 2 shown]
	s_mul_i32 s10, s3, s10
	s_add_u32 s12, s13, s12
	s_addc_u32 s11, 0, s11
	s_mul_hi_u32 s14, s3, s7
	s_add_u32 s10, s12, s10
	s_mul_i32 s7, s3, s7
	s_addc_u32 s10, s11, s18
	s_addc_u32 s11, s14, 0
	s_add_u32 s7, s10, s7
	s_addc_u32 s10, 0, s11
	s_mul_i32 s12, s27, s7
	s_add_u32 s11, s7, 1
	v_sub_co_u32 v1, s2, s2, s12
	s_mul_hi_u32 s12, s27, s7
	s_addc_u32 s13, s10, 0
	s_mul_i32 s14, s27, s10
	s_delay_alu instid0(VALU_DEP_1)
	v_sub_co_u32 v4, s18, v1, s27
	s_add_u32 s19, s7, 2
	s_addc_u32 s20, s10, 0
	s_add_i32 s12, s12, s14
	s_cmp_lg_u32 s2, 0
	v_readfirstlane_b32 s2, v4
	s_subb_u32 s3, s3, s12
	s_cmp_lg_u32 s18, 0
	s_subb_u32 s12, s3, 0
	s_delay_alu instid0(VALU_DEP_1) | instskip(SKIP_4) | instid1(SALU_CYCLE_1)
	s_cmp_ge_u32 s2, s27
	s_cselect_b32 s2, -1, 0
	s_cmp_eq_u32 s12, 0
	v_readfirstlane_b32 s12, v1
	s_cselect_b32 s2, s2, -1
	s_cmp_lg_u32 s2, 0
	s_cselect_b32 s2, s19, s11
	s_cselect_b32 s11, s20, s13
	s_cmp_ge_u32 s12, s27
	s_cselect_b32 s12, -1, 0
	s_cmp_eq_u32 s3, 0
	s_cselect_b32 s3, s12, -1
	s_delay_alu instid0(SALU_CYCLE_1) | instskip(SKIP_2) | instid1(SALU_CYCLE_1)
	s_cmp_lg_u32 s3, 0
	s_cselect_b32 s3, s11, s10
	s_cselect_b32 s2, s2, s7
	s_xor_b64 s[2:3], s[2:3], s[8:9]
	s_delay_alu instid0(SALU_CYCLE_1)
	s_sub_u32 s2, s2, s8
	s_subb_u32 s3, s3, s8
	s_cbranch_execnz .LBB144_5
.LBB144_4:
	v_cvt_f32_u32_e32 v1, s27
	s_sub_i32 s3, 0, s27
	s_delay_alu instid0(VALU_DEP_1) | instskip(SKIP_2) | instid1(VALU_DEP_1)
	v_rcp_iflag_f32_e32 v1, v1
	s_waitcnt_depctr 0xfff
	v_mul_f32_e32 v1, 0x4f7ffffe, v1
	v_cvt_u32_f32_e32 v1, v1
	s_delay_alu instid0(VALU_DEP_1) | instskip(NEXT) | instid1(VALU_DEP_1)
	v_readfirstlane_b32 s2, v1
	s_mul_i32 s3, s3, s2
	s_delay_alu instid0(SALU_CYCLE_1) | instskip(NEXT) | instid1(SALU_CYCLE_1)
	s_mul_hi_u32 s3, s2, s3
	s_add_i32 s2, s2, s3
	s_delay_alu instid0(SALU_CYCLE_1) | instskip(NEXT) | instid1(SALU_CYCLE_1)
	s_mul_hi_u32 s2, s6, s2
	s_mul_i32 s3, s2, s27
	s_delay_alu instid0(SALU_CYCLE_1)
	s_sub_i32 s3, s6, s3
	s_add_i32 s6, s2, 1
	s_sub_i32 s7, s3, s27
	s_cmp_ge_u32 s3, s27
	s_cselect_b32 s2, s6, s2
	s_cselect_b32 s3, s7, s3
	s_add_i32 s6, s2, 1
	s_cmp_ge_u32 s3, s27
	s_mov_b32 s3, 0
	s_cselect_b32 s2, s6, s2
.LBB144_5:
	v_mov_b32_e32 v10, 0
	s_add_u32 s2, s2, 1
	s_addc_u32 s3, s3, 0
	s_mul_hi_u32 s5, s5, s4
	s_mul_hi_u32 s6, s26, s2
	v_mov_b32_e32 v1, v10
	s_mul_i32 s3, s26, s3
	s_mul_i32 s5, s5, s2
	s_add_i32 s3, s6, s3
	s_mul_i32 s2, s26, s2
	v_mad_u64_u32 v[12:13], null, s4, s15, v[0:1]
	s_add_i32 s3, s3, s5
	s_mov_b32 s4, exec_lo
	s_lshl_b64 s[2:3], s[2:3], 1
	s_delay_alu instid0(VALU_DEP_1) | instid1(SALU_CYCLE_1)
	v_cmpx_gt_i64_e64 s[2:3], v[12:13]
	s_cbranch_execz .LBB144_48
; %bb.6:
	v_alignbit_b32 v16, v3, v2, 2
	v_mad_u64_u32 v[4:5], null, 0xcd9e8d57, v12, 0
	v_lshrrev_b32_e32 v17, 2, v3
	s_waitcnt vmcnt(0)
	v_dual_mov_b32 v11, v9 :: v_dual_and_b32 v26, 3, v2
	v_mad_u64_u32 v[0:1], null, 0xd2511f53, v16, 0
	v_add_co_u32 v19, null, 0x9e3779b9, v8
	v_xor3_b32 v3, v8, v5, v17
	s_delay_alu instid0(VALU_DEP_4) | instskip(SKIP_2) | instid1(VALU_DEP_4)
	v_add_co_u32 v18, null, 0xbb67ae85, v11
	v_add_co_u32 v20, null, 0x3c6ef372, v8
	v_xor_b32_e32 v1, v1, v9
	v_mad_u64_u32 v[5:6], null, 0xd2511f53, v3, 0
	v_add_co_u32 v21, null, 0x76cf5d0a, v11
	s_delay_alu instid0(VALU_DEP_3) | instskip(SKIP_2) | instid1(VALU_DEP_3)
	v_xor_b32_e32 v1, v1, v13
	v_add_co_u32 v22, null, 0x32370b8f, v11
	v_add_co_u32 v23, null, 0xdaa66d2b, v8
	v_mad_u64_u32 v[14:15], null, 0xcd9e8d57, v1, 0
	v_xor3_b32 v3, v18, v6, v0
	v_add_co_u32 v24, null, 0x78dde6e4, v8
	v_add_co_u32 v25, null, 0xed9eba14, v11
	s_delay_alu instid0(VALU_DEP_3) | instskip(SKIP_3) | instid1(VALU_DEP_3)
	v_mad_u64_u32 v[0:1], null, 0xcd9e8d57, v3, 0
	v_xor3_b32 v6, v19, v15, v4
	v_add_co_u32 v28, null, 0xa9066899, v11
	v_add_co_u32 v29, null, 0x1715609d, v8
	v_mad_u64_u32 v[3:4], null, 0xd2511f53, v6, 0
	v_xor3_b32 v1, v20, v1, v14
	v_add_co_u32 v31, null, 0xb54cda56, v8
	v_add_co_u32 v32, null, 0x646e171e, v11
	s_load_b256 s[4:11], s[0:1], 0x30
	s_delay_alu instid0(VALU_DEP_4) | instskip(SKIP_2) | instid1(VALU_DEP_3)
	v_xor3_b32 v14, v21, v4, v5
	v_mad_u64_u32 v[4:5], null, 0xd2511f53, v1, 0
	v_add_co_u32 v30, null, 0x5384540f, v8
	v_mad_u64_u32 v[6:7], null, 0xcd9e8d57, v14, 0
	v_add_co_u32 v34, null, 0x1fd5c5a3, v11
	s_delay_alu instid0(VALU_DEP_4) | instskip(SKIP_3) | instid1(VALU_DEP_4)
	v_xor3_b32 v3, v22, v5, v3
	v_add_co_u32 v33, null, 0xf1bbcdc8, v8
	v_add_co_u32 v35, null, 0xdb3d7428, v11
	v_xor3_b32 v5, v23, v7, v0
	v_mad_u64_u32 v[0:1], null, 0xcd9e8d57, v3, 0
	s_add_u32 s18, s0, 48
	s_clause 0x1
	s_load_b64 s[20:21], s[0:1], 0xf4
	s_load_b128 s[12:15], s[0:1], 0x138
	v_mad_u64_u32 v[14:15], null, 0xd2511f53, v5, 0
	s_addc_u32 s19, s1, 0
	s_waitcnt lgkmcnt(0)
	s_add_i32 s22, s4, -1
	v_xor3_b32 v3, v24, v1, v6
	s_cmp_gt_u32 s22, 1
	v_dual_mov_b32 v38, v13 :: v_dual_add_nc_u32 v27, 0x8ff34781, v8
	s_delay_alu instid0(VALU_DEP_3) | instskip(NEXT) | instid1(VALU_DEP_3)
	v_xor3_b32 v5, v25, v15, v4
	v_mad_u64_u32 v[1:2], null, 0xd2511f53, v3, 0
	s_cselect_b32 s11, -1, 0
	s_cmp_lg_u32 s4, 0
	s_delay_alu instid0(VALU_DEP_2) | instskip(SKIP_2) | instid1(VALU_DEP_2)
	v_mad_u64_u32 v[3:4], null, 0xcd9e8d57, v5, 0
	s_cselect_b32 s29, -1, 0
	s_add_u32 s0, s0, 0xf4
	v_xor3_b32 v2, v28, v2, v14
	s_addc_u32 s1, s1, 0
	s_min_u32 s23, s22, 15
	s_cmp_gt_u32 s4, 1
	s_delay_alu instid0(VALU_DEP_2) | instskip(SKIP_3) | instid1(VALU_DEP_2)
	v_xor3_b32 v0, v29, v4, v0
	v_mad_u64_u32 v[4:5], null, 0xcd9e8d57, v2, 0
	s_cselect_b32 s4, -1, 0
	s_add_i32 s23, s23, 1
	v_mad_u64_u32 v[6:7], null, 0xd2511f53, v0, 0
	v_dual_mov_b32 v37, v12 :: v_dual_add_nc_u32 v36, 0x96a522ad, v9
	s_delay_alu instid0(VALU_DEP_3) | instskip(SKIP_3) | instid1(VALU_DEP_3)
	v_xor3_b32 v2, v31, v5, v3
	s_and_b32 s30, s23, 3
	s_cmp_lg_u32 s22, 2
	s_mov_b32 s28, 0
	v_xor3_b32 v5, v32, v7, v1
	v_mad_u64_u32 v[0:1], null, 0xd2511f53, v2, 0
	s_cselect_b32 s31, -1, 0
	s_and_b32 s33, s23, 28
	s_delay_alu instid0(VALU_DEP_2) | instskip(SKIP_1) | instid1(VALU_DEP_2)
	v_mad_u64_u32 v[2:3], null, 0xcd9e8d57, v5, 0
	s_cmp_lg_u32 s30, 0
	v_xor3_b32 v1, v34, v1, v6
	s_cselect_b32 s34, -1, 0
	s_delay_alu instid0(VALU_DEP_2) | instskip(NEXT) | instid1(VALU_DEP_2)
	v_xor3_b32 v3, v30, v3, v4
	v_mad_u64_u32 v[4:5], null, 0xcd9e8d57, v1, 0
	s_delay_alu instid0(VALU_DEP_2) | instskip(NEXT) | instid1(VALU_DEP_2)
	v_mad_u64_u32 v[6:7], null, 0xd2511f53, v3, 0
	v_xor3_b32 v1, v33, v5, v2
	s_delay_alu instid0(VALU_DEP_2) | instskip(NEXT) | instid1(VALU_DEP_2)
	v_xor3_b32 v0, v35, v7, v0
	v_mad_u64_u32 v[14:15], null, 0xd2511f53, v1, 0
	s_delay_alu instid0(VALU_DEP_2) | instskip(NEXT) | instid1(VALU_DEP_2)
	v_mad_u64_u32 v[1:2], null, 0xcd9e8d57, v0, 0
	v_mov_b32_e32 v3, v14
	s_delay_alu instid0(VALU_DEP_2) | instskip(NEXT) | instid1(VALU_DEP_4)
	v_xor3_b32 v0, v2, v4, v27
	v_xor3_b32 v2, v15, v6, v36
	s_branch .LBB144_9
.LBB144_7:                              ;   in Loop: Header=BB144_9 Depth=1
	v_cvt_f32_u32_e32 v1, v1
	s_delay_alu instid0(VALU_DEP_1) | instskip(NEXT) | instid1(VALU_DEP_1)
	v_fmaak_f32 v1, 0x2f800000, v1, 0x2f800000
	v_cvt_f64_f32_e32 v[1:2], v1
	s_delay_alu instid0(VALU_DEP_1)
	v_cmp_gt_f64_e32 vcc_lo, s[14:15], v[1:2]
	v_cndmask_b32_e64 v11, 0, 0x3ff00000, vcc_lo
	global_store_b64 v0, v[10:11], s[12:13]
.LBB144_8:                              ;   in Loop: Header=BB144_9 Depth=1
	s_or_b32 exec_lo, exec_lo, s35
	v_add_co_u32 v12, vcc_lo, v12, s27
	v_add_co_ci_u32_e32 v13, vcc_lo, 0, v13, vcc_lo
	v_mov_b32_e32 v7, v14
	v_dual_mov_b32 v0, v4 :: v_dual_mov_b32 v1, v5
	s_delay_alu instid0(VALU_DEP_3) | instskip(NEXT) | instid1(VALU_DEP_3)
	v_cmp_le_i64_e32 vcc_lo, s[2:3], v[12:13]
	v_dual_mov_b32 v2, v6 :: v_dual_mov_b32 v3, v7
	s_waitcnt_vscnt null, 0x0
	s_barrier
	buffer_gl0_inv
	s_or_b32 s28, vcc_lo, s28
	s_delay_alu instid0(SALU_CYCLE_1)
	s_and_not1_b32 exec_lo, exec_lo, s28
	s_cbranch_execz .LBB144_48
.LBB144_9:                              ; =>This Loop Header: Depth=1
                                        ;     Child Loop BB144_24 Depth 2
                                        ;     Child Loop BB144_29 Depth 2
                                        ;     Child Loop BB144_39 Depth 2
                                        ;     Child Loop BB144_44 Depth 2
	v_add_co_u32 v16, vcc_lo, v16, 1
	s_delay_alu instid0(VALU_DEP_1) | instskip(SKIP_2) | instid1(VALU_DEP_1)
	v_cndmask_b32_e64 v4, 0, 1, vcc_lo
	v_add_co_ci_u32_e32 v17, vcc_lo, 0, v17, vcc_lo
	s_mov_b32 s22, exec_lo
	v_cmp_eq_u32_e32 vcc_lo, 0, v17
	s_delay_alu instid0(VALU_DEP_3) | instskip(NEXT) | instid1(VALU_DEP_1)
	v_cndmask_b32_e32 v4, 0, v4, vcc_lo
	v_add_nc_u32_e32 v37, v4, v37
	s_delay_alu instid0(VALU_DEP_1) | instskip(SKIP_2) | instid1(VALU_DEP_2)
	v_cmp_eq_u32_e32 vcc_lo, 0, v37
	v_cndmask_b32_e32 v4, 0, v4, vcc_lo
	v_mad_u64_u32 v[6:7], null, 0xcd9e8d57, v37, 0
	v_add_nc_u32_e32 v38, v4, v38
	v_mad_u64_u32 v[4:5], null, 0xd2511f53, v16, 0
	s_delay_alu instid0(VALU_DEP_3) | instskip(NEXT) | instid1(VALU_DEP_2)
	v_xor3_b32 v7, v7, v8, v17
	v_xor_b32_e32 v5, v5, v9
	s_delay_alu instid0(VALU_DEP_2) | instskip(NEXT) | instid1(VALU_DEP_2)
	v_mad_u64_u32 v[39:40], null, 0xd2511f53, v7, 0
	v_xor_b32_e32 v5, v38, v5
	s_delay_alu instid0(VALU_DEP_2) | instskip(NEXT) | instid1(VALU_DEP_2)
	v_xor3_b32 v11, v18, v40, v4
	v_mad_u64_u32 v[14:15], null, 0xcd9e8d57, v5, 0
	s_delay_alu instid0(VALU_DEP_1) | instskip(NEXT) | instid1(VALU_DEP_1)
	v_xor3_b32 v6, v19, v15, v6
	v_mad_u64_u32 v[4:5], null, 0xd2511f53, v6, 0
	s_delay_alu instid0(VALU_DEP_4) | instskip(NEXT) | instid1(VALU_DEP_2)
	v_mad_u64_u32 v[6:7], null, 0xcd9e8d57, v11, 0
	v_xor3_b32 v5, v21, v5, v39
	s_delay_alu instid0(VALU_DEP_2) | instskip(NEXT) | instid1(VALU_DEP_2)
	v_xor3_b32 v7, v20, v7, v14
	v_mad_u64_u32 v[14:15], null, 0xcd9e8d57, v5, 0
	s_delay_alu instid0(VALU_DEP_2) | instskip(NEXT) | instid1(VALU_DEP_2)
	v_mad_u64_u32 v[39:40], null, 0xd2511f53, v7, 0
	v_xor3_b32 v6, v23, v15, v6
	s_delay_alu instid0(VALU_DEP_2) | instskip(NEXT) | instid1(VALU_DEP_2)
	v_xor3_b32 v11, v22, v40, v4
	v_mad_u64_u32 v[4:5], null, 0xd2511f53, v6, 0
	s_delay_alu instid0(VALU_DEP_2) | instskip(NEXT) | instid1(VALU_DEP_2)
	v_mad_u64_u32 v[6:7], null, 0xcd9e8d57, v11, 0
	v_xor3_b32 v5, v25, v5, v39
	s_delay_alu instid0(VALU_DEP_2) | instskip(NEXT) | instid1(VALU_DEP_2)
	v_xor3_b32 v7, v24, v7, v14
	v_mad_u64_u32 v[14:15], null, 0xcd9e8d57, v5, 0
	s_delay_alu instid0(VALU_DEP_2) | instskip(NEXT) | instid1(VALU_DEP_2)
	v_mad_u64_u32 v[39:40], null, 0xd2511f53, v7, 0
	v_xor3_b32 v6, v29, v15, v6
	s_delay_alu instid0(VALU_DEP_2) | instskip(NEXT) | instid1(VALU_DEP_2)
	v_xor3_b32 v11, v28, v40, v4
	v_mad_u64_u32 v[4:5], null, 0xd2511f53, v6, 0
	s_delay_alu instid0(VALU_DEP_2) | instskip(NEXT) | instid1(VALU_DEP_2)
	v_mad_u64_u32 v[6:7], null, 0xcd9e8d57, v11, 0
	v_xor3_b32 v5, v32, v5, v39
	s_delay_alu instid0(VALU_DEP_2) | instskip(NEXT) | instid1(VALU_DEP_2)
	v_xor3_b32 v7, v31, v7, v14
	v_mad_u64_u32 v[14:15], null, 0xcd9e8d57, v5, 0
	s_delay_alu instid0(VALU_DEP_2) | instskip(NEXT) | instid1(VALU_DEP_2)
	v_mad_u64_u32 v[39:40], null, 0xd2511f53, v7, 0
	v_xor3_b32 v5, v30, v15, v6
	s_delay_alu instid0(VALU_DEP_2) | instskip(NEXT) | instid1(VALU_DEP_2)
	v_xor3_b32 v6, v34, v40, v4
	v_mad_u64_u32 v[40:41], null, 0xd2511f53, v5, 0
	s_delay_alu instid0(VALU_DEP_2) | instskip(NEXT) | instid1(VALU_DEP_2)
	v_mad_u64_u32 v[4:5], null, 0xcd9e8d57, v6, 0
	v_xor3_b32 v7, v35, v41, v39
	s_delay_alu instid0(VALU_DEP_2) | instskip(NEXT) | instid1(VALU_DEP_2)
	v_xor3_b32 v11, v33, v5, v14
	v_mad_u64_u32 v[5:6], null, 0xcd9e8d57, v7, 0
	s_delay_alu instid0(VALU_DEP_2) | instskip(NEXT) | instid1(VALU_DEP_2)
	v_mad_u64_u32 v[14:15], null, 0xd2511f53, v11, 0
	v_xor3_b32 v4, v6, v4, v27
	s_delay_alu instid0(VALU_DEP_2)
	v_xor3_b32 v6, v15, v40, v36
	v_cmpx_lt_i32_e32 1, v26
	s_xor_b32 s22, exec_lo, s22
	s_cbranch_execnz .LBB144_12
; %bb.10:                               ;   in Loop: Header=BB144_9 Depth=1
	s_and_not1_saveexec_b32 s22, s22
	s_cbranch_execnz .LBB144_17
.LBB144_11:                             ;   in Loop: Header=BB144_9 Depth=1
	s_or_b32 exec_lo, exec_lo, s22
	s_delay_alu instid0(SALU_CYCLE_1)
	s_mov_b32 s35, exec_lo
	v_cmpx_gt_i64_e64 s[16:17], v[12:13]
	s_cbranch_execnz .LBB144_20
	s_branch .LBB144_34
.LBB144_12:                             ;   in Loop: Header=BB144_9 Depth=1
	s_mov_b32 s23, exec_lo
	v_cmpx_lt_i32_e32 2, v26
	s_xor_b32 s23, exec_lo, s23
; %bb.13:                               ;   in Loop: Header=BB144_9 Depth=1
	v_dual_mov_b32 v0, v3 :: v_dual_mov_b32 v1, v4
; %bb.14:                               ;   in Loop: Header=BB144_9 Depth=1
	s_and_not1_saveexec_b32 s23, s23
; %bb.15:                               ;   in Loop: Header=BB144_9 Depth=1
	v_dual_mov_b32 v0, v2 :: v_dual_mov_b32 v1, v3
; %bb.16:                               ;   in Loop: Header=BB144_9 Depth=1
	s_or_b32 exec_lo, exec_lo, s23
	s_and_not1_saveexec_b32 s22, s22
	s_cbranch_execz .LBB144_11
.LBB144_17:                             ;   in Loop: Header=BB144_9 Depth=1
	s_mov_b32 s23, exec_lo
	v_cmpx_eq_u32_e32 1, v26
; %bb.18:                               ;   in Loop: Header=BB144_9 Depth=1
	v_dual_mov_b32 v0, v1 :: v_dual_mov_b32 v1, v2
; %bb.19:                               ;   in Loop: Header=BB144_9 Depth=1
	s_or_b32 exec_lo, exec_lo, s23
	s_delay_alu instid0(SALU_CYCLE_1) | instskip(NEXT) | instid1(SALU_CYCLE_1)
	s_or_b32 exec_lo, exec_lo, s22
	s_mov_b32 s35, exec_lo
	v_cmpx_gt_i64_e64 s[16:17], v[12:13]
	s_cbranch_execz .LBB144_34
.LBB144_20:                             ;   in Loop: Header=BB144_9 Depth=1
	s_and_not1_b32 vcc_lo, exec_lo, s11
	s_cbranch_vccnz .LBB144_26
; %bb.21:                               ;   in Loop: Header=BB144_9 Depth=1
	v_mov_b32_e32 v2, 0
	s_and_not1_b32 vcc_lo, exec_lo, s29
	s_cbranch_vccnz .LBB144_30
; %bb.22:                               ;   in Loop: Header=BB144_9 Depth=1
	s_and_not1_b32 vcc_lo, exec_lo, s31
	s_mov_b32 s22, 0
	s_cbranch_vccnz .LBB144_27
; %bb.23:                               ;   in Loop: Header=BB144_9 Depth=1
	v_dual_mov_b32 v2, 0 :: v_dual_mov_b32 v3, v12
	s_mov_b32 s36, 0
	s_mov_b64 s[22:23], s[18:19]
	s_mov_b64 s[24:25], s[0:1]
.LBB144_24:                             ;   Parent Loop BB144_9 Depth=1
                                        ; =>  This Inner Loop Header: Depth=2
	s_clause 0x1
	s_load_b256 s[40:47], s[22:23], 0x4
	s_load_b128 s[48:51], s[22:23], 0x24
	s_load_b128 s[52:55], s[24:25], 0x0
	s_add_u32 s22, s22, 48
	s_addc_u32 s23, s23, 0
	s_add_i32 s36, s36, 4
	s_add_u32 s24, s24, 16
	s_addc_u32 s25, s25, 0
	s_cmp_lg_u32 s33, s36
	s_waitcnt lgkmcnt(0)
	v_mul_hi_u32 v7, s41, v3
	s_delay_alu instid0(VALU_DEP_1) | instskip(NEXT) | instid1(VALU_DEP_1)
	v_add_nc_u32_e32 v7, v3, v7
	v_lshrrev_b32_e32 v7, s42, v7
	s_delay_alu instid0(VALU_DEP_1) | instskip(SKIP_1) | instid1(VALU_DEP_2)
	v_mul_hi_u32 v11, s44, v7
	v_mul_lo_u32 v40, v7, s40
	v_add_nc_u32_e32 v11, v7, v11
	s_delay_alu instid0(VALU_DEP_2) | instskip(NEXT) | instid1(VALU_DEP_2)
	v_sub_nc_u32_e32 v40, v3, v40
	v_lshrrev_b32_e32 v11, s45, v11
	s_delay_alu instid0(VALU_DEP_2) | instskip(NEXT) | instid1(VALU_DEP_2)
	v_mul_lo_u32 v40, v40, s52
	v_mul_hi_u32 v15, s47, v11
	v_mul_lo_u32 v41, v11, s43
	s_delay_alu instid0(VALU_DEP_2) | instskip(NEXT) | instid1(VALU_DEP_2)
	v_add_nc_u32_e32 v15, v11, v15
	v_sub_nc_u32_e32 v7, v7, v41
	s_delay_alu instid0(VALU_DEP_2) | instskip(NEXT) | instid1(VALU_DEP_2)
	v_lshrrev_b32_e32 v15, s48, v15
	v_mul_lo_u32 v7, v7, s53
	s_delay_alu instid0(VALU_DEP_2) | instskip(NEXT) | instid1(VALU_DEP_2)
	v_mul_hi_u32 v39, s50, v15
	v_add3_u32 v2, v40, v2, v7
	s_delay_alu instid0(VALU_DEP_2) | instskip(NEXT) | instid1(VALU_DEP_1)
	v_add_nc_u32_e32 v39, v15, v39
	v_lshrrev_b32_e32 v3, s51, v39
	v_mul_lo_u32 v39, v15, s46
	s_delay_alu instid0(VALU_DEP_2) | instskip(NEXT) | instid1(VALU_DEP_2)
	v_mul_lo_u32 v42, v3, s49
	v_sub_nc_u32_e32 v11, v11, v39
	s_delay_alu instid0(VALU_DEP_2) | instskip(NEXT) | instid1(VALU_DEP_2)
	v_sub_nc_u32_e32 v15, v15, v42
	v_mul_lo_u32 v11, v11, s54
	s_delay_alu instid0(VALU_DEP_2) | instskip(NEXT) | instid1(VALU_DEP_1)
	v_mul_lo_u32 v15, v15, s55
	v_add3_u32 v2, v11, v2, v15
	s_cbranch_scc1 .LBB144_24
; %bb.25:                               ;   in Loop: Header=BB144_9 Depth=1
	s_mov_b32 s22, s33
	s_and_not1_b32 vcc_lo, exec_lo, s34
	s_cbranch_vccz .LBB144_28
	s_branch .LBB144_30
.LBB144_26:                             ;   in Loop: Header=BB144_9 Depth=1
                                        ; implicit-def: $vgpr2
	s_branch .LBB144_31
.LBB144_27:                             ;   in Loop: Header=BB144_9 Depth=1
	v_mov_b32_e32 v3, v12
	s_and_not1_b32 vcc_lo, exec_lo, s34
	s_cbranch_vccnz .LBB144_30
.LBB144_28:                             ;   in Loop: Header=BB144_9 Depth=1
	s_lshl_b32 s23, s22, 2
	s_mul_i32 s24, s22, 12
	s_add_u32 s22, s0, s23
	s_addc_u32 s23, s1, 0
	s_add_u32 s24, s18, s24
	s_addc_u32 s25, s19, 0
	s_mov_b32 s36, s30
	.p2align	6
.LBB144_29:                             ;   Parent Loop BB144_9 Depth=1
                                        ; =>  This Inner Loop Header: Depth=2
	s_clause 0x1
	s_load_b64 s[38:39], s[24:25], 0x4
	s_load_b32 s37, s[24:25], 0xc
	s_add_u32 s24, s24, 12
	s_addc_u32 s25, s25, 0
	s_waitcnt lgkmcnt(0)
	v_mul_hi_u32 v7, s39, v3
	s_load_b32 s39, s[22:23], 0x0
	s_add_u32 s22, s22, 4
	s_addc_u32 s23, s23, 0
	s_add_i32 s36, s36, -1
	s_delay_alu instid0(SALU_CYCLE_1) | instskip(NEXT) | instid1(VALU_DEP_1)
	s_cmp_lg_u32 s36, 0
	v_add_nc_u32_e32 v7, v3, v7
	s_delay_alu instid0(VALU_DEP_1) | instskip(NEXT) | instid1(VALU_DEP_1)
	v_lshrrev_b32_e32 v7, s37, v7
	v_mul_lo_u32 v11, v7, s38
	s_delay_alu instid0(VALU_DEP_1) | instskip(SKIP_1) | instid1(VALU_DEP_1)
	v_sub_nc_u32_e32 v3, v3, v11
	s_waitcnt lgkmcnt(0)
	v_mad_u64_u32 v[39:40], null, v3, s39, v[2:3]
	v_mov_b32_e32 v3, v7
	s_delay_alu instid0(VALU_DEP_2)
	v_mov_b32_e32 v2, v39
	s_cbranch_scc1 .LBB144_29
.LBB144_30:                             ;   in Loop: Header=BB144_9 Depth=1
	s_cbranch_execnz .LBB144_33
.LBB144_31:                             ;   in Loop: Header=BB144_9 Depth=1
	v_mul_hi_u32 v2, v12, s6
	s_and_not1_b32 vcc_lo, exec_lo, s4
	s_delay_alu instid0(VALU_DEP_1) | instskip(NEXT) | instid1(VALU_DEP_1)
	v_add_nc_u32_e32 v2, v2, v12
	v_lshrrev_b32_e32 v3, s7, v2
	s_delay_alu instid0(VALU_DEP_1) | instskip(NEXT) | instid1(VALU_DEP_1)
	v_mul_lo_u32 v2, v3, s5
	v_sub_nc_u32_e32 v2, v12, v2
	s_delay_alu instid0(VALU_DEP_1)
	v_mul_lo_u32 v2, v2, s20
	s_cbranch_vccnz .LBB144_33
; %bb.32:                               ;   in Loop: Header=BB144_9 Depth=1
	v_mul_hi_u32 v7, s9, v3
	s_delay_alu instid0(VALU_DEP_1) | instskip(NEXT) | instid1(VALU_DEP_1)
	v_add_nc_u32_e32 v7, v3, v7
	v_lshrrev_b32_e32 v7, s10, v7
	s_delay_alu instid0(VALU_DEP_1) | instskip(NEXT) | instid1(VALU_DEP_1)
	v_mul_lo_u32 v7, v7, s8
	v_sub_nc_u32_e32 v3, v3, v7
	s_delay_alu instid0(VALU_DEP_1) | instskip(NEXT) | instid1(VALU_DEP_1)
	v_mad_u64_u32 v[39:40], null, v3, s21, v[2:3]
	v_mov_b32_e32 v2, v39
.LBB144_33:                             ;   in Loop: Header=BB144_9 Depth=1
	v_cvt_f32_u32_e32 v0, v0
	s_delay_alu instid0(VALU_DEP_1) | instskip(NEXT) | instid1(VALU_DEP_1)
	v_fmaak_f32 v0, 0x2f800000, v0, 0x2f800000
	v_cvt_f64_f32_e32 v[39:40], v0
	s_delay_alu instid0(VALU_DEP_1)
	v_cmp_gt_f64_e32 vcc_lo, s[14:15], v[39:40]
	v_cndmask_b32_e64 v11, 0, 0x3ff00000, vcc_lo
	global_store_b64 v2, v[10:11], s[12:13]
.LBB144_34:                             ;   in Loop: Header=BB144_9 Depth=1
	s_or_b32 exec_lo, exec_lo, s35
	v_add_co_u32 v2, vcc_lo, v12, s26
	v_add_co_ci_u32_e32 v3, vcc_lo, 0, v13, vcc_lo
	s_mov_b32 s35, exec_lo
	s_delay_alu instid0(VALU_DEP_1)
	v_cmpx_gt_i64_e64 s[16:17], v[2:3]
	s_cbranch_execz .LBB144_8
; %bb.35:                               ;   in Loop: Header=BB144_9 Depth=1
	s_and_not1_b32 vcc_lo, exec_lo, s11
	s_cbranch_vccnz .LBB144_41
; %bb.36:                               ;   in Loop: Header=BB144_9 Depth=1
	v_mov_b32_e32 v0, 0
	s_and_not1_b32 vcc_lo, exec_lo, s29
	s_cbranch_vccnz .LBB144_45
; %bb.37:                               ;   in Loop: Header=BB144_9 Depth=1
	s_and_not1_b32 vcc_lo, exec_lo, s31
	s_mov_b32 s22, 0
	s_cbranch_vccnz .LBB144_42
; %bb.38:                               ;   in Loop: Header=BB144_9 Depth=1
	v_dual_mov_b32 v0, 0 :: v_dual_mov_b32 v3, v2
	s_mov_b32 s36, 0
	s_mov_b64 s[22:23], s[18:19]
	s_mov_b64 s[24:25], s[0:1]
.LBB144_39:                             ;   Parent Loop BB144_9 Depth=1
                                        ; =>  This Inner Loop Header: Depth=2
	s_clause 0x1
	s_load_b256 s[40:47], s[22:23], 0x4
	s_load_b128 s[48:51], s[22:23], 0x24
	s_load_b128 s[52:55], s[24:25], 0x0
	s_add_u32 s22, s22, 48
	s_addc_u32 s23, s23, 0
	s_add_i32 s36, s36, 4
	s_add_u32 s24, s24, 16
	s_addc_u32 s25, s25, 0
	s_cmp_eq_u32 s33, s36
	s_waitcnt lgkmcnt(0)
	v_mul_hi_u32 v7, s41, v3
	s_delay_alu instid0(VALU_DEP_1) | instskip(NEXT) | instid1(VALU_DEP_1)
	v_add_nc_u32_e32 v7, v3, v7
	v_lshrrev_b32_e32 v7, s42, v7
	s_delay_alu instid0(VALU_DEP_1) | instskip(SKIP_1) | instid1(VALU_DEP_2)
	v_mul_hi_u32 v11, s44, v7
	v_mul_lo_u32 v40, v7, s40
	v_add_nc_u32_e32 v11, v7, v11
	s_delay_alu instid0(VALU_DEP_2) | instskip(NEXT) | instid1(VALU_DEP_2)
	v_sub_nc_u32_e32 v40, v3, v40
	v_lshrrev_b32_e32 v11, s45, v11
	s_delay_alu instid0(VALU_DEP_2) | instskip(NEXT) | instid1(VALU_DEP_2)
	v_mul_lo_u32 v40, v40, s52
	v_mul_hi_u32 v15, s47, v11
	v_mul_lo_u32 v41, v11, s43
	s_delay_alu instid0(VALU_DEP_2) | instskip(NEXT) | instid1(VALU_DEP_2)
	v_add_nc_u32_e32 v15, v11, v15
	v_sub_nc_u32_e32 v7, v7, v41
	s_delay_alu instid0(VALU_DEP_2) | instskip(NEXT) | instid1(VALU_DEP_2)
	v_lshrrev_b32_e32 v15, s48, v15
	v_mul_lo_u32 v7, v7, s53
	s_delay_alu instid0(VALU_DEP_2) | instskip(NEXT) | instid1(VALU_DEP_2)
	v_mul_hi_u32 v39, s50, v15
	v_add3_u32 v0, v40, v0, v7
	s_delay_alu instid0(VALU_DEP_2) | instskip(NEXT) | instid1(VALU_DEP_1)
	v_add_nc_u32_e32 v39, v15, v39
	v_lshrrev_b32_e32 v3, s51, v39
	v_mul_lo_u32 v39, v15, s46
	s_delay_alu instid0(VALU_DEP_2) | instskip(NEXT) | instid1(VALU_DEP_2)
	v_mul_lo_u32 v42, v3, s49
	v_sub_nc_u32_e32 v11, v11, v39
	s_delay_alu instid0(VALU_DEP_2) | instskip(NEXT) | instid1(VALU_DEP_2)
	v_sub_nc_u32_e32 v15, v15, v42
	v_mul_lo_u32 v11, v11, s54
	s_delay_alu instid0(VALU_DEP_2) | instskip(NEXT) | instid1(VALU_DEP_1)
	v_mul_lo_u32 v15, v15, s55
	v_add3_u32 v0, v11, v0, v15
	s_cbranch_scc0 .LBB144_39
; %bb.40:                               ;   in Loop: Header=BB144_9 Depth=1
	s_mov_b32 s22, s33
	s_and_not1_b32 vcc_lo, exec_lo, s34
	s_cbranch_vccz .LBB144_43
	s_branch .LBB144_45
.LBB144_41:                             ;   in Loop: Header=BB144_9 Depth=1
                                        ; implicit-def: $vgpr0
	s_branch .LBB144_46
.LBB144_42:                             ;   in Loop: Header=BB144_9 Depth=1
	v_mov_b32_e32 v3, v2
	s_and_not1_b32 vcc_lo, exec_lo, s34
	s_cbranch_vccnz .LBB144_45
.LBB144_43:                             ;   in Loop: Header=BB144_9 Depth=1
	s_lshl_b32 s23, s22, 2
	s_mul_i32 s24, s22, 12
	s_add_u32 s22, s0, s23
	s_addc_u32 s23, s1, 0
	s_add_u32 s24, s18, s24
	s_addc_u32 s25, s19, 0
	s_mov_b32 s36, s30
	.p2align	6
.LBB144_44:                             ;   Parent Loop BB144_9 Depth=1
                                        ; =>  This Inner Loop Header: Depth=2
	s_clause 0x1
	s_load_b64 s[38:39], s[24:25], 0x4
	s_load_b32 s37, s[24:25], 0xc
	s_add_u32 s24, s24, 12
	s_addc_u32 s25, s25, 0
	s_waitcnt lgkmcnt(0)
	v_mul_hi_u32 v7, s39, v3
	s_load_b32 s39, s[22:23], 0x0
	s_add_u32 s22, s22, 4
	s_addc_u32 s23, s23, 0
	s_add_i32 s36, s36, -1
	s_delay_alu instid0(SALU_CYCLE_1) | instskip(NEXT) | instid1(VALU_DEP_1)
	s_cmp_lg_u32 s36, 0
	v_add_nc_u32_e32 v7, v3, v7
	s_delay_alu instid0(VALU_DEP_1) | instskip(NEXT) | instid1(VALU_DEP_1)
	v_lshrrev_b32_e32 v7, s37, v7
	v_mul_lo_u32 v11, v7, s38
	s_delay_alu instid0(VALU_DEP_1) | instskip(SKIP_1) | instid1(VALU_DEP_1)
	v_sub_nc_u32_e32 v3, v3, v11
	s_waitcnt lgkmcnt(0)
	v_mad_u64_u32 v[39:40], null, v3, s39, v[0:1]
	v_mov_b32_e32 v3, v7
	s_delay_alu instid0(VALU_DEP_2)
	v_mov_b32_e32 v0, v39
	s_cbranch_scc1 .LBB144_44
.LBB144_45:                             ;   in Loop: Header=BB144_9 Depth=1
	s_cbranch_execnz .LBB144_7
.LBB144_46:                             ;   in Loop: Header=BB144_9 Depth=1
	v_mul_hi_u32 v0, v2, s6
	s_and_not1_b32 vcc_lo, exec_lo, s4
	s_delay_alu instid0(VALU_DEP_1) | instskip(NEXT) | instid1(VALU_DEP_1)
	v_add_nc_u32_e32 v0, v0, v2
	v_lshrrev_b32_e32 v3, s7, v0
	s_delay_alu instid0(VALU_DEP_1) | instskip(NEXT) | instid1(VALU_DEP_1)
	v_mul_lo_u32 v0, v3, s5
	v_sub_nc_u32_e32 v0, v2, v0
	s_delay_alu instid0(VALU_DEP_1)
	v_mul_lo_u32 v0, v0, s20
	s_cbranch_vccnz .LBB144_7
; %bb.47:                               ;   in Loop: Header=BB144_9 Depth=1
	v_mul_hi_u32 v2, s9, v3
	s_delay_alu instid0(VALU_DEP_1) | instskip(NEXT) | instid1(VALU_DEP_1)
	v_add_nc_u32_e32 v2, v3, v2
	v_lshrrev_b32_e32 v2, s10, v2
	s_delay_alu instid0(VALU_DEP_1) | instskip(NEXT) | instid1(VALU_DEP_1)
	v_mul_lo_u32 v2, v2, s8
	v_sub_nc_u32_e32 v7, v3, v2
	s_delay_alu instid0(VALU_DEP_1) | instskip(NEXT) | instid1(VALU_DEP_1)
	v_mad_u64_u32 v[2:3], null, v7, s21, v[0:1]
	v_mov_b32_e32 v0, v2
	s_branch .LBB144_7
.LBB144_48:
	s_endpgm
.LBB144_49:
                                        ; implicit-def: $sgpr2_sgpr3
	s_branch .LBB144_4
	.section	.rodata,"a",@progbits
	.p2align	6, 0x0
	.amdhsa_kernel _ZN2at6native12_GLOBAL__N_143distribution_elementwise_grid_stride_kernelIdLi2EZNS0_9templates4cuda21uniform_and_transformIddPNS_17CUDAGeneratorImplEZZZNS4_16bernoulli_kernelIS7_EEvRNS_18TensorIteratorBaseEdT_ENKUlvE_clEvENKUlvE4_clEvEUldE_EEvSA_T1_T2_EUlP25hiprandStatePhilox4_32_10E0_ZNS1_27distribution_nullary_kernelIdd15HIP_vector_typeIfLj4EES7_SJ_SE_EEvSA_SG_RKT3_T4_EUlidE0_EEvlNS_15PhiloxCudaStateESF_SG_
		.amdhsa_group_segment_fixed_size 0
		.amdhsa_private_segment_fixed_size 0
		.amdhsa_kernarg_size 584
		.amdhsa_user_sgpr_count 15
		.amdhsa_user_sgpr_dispatch_ptr 0
		.amdhsa_user_sgpr_queue_ptr 0
		.amdhsa_user_sgpr_kernarg_segment_ptr 1
		.amdhsa_user_sgpr_dispatch_id 0
		.amdhsa_user_sgpr_private_segment_size 0
		.amdhsa_wavefront_size32 1
		.amdhsa_uses_dynamic_stack 0
		.amdhsa_enable_private_segment 0
		.amdhsa_system_sgpr_workgroup_id_x 1
		.amdhsa_system_sgpr_workgroup_id_y 0
		.amdhsa_system_sgpr_workgroup_id_z 0
		.amdhsa_system_sgpr_workgroup_info 0
		.amdhsa_system_vgpr_workitem_id 0
		.amdhsa_next_free_vgpr 43
		.amdhsa_next_free_sgpr 56
		.amdhsa_reserve_vcc 1
		.amdhsa_float_round_mode_32 0
		.amdhsa_float_round_mode_16_64 0
		.amdhsa_float_denorm_mode_32 3
		.amdhsa_float_denorm_mode_16_64 3
		.amdhsa_dx10_clamp 1
		.amdhsa_ieee_mode 1
		.amdhsa_fp16_overflow 0
		.amdhsa_workgroup_processor_mode 1
		.amdhsa_memory_ordered 1
		.amdhsa_forward_progress 0
		.amdhsa_shared_vgpr_count 0
		.amdhsa_exception_fp_ieee_invalid_op 0
		.amdhsa_exception_fp_denorm_src 0
		.amdhsa_exception_fp_ieee_div_zero 0
		.amdhsa_exception_fp_ieee_overflow 0
		.amdhsa_exception_fp_ieee_underflow 0
		.amdhsa_exception_fp_ieee_inexact 0
		.amdhsa_exception_int_div_zero 0
	.end_amdhsa_kernel
	.section	.text._ZN2at6native12_GLOBAL__N_143distribution_elementwise_grid_stride_kernelIdLi2EZNS0_9templates4cuda21uniform_and_transformIddPNS_17CUDAGeneratorImplEZZZNS4_16bernoulli_kernelIS7_EEvRNS_18TensorIteratorBaseEdT_ENKUlvE_clEvENKUlvE4_clEvEUldE_EEvSA_T1_T2_EUlP25hiprandStatePhilox4_32_10E0_ZNS1_27distribution_nullary_kernelIdd15HIP_vector_typeIfLj4EES7_SJ_SE_EEvSA_SG_RKT3_T4_EUlidE0_EEvlNS_15PhiloxCudaStateESF_SG_,"axG",@progbits,_ZN2at6native12_GLOBAL__N_143distribution_elementwise_grid_stride_kernelIdLi2EZNS0_9templates4cuda21uniform_and_transformIddPNS_17CUDAGeneratorImplEZZZNS4_16bernoulli_kernelIS7_EEvRNS_18TensorIteratorBaseEdT_ENKUlvE_clEvENKUlvE4_clEvEUldE_EEvSA_T1_T2_EUlP25hiprandStatePhilox4_32_10E0_ZNS1_27distribution_nullary_kernelIdd15HIP_vector_typeIfLj4EES7_SJ_SE_EEvSA_SG_RKT3_T4_EUlidE0_EEvlNS_15PhiloxCudaStateESF_SG_,comdat
.Lfunc_end144:
	.size	_ZN2at6native12_GLOBAL__N_143distribution_elementwise_grid_stride_kernelIdLi2EZNS0_9templates4cuda21uniform_and_transformIddPNS_17CUDAGeneratorImplEZZZNS4_16bernoulli_kernelIS7_EEvRNS_18TensorIteratorBaseEdT_ENKUlvE_clEvENKUlvE4_clEvEUldE_EEvSA_T1_T2_EUlP25hiprandStatePhilox4_32_10E0_ZNS1_27distribution_nullary_kernelIdd15HIP_vector_typeIfLj4EES7_SJ_SE_EEvSA_SG_RKT3_T4_EUlidE0_EEvlNS_15PhiloxCudaStateESF_SG_, .Lfunc_end144-_ZN2at6native12_GLOBAL__N_143distribution_elementwise_grid_stride_kernelIdLi2EZNS0_9templates4cuda21uniform_and_transformIddPNS_17CUDAGeneratorImplEZZZNS4_16bernoulli_kernelIS7_EEvRNS_18TensorIteratorBaseEdT_ENKUlvE_clEvENKUlvE4_clEvEUldE_EEvSA_T1_T2_EUlP25hiprandStatePhilox4_32_10E0_ZNS1_27distribution_nullary_kernelIdd15HIP_vector_typeIfLj4EES7_SJ_SE_EEvSA_SG_RKT3_T4_EUlidE0_EEvlNS_15PhiloxCudaStateESF_SG_
                                        ; -- End function
	.section	.AMDGPU.csdata,"",@progbits
; Kernel info:
; codeLenInByte = 3852
; NumSgprs: 58
; NumVgprs: 43
; ScratchSize: 0
; MemoryBound: 0
; FloatMode: 240
; IeeeMode: 1
; LDSByteSize: 0 bytes/workgroup (compile time only)
; SGPRBlocks: 7
; VGPRBlocks: 5
; NumSGPRsForWavesPerEU: 58
; NumVGPRsForWavesPerEU: 43
; Occupancy: 16
; WaveLimiterHint : 1
; COMPUTE_PGM_RSRC2:SCRATCH_EN: 0
; COMPUTE_PGM_RSRC2:USER_SGPR: 15
; COMPUTE_PGM_RSRC2:TRAP_HANDLER: 0
; COMPUTE_PGM_RSRC2:TGID_X_EN: 1
; COMPUTE_PGM_RSRC2:TGID_Y_EN: 0
; COMPUTE_PGM_RSRC2:TGID_Z_EN: 0
; COMPUTE_PGM_RSRC2:TIDIG_COMP_CNT: 0
	.section	.text._ZN2at6native12_GLOBAL__N_143distribution_elementwise_grid_stride_kernelIfLi4EZNS0_9templates4cuda21uniform_and_transformIffPNS_17CUDAGeneratorImplEZZZNS4_16bernoulli_kernelIS7_EEvRNS_18TensorIteratorBaseEdT_ENKUlvE_clEvENKUlvE5_clEvEUlfE_EEvSA_T1_T2_EUlP25hiprandStatePhilox4_32_10E_ZNS1_27distribution_nullary_kernelIff15HIP_vector_typeIdLj2EES7_SJ_SE_EEvSA_SG_RKT3_T4_EUlifE_EEvlNS_15PhiloxCudaStateESF_SG_,"axG",@progbits,_ZN2at6native12_GLOBAL__N_143distribution_elementwise_grid_stride_kernelIfLi4EZNS0_9templates4cuda21uniform_and_transformIffPNS_17CUDAGeneratorImplEZZZNS4_16bernoulli_kernelIS7_EEvRNS_18TensorIteratorBaseEdT_ENKUlvE_clEvENKUlvE5_clEvEUlfE_EEvSA_T1_T2_EUlP25hiprandStatePhilox4_32_10E_ZNS1_27distribution_nullary_kernelIff15HIP_vector_typeIdLj2EES7_SJ_SE_EEvSA_SG_RKT3_T4_EUlifE_EEvlNS_15PhiloxCudaStateESF_SG_,comdat
	.globl	_ZN2at6native12_GLOBAL__N_143distribution_elementwise_grid_stride_kernelIfLi4EZNS0_9templates4cuda21uniform_and_transformIffPNS_17CUDAGeneratorImplEZZZNS4_16bernoulli_kernelIS7_EEvRNS_18TensorIteratorBaseEdT_ENKUlvE_clEvENKUlvE5_clEvEUlfE_EEvSA_T1_T2_EUlP25hiprandStatePhilox4_32_10E_ZNS1_27distribution_nullary_kernelIff15HIP_vector_typeIdLj2EES7_SJ_SE_EEvSA_SG_RKT3_T4_EUlifE_EEvlNS_15PhiloxCudaStateESF_SG_ ; -- Begin function _ZN2at6native12_GLOBAL__N_143distribution_elementwise_grid_stride_kernelIfLi4EZNS0_9templates4cuda21uniform_and_transformIffPNS_17CUDAGeneratorImplEZZZNS4_16bernoulli_kernelIS7_EEvRNS_18TensorIteratorBaseEdT_ENKUlvE_clEvENKUlvE5_clEvEUlfE_EEvSA_T1_T2_EUlP25hiprandStatePhilox4_32_10E_ZNS1_27distribution_nullary_kernelIff15HIP_vector_typeIdLj2EES7_SJ_SE_EEvSA_SG_RKT3_T4_EUlifE_EEvlNS_15PhiloxCudaStateESF_SG_
	.p2align	8
	.type	_ZN2at6native12_GLOBAL__N_143distribution_elementwise_grid_stride_kernelIfLi4EZNS0_9templates4cuda21uniform_and_transformIffPNS_17CUDAGeneratorImplEZZZNS4_16bernoulli_kernelIS7_EEvRNS_18TensorIteratorBaseEdT_ENKUlvE_clEvENKUlvE5_clEvEUlfE_EEvSA_T1_T2_EUlP25hiprandStatePhilox4_32_10E_ZNS1_27distribution_nullary_kernelIff15HIP_vector_typeIdLj2EES7_SJ_SE_EEvSA_SG_RKT3_T4_EUlifE_EEvlNS_15PhiloxCudaStateESF_SG_,@function
_ZN2at6native12_GLOBAL__N_143distribution_elementwise_grid_stride_kernelIfLi4EZNS0_9templates4cuda21uniform_and_transformIffPNS_17CUDAGeneratorImplEZZZNS4_16bernoulli_kernelIS7_EEvRNS_18TensorIteratorBaseEdT_ENKUlvE_clEvENKUlvE5_clEvEUlfE_EEvSA_T1_T2_EUlP25hiprandStatePhilox4_32_10E_ZNS1_27distribution_nullary_kernelIff15HIP_vector_typeIdLj2EES7_SJ_SE_EEvSA_SG_RKT3_T4_EUlifE_EEvlNS_15PhiloxCudaStateESF_SG_: ; @_ZN2at6native12_GLOBAL__N_143distribution_elementwise_grid_stride_kernelIfLi4EZNS0_9templates4cuda21uniform_and_transformIffPNS_17CUDAGeneratorImplEZZZNS4_16bernoulli_kernelIS7_EEvRNS_18TensorIteratorBaseEdT_ENKUlvE_clEvENKUlvE5_clEvEUlfE_EEvSA_T1_T2_EUlP25hiprandStatePhilox4_32_10E_ZNS1_27distribution_nullary_kernelIff15HIP_vector_typeIdLj2EES7_SJ_SE_EEvSA_SG_RKT3_T4_EUlifE_EEvlNS_15PhiloxCudaStateESF_SG_
; %bb.0:
	s_clause 0x2
	s_load_b64 s[8:9], s[0:1], 0x10
	s_load_b128 s[4:7], s[0:1], 0x0
	s_load_b32 s2, s[0:1], 0x20
	s_waitcnt lgkmcnt(0)
	v_dual_mov_b32 v2, s8 :: v_dual_mov_b32 v3, s9
	v_dual_mov_b32 v12, s7 :: v_dual_mov_b32 v11, s6
	s_bitcmp0_b32 s2, 0
	s_mov_b32 s2, 0
	s_cbranch_scc1 .LBB145_2
; %bb.1:
	v_dual_mov_b32 v1, s8 :: v_dual_mov_b32 v2, s9
	v_dual_mov_b32 v4, s6 :: v_dual_mov_b32 v5, s7
	s_load_b64 s[6:7], s[0:1], 0x18
	flat_load_b64 v[2:3], v[1:2]
	flat_load_b64 v[11:12], v[4:5]
	s_waitcnt vmcnt(1) lgkmcnt(0)
	v_add_co_u32 v2, vcc_lo, v2, s6
	v_add_co_ci_u32_e32 v3, vcc_lo, s7, v3, vcc_lo
.LBB145_2:
	s_clause 0x1
	s_load_b32 s3, s[0:1], 0x54
	s_load_b32 s11, s[0:1], 0x48
	s_waitcnt lgkmcnt(0)
	s_and_b32 s10, s3, 0xffff
	s_add_u32 s6, s4, -1
	s_mul_i32 s8, s11, s10
	s_addc_u32 s3, s5, -1
	s_lshl_b32 s9, s8, 2
	s_cmp_lg_u64 s[2:3], 0
	s_cbranch_scc0 .LBB145_23
; %bb.3:
	v_cvt_f32_ubyte0_e32 v1, 0
	v_cvt_f32_u32_e32 v4, s9
	s_sub_u32 s12, 0, s9
	s_subb_u32 s13, 0, 0
	s_delay_alu instid0(VALU_DEP_1) | instskip(NEXT) | instid1(VALU_DEP_1)
	v_fmamk_f32 v1, v1, 0x4f800000, v4
	v_rcp_f32_e32 v1, v1
	s_waitcnt_depctr 0xfff
	v_mul_f32_e32 v1, 0x5f7ffffc, v1
	s_delay_alu instid0(VALU_DEP_1) | instskip(NEXT) | instid1(VALU_DEP_1)
	v_mul_f32_e32 v4, 0x2f800000, v1
	v_trunc_f32_e32 v4, v4
	s_delay_alu instid0(VALU_DEP_1) | instskip(SKIP_1) | instid1(VALU_DEP_2)
	v_fmamk_f32 v1, v4, 0xcf800000, v1
	v_cvt_u32_f32_e32 v4, v4
	v_cvt_u32_f32_e32 v1, v1
	s_delay_alu instid0(VALU_DEP_2) | instskip(NEXT) | instid1(VALU_DEP_2)
	v_readfirstlane_b32 s2, v4
	v_readfirstlane_b32 s7, v1
	s_delay_alu instid0(VALU_DEP_2) | instskip(NEXT) | instid1(VALU_DEP_1)
	s_mul_i32 s14, s12, s2
	s_mul_hi_u32 s17, s12, s7
	s_mul_i32 s16, s13, s7
	s_add_i32 s14, s17, s14
	s_mul_i32 s18, s12, s7
	s_add_i32 s14, s14, s16
	s_mul_hi_u32 s17, s7, s18
	s_mul_hi_u32 s19, s2, s18
	s_mul_i32 s16, s2, s18
	s_mul_hi_u32 s18, s7, s14
	s_mul_i32 s7, s7, s14
	s_mul_hi_u32 s20, s2, s14
	s_add_u32 s7, s17, s7
	s_addc_u32 s17, 0, s18
	s_add_u32 s7, s7, s16
	s_mul_i32 s14, s2, s14
	s_addc_u32 s7, s17, s19
	s_addc_u32 s16, s20, 0
	s_add_u32 s7, s7, s14
	s_addc_u32 s14, 0, s16
	v_add_co_u32 v1, s7, v1, s7
	s_delay_alu instid0(VALU_DEP_1) | instskip(SKIP_1) | instid1(VALU_DEP_1)
	s_cmp_lg_u32 s7, 0
	s_addc_u32 s2, s2, s14
	v_readfirstlane_b32 s7, v1
	s_mul_i32 s14, s12, s2
	s_delay_alu instid0(VALU_DEP_1)
	s_mul_hi_u32 s16, s12, s7
	s_mul_i32 s13, s13, s7
	s_add_i32 s14, s16, s14
	s_mul_i32 s12, s12, s7
	s_add_i32 s14, s14, s13
	s_mul_hi_u32 s16, s2, s12
	s_mul_i32 s17, s2, s12
	s_mul_hi_u32 s12, s7, s12
	s_mul_hi_u32 s18, s7, s14
	s_mul_i32 s7, s7, s14
	s_mul_hi_u32 s13, s2, s14
	s_add_u32 s7, s12, s7
	s_addc_u32 s12, 0, s18
	s_add_u32 s7, s7, s17
	s_mul_i32 s14, s2, s14
	s_addc_u32 s7, s12, s16
	s_addc_u32 s12, s13, 0
	s_add_u32 s7, s7, s14
	s_addc_u32 s12, 0, s12
	v_add_co_u32 v1, s7, v1, s7
	s_delay_alu instid0(VALU_DEP_1) | instskip(SKIP_2) | instid1(VALU_DEP_1)
	s_cmp_lg_u32 s7, 0
	s_addc_u32 s7, s2, s12
	s_ashr_i32 s12, s3, 31
	v_readfirstlane_b32 s14, v1
	s_add_u32 s2, s6, s12
	s_mov_b32 s13, s12
	s_addc_u32 s3, s3, s12
	s_delay_alu instid0(SALU_CYCLE_1) | instskip(NEXT) | instid1(SALU_CYCLE_1)
	s_xor_b64 s[2:3], s[2:3], s[12:13]
	s_mul_i32 s17, s2, s7
	s_mul_hi_u32 s18, s2, s14
	s_mul_hi_u32 s16, s2, s7
	;; [unrolled: 1-line block ×3, first 2 shown]
	s_mul_i32 s14, s3, s14
	s_add_u32 s17, s18, s17
	s_addc_u32 s16, 0, s16
	s_mul_hi_u32 s19, s3, s7
	s_add_u32 s14, s17, s14
	s_mul_i32 s7, s3, s7
	s_addc_u32 s14, s16, s20
	s_addc_u32 s16, s19, 0
	s_add_u32 s7, s14, s7
	s_addc_u32 s14, 0, s16
	s_mul_i32 s17, s9, s7
	s_add_u32 s16, s7, 1
	v_sub_co_u32 v1, s2, s2, s17
	s_mul_hi_u32 s17, s9, s7
	s_addc_u32 s18, s14, 0
	s_mul_i32 s19, s9, s14
	s_delay_alu instid0(VALU_DEP_1)
	v_sub_co_u32 v4, s20, v1, s9
	s_add_u32 s21, s7, 2
	s_addc_u32 s22, s14, 0
	s_add_i32 s17, s17, s19
	s_cmp_lg_u32 s2, 0
	v_readfirstlane_b32 s2, v4
	s_subb_u32 s3, s3, s17
	s_cmp_lg_u32 s20, 0
	s_subb_u32 s17, s3, 0
	s_delay_alu instid0(VALU_DEP_1) | instskip(SKIP_4) | instid1(SALU_CYCLE_1)
	s_cmp_ge_u32 s2, s9
	s_cselect_b32 s2, -1, 0
	s_cmp_eq_u32 s17, 0
	v_readfirstlane_b32 s17, v1
	s_cselect_b32 s2, s2, -1
	s_cmp_lg_u32 s2, 0
	s_cselect_b32 s2, s21, s16
	s_cselect_b32 s16, s22, s18
	s_cmp_ge_u32 s17, s9
	s_cselect_b32 s17, -1, 0
	s_cmp_eq_u32 s3, 0
	s_cselect_b32 s3, s17, -1
	s_delay_alu instid0(SALU_CYCLE_1) | instskip(SKIP_2) | instid1(SALU_CYCLE_1)
	s_cmp_lg_u32 s3, 0
	s_cselect_b32 s3, s16, s14
	s_cselect_b32 s2, s2, s7
	s_xor_b64 s[2:3], s[2:3], s[12:13]
	s_delay_alu instid0(SALU_CYCLE_1)
	s_sub_u32 s2, s2, s12
	s_subb_u32 s3, s3, s12
	s_cbranch_execnz .LBB145_5
.LBB145_4:
	v_cvt_f32_u32_e32 v1, s9
	s_sub_i32 s3, 0, s9
	s_delay_alu instid0(VALU_DEP_1) | instskip(SKIP_2) | instid1(VALU_DEP_1)
	v_rcp_iflag_f32_e32 v1, v1
	s_waitcnt_depctr 0xfff
	v_mul_f32_e32 v1, 0x4f7ffffe, v1
	v_cvt_u32_f32_e32 v1, v1
	s_delay_alu instid0(VALU_DEP_1) | instskip(NEXT) | instid1(VALU_DEP_1)
	v_readfirstlane_b32 s2, v1
	s_mul_i32 s3, s3, s2
	s_delay_alu instid0(SALU_CYCLE_1) | instskip(NEXT) | instid1(SALU_CYCLE_1)
	s_mul_hi_u32 s3, s2, s3
	s_add_i32 s2, s2, s3
	s_delay_alu instid0(SALU_CYCLE_1) | instskip(NEXT) | instid1(SALU_CYCLE_1)
	s_mul_hi_u32 s2, s6, s2
	s_mul_i32 s3, s2, s9
	s_delay_alu instid0(SALU_CYCLE_1)
	s_sub_i32 s3, s6, s3
	s_add_i32 s6, s2, 1
	s_sub_i32 s7, s3, s9
	s_cmp_ge_u32 s3, s9
	s_cselect_b32 s2, s6, s2
	s_cselect_b32 s3, s7, s3
	s_add_i32 s6, s2, 1
	s_cmp_ge_u32 s3, s9
	s_mov_b32 s3, 0
	s_cselect_b32 s2, s6, s2
.LBB145_5:
	v_mov_b32_e32 v1, 0
	s_add_u32 s2, s2, 1
	s_addc_u32 s3, s3, 0
	s_mul_hi_u32 s6, s8, s2
	s_mul_i32 s3, s8, s3
	v_mad_u64_u32 v[13:14], null, s10, s15, v[0:1]
	s_mul_hi_u32 s7, s11, s10
	s_add_i32 s3, s6, s3
	s_mul_i32 s7, s7, s2
	s_mul_i32 s2, s8, s2
	s_add_i32 s3, s3, s7
	s_mov_b32 s6, exec_lo
	s_lshl_b64 s[2:3], s[2:3], 2
	s_delay_alu instid0(SALU_CYCLE_1)
	v_cmpx_gt_i64_e64 s[2:3], v[13:14]
	s_cbranch_execz .LBB145_22
; %bb.6:
	v_alignbit_b32 v17, v3, v2, 2
	v_mad_u64_u32 v[6:7], null, 0xcd9e8d57, v13, 0
	v_lshrrev_b32_e32 v18, 2, v3
	s_waitcnt vmcnt(0)
	v_dual_mov_b32 v15, v12 :: v_dual_and_b32 v34, 3, v2
	v_mad_u64_u32 v[4:5], null, 0xd2511f53, v17, 0
	v_add_co_u32 v20, null, 0x9e3779b9, v11
	v_xor3_b32 v3, v11, v7, v18
	s_delay_alu instid0(VALU_DEP_4) | instskip(SKIP_2) | instid1(VALU_DEP_4)
	v_add_co_u32 v19, null, 0xbb67ae85, v15
	v_add_co_u32 v21, null, 0x3c6ef372, v11
	v_xor_b32_e32 v1, v5, v12
	v_mad_u64_u32 v[7:8], null, 0xd2511f53, v3, 0
	v_add_co_u32 v22, null, 0x76cf5d0a, v15
	s_delay_alu instid0(VALU_DEP_3) | instskip(SKIP_2) | instid1(VALU_DEP_3)
	v_xor_b32_e32 v1, v1, v14
	v_add_co_u32 v23, null, 0x32370b8f, v15
	v_add_co_u32 v24, null, 0xdaa66d2b, v11
	v_mad_u64_u32 v[9:10], null, 0xcd9e8d57, v1, 0
	v_xor3_b32 v1, v19, v8, v4
	v_add_co_u32 v25, null, 0x78dde6e4, v11
	v_add_co_u32 v26, null, 0xed9eba14, v15
	s_delay_alu instid0(VALU_DEP_3) | instskip(SKIP_3) | instid1(VALU_DEP_3)
	v_mad_u64_u32 v[3:4], null, 0xcd9e8d57, v1, 0
	v_xor3_b32 v8, v20, v10, v6
	v_add_co_u32 v27, null, 0xa9066899, v15
	v_add_co_u32 v28, null, 0x1715609d, v11
	v_mad_u64_u32 v[5:6], null, 0xd2511f53, v8, 0
	v_xor3_b32 v1, v21, v4, v9
	s_load_b64 s[12:13], s[0:1], 0x40
	v_add_co_u32 v29, null, 0xb54cda56, v11
	v_add_co_u32 v30, null, 0x646e171e, v15
	s_delay_alu instid0(VALU_DEP_4) | instskip(SKIP_2) | instid1(VALU_DEP_3)
	v_xor3_b32 v4, v22, v6, v7
	v_mad_u64_u32 v[6:7], null, 0xd2511f53, v1, 0
	v_add_co_u32 v31, null, 0x1fd5c5a3, v15
	v_mad_u64_u32 v[8:9], null, 0xcd9e8d57, v4, 0
	v_add_co_u32 v32, null, 0x5384540f, v11
	s_delay_alu instid0(VALU_DEP_4) | instskip(SKIP_4) | instid1(VALU_DEP_4)
	v_xor3_b32 v1, v23, v7, v5
	s_clause 0x1
	s_load_b64 s[6:7], s[0:1], 0x30
	s_load_b32 s0, s[0:1], 0x38
	v_add_co_u32 v36, null, 0xf1bbcdc8, v11
	v_xor3_b32 v5, v24, v9, v3
	v_mad_u64_u32 v[3:4], null, 0xcd9e8d57, v1, 0
	s_waitcnt lgkmcnt(0)
	v_cvt_f32_f64_e32 v33, s[12:13]
	v_add_co_u32 v37, null, 0xdb3d7428, v15
	v_mad_u64_u32 v[9:10], null, 0xd2511f53, v5, 0
	v_dual_mov_b32 v42, v14 :: v_dual_add_nc_u32 v35, 0x8ff34781, v11
	v_xor3_b32 v1, v25, v4, v8
	v_dual_mov_b32 v39, v13 :: v_dual_add_nc_u32 v38, 0x96a522ad, v12
	s_delay_alu instid0(VALU_DEP_4) | instskip(NEXT) | instid1(VALU_DEP_3)
	v_xor3_b32 v8, v26, v10, v6
	v_mad_u64_u32 v[4:5], null, 0xd2511f53, v1, 0
	s_mul_i32 s1, s11, s0
	s_delay_alu instid0(VALU_DEP_2) | instskip(SKIP_1) | instid1(VALU_DEP_2)
	v_mad_u64_u32 v[6:7], null, 0xcd9e8d57, v8, 0
	s_mul_i32 s1, s1, s10
	v_xor3_b32 v1, v27, v5, v9
	s_lshl_b32 s1, s1, 2
	s_delay_alu instid0(VALU_DEP_2) | instskip(NEXT) | instid1(VALU_DEP_2)
	v_xor3_b32 v3, v28, v7, v3
	v_mad_u64_u32 v[7:8], null, 0xcd9e8d57, v1, 0
	s_delay_alu instid0(VALU_DEP_2) | instskip(NEXT) | instid1(VALU_DEP_2)
	v_mad_u64_u32 v[9:10], null, 0xd2511f53, v3, 0
	v_xor3_b32 v1, v29, v8, v6
	s_delay_alu instid0(VALU_DEP_2) | instskip(NEXT) | instid1(VALU_DEP_2)
	v_xor3_b32 v8, v30, v10, v4
	v_mad_u64_u32 v[3:4], null, 0xd2511f53, v1, 0
	s_delay_alu instid0(VALU_DEP_2) | instskip(NEXT) | instid1(VALU_DEP_2)
	v_mad_u64_u32 v[5:6], null, 0xcd9e8d57, v8, 0
	v_xor3_b32 v1, v31, v4, v9
	s_delay_alu instid0(VALU_DEP_2) | instskip(NEXT) | instid1(VALU_DEP_2)
	v_xor3_b32 v2, v32, v6, v7
	v_mad_u64_u32 v[6:7], null, 0xcd9e8d57, v1, 0
	v_mad_u64_u32 v[15:16], null, s15, s10, v[0:1]
	s_delay_alu instid0(VALU_DEP_3) | instskip(SKIP_1) | instid1(VALU_DEP_3)
	v_mad_u64_u32 v[8:9], null, 0xd2511f53, v2, 0
	s_add_i32 s15, s15, s11
	v_xor3_b32 v1, v36, v7, v5
	s_delay_alu instid0(VALU_DEP_3) | instskip(NEXT) | instid1(VALU_DEP_3)
	v_mul_lo_u32 v40, s0, v15
	v_xor3_b32 v7, v37, v9, v3
	s_delay_alu instid0(VALU_DEP_3) | instskip(SKIP_1) | instid1(VALU_DEP_3)
	v_mad_u64_u32 v[3:4], null, s15, s10, v[0:1]
	v_mad_u64_u32 v[4:5], null, 0xd2511f53, v1, 0
	;; [unrolled: 1-line block ×3, first 2 shown]
	s_mov_b32 s10, 0
	s_delay_alu instid0(VALU_DEP_3) | instskip(SKIP_1) | instid1(VALU_DEP_3)
	v_mul_lo_u32 v41, s0, v3
	s_mov_b32 s0, 0
	v_mov_b32_e32 v3, v4
	s_delay_alu instid0(VALU_DEP_3)
	v_xor3_b32 v0, v2, v6, v35
	v_xor3_b32 v2, v5, v8, v38
	s_branch .LBB145_8
.LBB145_7:                              ;   in Loop: Header=BB145_8 Depth=1
	s_or_b32 exec_lo, exec_lo, s11
	v_add_co_u32 v13, vcc_lo, v13, s9
	v_add_co_ci_u32_e32 v14, vcc_lo, 0, v14, vcc_lo
	v_mov_b32_e32 v7, v15
	v_dual_mov_b32 v0, v4 :: v_dual_mov_b32 v1, v5
	s_delay_alu instid0(VALU_DEP_3) | instskip(NEXT) | instid1(VALU_DEP_3)
	v_cmp_le_i64_e32 vcc_lo, s[2:3], v[13:14]
	v_dual_mov_b32 v2, v6 :: v_dual_mov_b32 v3, v7
	s_add_i32 s10, s10, s1
	s_waitcnt_vscnt null, 0x0
	s_barrier
	s_or_b32 s0, vcc_lo, s0
	buffer_gl0_inv
	s_and_not1_b32 exec_lo, exec_lo, s0
	s_cbranch_execz .LBB145_22
.LBB145_8:                              ; =>This Inner Loop Header: Depth=1
	v_add_co_u32 v17, vcc_lo, v17, 1
	s_delay_alu instid0(VALU_DEP_1) | instskip(SKIP_2) | instid1(VALU_DEP_1)
	v_cndmask_b32_e64 v4, 0, 1, vcc_lo
	v_add_co_ci_u32_e32 v18, vcc_lo, 0, v18, vcc_lo
	s_mov_b32 s11, exec_lo
	v_cmp_eq_u32_e32 vcc_lo, 0, v18
	s_delay_alu instid0(VALU_DEP_3) | instskip(NEXT) | instid1(VALU_DEP_1)
	v_cndmask_b32_e32 v4, 0, v4, vcc_lo
	v_add_nc_u32_e32 v39, v4, v39
	s_delay_alu instid0(VALU_DEP_1) | instskip(SKIP_2) | instid1(VALU_DEP_2)
	v_cmp_eq_u32_e32 vcc_lo, 0, v39
	v_cndmask_b32_e32 v4, 0, v4, vcc_lo
	v_mad_u64_u32 v[6:7], null, 0xcd9e8d57, v39, 0
	v_add_nc_u32_e32 v42, v4, v42
	v_mad_u64_u32 v[4:5], null, 0xd2511f53, v17, 0
	s_delay_alu instid0(VALU_DEP_3) | instskip(NEXT) | instid1(VALU_DEP_2)
	v_xor3_b32 v9, v7, v11, v18
	v_xor_b32_e32 v5, v5, v12
	s_delay_alu instid0(VALU_DEP_2) | instskip(NEXT) | instid1(VALU_DEP_2)
	v_mad_u64_u32 v[7:8], null, 0xd2511f53, v9, 0
	v_xor_b32_e32 v5, v42, v5
	s_delay_alu instid0(VALU_DEP_2) | instskip(NEXT) | instid1(VALU_DEP_2)
	v_xor3_b32 v8, v19, v8, v4
	v_mad_u64_u32 v[9:10], null, 0xcd9e8d57, v5, 0
	s_delay_alu instid0(VALU_DEP_2) | instskip(NEXT) | instid1(VALU_DEP_2)
	v_mad_u64_u32 v[4:5], null, 0xcd9e8d57, v8, 0
	v_xor3_b32 v6, v20, v10, v6
	s_delay_alu instid0(VALU_DEP_2) | instskip(NEXT) | instid1(VALU_DEP_2)
	v_xor3_b32 v8, v21, v5, v9
	v_mad_u64_u32 v[15:16], null, 0xd2511f53, v6, 0
	s_delay_alu instid0(VALU_DEP_2) | instskip(NEXT) | instid1(VALU_DEP_2)
	v_mad_u64_u32 v[5:6], null, 0xd2511f53, v8, 0
	v_xor3_b32 v9, v22, v16, v7
	s_delay_alu instid0(VALU_DEP_2) | instskip(NEXT) | instid1(VALU_DEP_2)
	v_xor3_b32 v6, v23, v6, v15
	v_mad_u64_u32 v[7:8], null, 0xcd9e8d57, v9, 0
	s_delay_alu instid0(VALU_DEP_1) | instskip(NEXT) | instid1(VALU_DEP_3)
	v_xor3_b32 v4, v24, v8, v4
	v_mad_u64_u32 v[8:9], null, 0xcd9e8d57, v6, 0
	s_delay_alu instid0(VALU_DEP_2) | instskip(NEXT) | instid1(VALU_DEP_2)
	v_mad_u64_u32 v[15:16], null, 0xd2511f53, v4, 0
	v_xor3_b32 v6, v25, v9, v7
	s_delay_alu instid0(VALU_DEP_2) | instskip(NEXT) | instid1(VALU_DEP_2)
	v_xor3_b32 v9, v26, v16, v5
	v_mad_u64_u32 v[4:5], null, 0xd2511f53, v6, 0
	s_delay_alu instid0(VALU_DEP_2) | instskip(NEXT) | instid1(VALU_DEP_2)
	v_mad_u64_u32 v[6:7], null, 0xcd9e8d57, v9, 0
	v_xor3_b32 v5, v27, v5, v15
	s_delay_alu instid0(VALU_DEP_2) | instskip(NEXT) | instid1(VALU_DEP_2)
	;; [unrolled: 6-line block ×6, first 2 shown]
	v_xor3_b32 v4, v6, v7, v35
	v_mov_b32_e32 v6, v10
	v_cmpx_lt_i32_e32 1, v34
	s_xor_b32 s11, exec_lo, s11
	s_cbranch_execnz .LBB145_14
; %bb.9:                                ;   in Loop: Header=BB145_8 Depth=1
	s_and_not1_saveexec_b32 s11, s11
	s_cbranch_execnz .LBB145_19
.LBB145_10:                             ;   in Loop: Header=BB145_8 Depth=1
	s_or_b32 exec_lo, exec_lo, s11
	s_delay_alu instid0(SALU_CYCLE_1)
	s_mov_b32 s11, exec_lo
	v_cmpx_gt_i64_e64 s[4:5], v[13:14]
	s_cbranch_execz .LBB145_12
.LBB145_11:                             ;   in Loop: Header=BB145_8 Depth=1
	v_lshrrev_b32_e32 v1, 11, v1
	s_delay_alu instid0(VALU_DEP_1) | instskip(SKIP_1) | instid1(VALU_DEP_2)
	v_cvt_f64_u32_e32 v[7:8], v1
	v_cvt_f64_u32_e32 v[0:1], v0
	v_ldexp_f64 v[7:8], v[7:8], 32
	s_delay_alu instid0(VALU_DEP_1) | instskip(NEXT) | instid1(VALU_DEP_1)
	v_add_f64 v[0:1], v[7:8], v[0:1]
	v_fma_f64 v[0:1], 0x3ca00000, v[0:1], 0x3ca00000
	s_delay_alu instid0(VALU_DEP_1) | instskip(SKIP_1) | instid1(VALU_DEP_1)
	v_cvt_f32_f64_e32 v7, v[0:1]
	v_add_nc_u32_e32 v0, s10, v40
	v_ashrrev_i32_e32 v1, 31, v0
	v_add_co_u32 v0, vcc_lo, s6, v0
	s_delay_alu instid0(VALU_DEP_2)
	v_add_co_ci_u32_e32 v1, vcc_lo, s7, v1, vcc_lo
	v_cmp_gt_f32_e32 vcc_lo, v33, v7
	v_cndmask_b32_e64 v7, 0, 1.0, vcc_lo
	global_store_b32 v[0:1], v7, off
.LBB145_12:                             ;   in Loop: Header=BB145_8 Depth=1
	s_or_b32 exec_lo, exec_lo, s11
	v_add_co_u32 v0, vcc_lo, s8, v13
	v_add_co_ci_u32_e32 v1, vcc_lo, 0, v14, vcc_lo
	s_mov_b32 s11, exec_lo
	s_delay_alu instid0(VALU_DEP_1)
	v_cmpx_gt_i64_e64 s[4:5], v[0:1]
	s_cbranch_execz .LBB145_7
; %bb.13:                               ;   in Loop: Header=BB145_8 Depth=1
	v_lshrrev_b32_e32 v0, 11, v3
	v_cvt_f64_u32_e32 v[2:3], v2
	s_delay_alu instid0(VALU_DEP_2) | instskip(NEXT) | instid1(VALU_DEP_1)
	v_cvt_f64_u32_e32 v[0:1], v0
	v_ldexp_f64 v[0:1], v[0:1], 32
	s_delay_alu instid0(VALU_DEP_1) | instskip(NEXT) | instid1(VALU_DEP_1)
	v_add_f64 v[0:1], v[0:1], v[2:3]
	v_fma_f64 v[0:1], 0x3ca00000, v[0:1], 0x3ca00000
	s_delay_alu instid0(VALU_DEP_1) | instskip(SKIP_1) | instid1(VALU_DEP_1)
	v_cvt_f32_f64_e32 v2, v[0:1]
	v_add_nc_u32_e32 v0, s10, v41
	v_ashrrev_i32_e32 v1, 31, v0
	v_add_co_u32 v0, vcc_lo, s6, v0
	s_delay_alu instid0(VALU_DEP_2)
	v_add_co_ci_u32_e32 v1, vcc_lo, s7, v1, vcc_lo
	v_cmp_gt_f32_e32 vcc_lo, v33, v2
	v_cndmask_b32_e64 v2, 0, 1.0, vcc_lo
	global_store_b32 v[0:1], v2, off
	s_branch .LBB145_7
.LBB145_14:                             ;   in Loop: Header=BB145_8 Depth=1
	s_mov_b32 s12, exec_lo
	v_cmpx_lt_i32_e32 2, v34
	s_xor_b32 s12, exec_lo, s12
; %bb.15:                               ;   in Loop: Header=BB145_8 Depth=1
	v_dual_mov_b32 v7, v3 :: v_dual_mov_b32 v8, v4
	v_mov_b32_e32 v9, v5
	s_delay_alu instid0(VALU_DEP_2) | instskip(NEXT) | instid1(VALU_DEP_2)
	v_dual_mov_b32 v0, v7 :: v_dual_mov_b32 v1, v8
	v_dual_mov_b32 v2, v9 :: v_dual_mov_b32 v3, v10
; %bb.16:                               ;   in Loop: Header=BB145_8 Depth=1
	s_and_not1_saveexec_b32 s12, s12
; %bb.17:                               ;   in Loop: Header=BB145_8 Depth=1
	s_delay_alu instid0(VALU_DEP_1)
	v_dual_mov_b32 v0, v2 :: v_dual_mov_b32 v1, v3
	v_dual_mov_b32 v2, v4 :: v_dual_mov_b32 v3, v5
; %bb.18:                               ;   in Loop: Header=BB145_8 Depth=1
	s_or_b32 exec_lo, exec_lo, s12
	s_and_not1_saveexec_b32 s11, s11
	s_cbranch_execz .LBB145_10
.LBB145_19:                             ;   in Loop: Header=BB145_8 Depth=1
	s_mov_b32 s12, exec_lo
	v_cmpx_eq_u32_e32 1, v34
; %bb.20:                               ;   in Loop: Header=BB145_8 Depth=1
	v_dual_mov_b32 v0, v1 :: v_dual_mov_b32 v1, v2
	v_dual_mov_b32 v2, v3 :: v_dual_mov_b32 v3, v4
; %bb.21:                               ;   in Loop: Header=BB145_8 Depth=1
	s_or_b32 exec_lo, exec_lo, s12
	s_delay_alu instid0(SALU_CYCLE_1) | instskip(NEXT) | instid1(SALU_CYCLE_1)
	s_or_b32 exec_lo, exec_lo, s11
	s_mov_b32 s11, exec_lo
	v_cmpx_gt_i64_e64 s[4:5], v[13:14]
	s_cbranch_execnz .LBB145_11
	s_branch .LBB145_12
.LBB145_22:
	s_endpgm
.LBB145_23:
                                        ; implicit-def: $sgpr2_sgpr3
	s_branch .LBB145_4
	.section	.rodata,"a",@progbits
	.p2align	6, 0x0
	.amdhsa_kernel _ZN2at6native12_GLOBAL__N_143distribution_elementwise_grid_stride_kernelIfLi4EZNS0_9templates4cuda21uniform_and_transformIffPNS_17CUDAGeneratorImplEZZZNS4_16bernoulli_kernelIS7_EEvRNS_18TensorIteratorBaseEdT_ENKUlvE_clEvENKUlvE5_clEvEUlfE_EEvSA_T1_T2_EUlP25hiprandStatePhilox4_32_10E_ZNS1_27distribution_nullary_kernelIff15HIP_vector_typeIdLj2EES7_SJ_SE_EEvSA_SG_RKT3_T4_EUlifE_EEvlNS_15PhiloxCudaStateESF_SG_
		.amdhsa_group_segment_fixed_size 0
		.amdhsa_private_segment_fixed_size 0
		.amdhsa_kernarg_size 328
		.amdhsa_user_sgpr_count 15
		.amdhsa_user_sgpr_dispatch_ptr 0
		.amdhsa_user_sgpr_queue_ptr 0
		.amdhsa_user_sgpr_kernarg_segment_ptr 1
		.amdhsa_user_sgpr_dispatch_id 0
		.amdhsa_user_sgpr_private_segment_size 0
		.amdhsa_wavefront_size32 1
		.amdhsa_uses_dynamic_stack 0
		.amdhsa_enable_private_segment 0
		.amdhsa_system_sgpr_workgroup_id_x 1
		.amdhsa_system_sgpr_workgroup_id_y 0
		.amdhsa_system_sgpr_workgroup_id_z 0
		.amdhsa_system_sgpr_workgroup_info 0
		.amdhsa_system_vgpr_workitem_id 0
		.amdhsa_next_free_vgpr 43
		.amdhsa_next_free_sgpr 23
		.amdhsa_reserve_vcc 1
		.amdhsa_float_round_mode_32 0
		.amdhsa_float_round_mode_16_64 0
		.amdhsa_float_denorm_mode_32 3
		.amdhsa_float_denorm_mode_16_64 3
		.amdhsa_dx10_clamp 1
		.amdhsa_ieee_mode 1
		.amdhsa_fp16_overflow 0
		.amdhsa_workgroup_processor_mode 1
		.amdhsa_memory_ordered 1
		.amdhsa_forward_progress 0
		.amdhsa_shared_vgpr_count 0
		.amdhsa_exception_fp_ieee_invalid_op 0
		.amdhsa_exception_fp_denorm_src 0
		.amdhsa_exception_fp_ieee_div_zero 0
		.amdhsa_exception_fp_ieee_overflow 0
		.amdhsa_exception_fp_ieee_underflow 0
		.amdhsa_exception_fp_ieee_inexact 0
		.amdhsa_exception_int_div_zero 0
	.end_amdhsa_kernel
	.section	.text._ZN2at6native12_GLOBAL__N_143distribution_elementwise_grid_stride_kernelIfLi4EZNS0_9templates4cuda21uniform_and_transformIffPNS_17CUDAGeneratorImplEZZZNS4_16bernoulli_kernelIS7_EEvRNS_18TensorIteratorBaseEdT_ENKUlvE_clEvENKUlvE5_clEvEUlfE_EEvSA_T1_T2_EUlP25hiprandStatePhilox4_32_10E_ZNS1_27distribution_nullary_kernelIff15HIP_vector_typeIdLj2EES7_SJ_SE_EEvSA_SG_RKT3_T4_EUlifE_EEvlNS_15PhiloxCudaStateESF_SG_,"axG",@progbits,_ZN2at6native12_GLOBAL__N_143distribution_elementwise_grid_stride_kernelIfLi4EZNS0_9templates4cuda21uniform_and_transformIffPNS_17CUDAGeneratorImplEZZZNS4_16bernoulli_kernelIS7_EEvRNS_18TensorIteratorBaseEdT_ENKUlvE_clEvENKUlvE5_clEvEUlfE_EEvSA_T1_T2_EUlP25hiprandStatePhilox4_32_10E_ZNS1_27distribution_nullary_kernelIff15HIP_vector_typeIdLj2EES7_SJ_SE_EEvSA_SG_RKT3_T4_EUlifE_EEvlNS_15PhiloxCudaStateESF_SG_,comdat
.Lfunc_end145:
	.size	_ZN2at6native12_GLOBAL__N_143distribution_elementwise_grid_stride_kernelIfLi4EZNS0_9templates4cuda21uniform_and_transformIffPNS_17CUDAGeneratorImplEZZZNS4_16bernoulli_kernelIS7_EEvRNS_18TensorIteratorBaseEdT_ENKUlvE_clEvENKUlvE5_clEvEUlfE_EEvSA_T1_T2_EUlP25hiprandStatePhilox4_32_10E_ZNS1_27distribution_nullary_kernelIff15HIP_vector_typeIdLj2EES7_SJ_SE_EEvSA_SG_RKT3_T4_EUlifE_EEvlNS_15PhiloxCudaStateESF_SG_, .Lfunc_end145-_ZN2at6native12_GLOBAL__N_143distribution_elementwise_grid_stride_kernelIfLi4EZNS0_9templates4cuda21uniform_and_transformIffPNS_17CUDAGeneratorImplEZZZNS4_16bernoulli_kernelIS7_EEvRNS_18TensorIteratorBaseEdT_ENKUlvE_clEvENKUlvE5_clEvEUlfE_EEvSA_T1_T2_EUlP25hiprandStatePhilox4_32_10E_ZNS1_27distribution_nullary_kernelIff15HIP_vector_typeIdLj2EES7_SJ_SE_EEvSA_SG_RKT3_T4_EUlifE_EEvlNS_15PhiloxCudaStateESF_SG_
                                        ; -- End function
	.section	.AMDGPU.csdata,"",@progbits
; Kernel info:
; codeLenInByte = 2760
; NumSgprs: 25
; NumVgprs: 43
; ScratchSize: 0
; MemoryBound: 0
; FloatMode: 240
; IeeeMode: 1
; LDSByteSize: 0 bytes/workgroup (compile time only)
; SGPRBlocks: 3
; VGPRBlocks: 5
; NumSGPRsForWavesPerEU: 25
; NumVGPRsForWavesPerEU: 43
; Occupancy: 16
; WaveLimiterHint : 0
; COMPUTE_PGM_RSRC2:SCRATCH_EN: 0
; COMPUTE_PGM_RSRC2:USER_SGPR: 15
; COMPUTE_PGM_RSRC2:TRAP_HANDLER: 0
; COMPUTE_PGM_RSRC2:TGID_X_EN: 1
; COMPUTE_PGM_RSRC2:TGID_Y_EN: 0
; COMPUTE_PGM_RSRC2:TGID_Z_EN: 0
; COMPUTE_PGM_RSRC2:TIDIG_COMP_CNT: 0
	.section	.text._ZN2at6native12_GLOBAL__N_143distribution_elementwise_grid_stride_kernelIfLi4EZNS0_9templates4cuda21uniform_and_transformIffPNS_17CUDAGeneratorImplEZZZNS4_16bernoulli_kernelIS7_EEvRNS_18TensorIteratorBaseEdT_ENKUlvE_clEvENKUlvE5_clEvEUlfE_EEvSA_T1_T2_EUlP25hiprandStatePhilox4_32_10E_ZNS1_27distribution_nullary_kernelIff15HIP_vector_typeIdLj2EES7_SJ_SE_EEvSA_SG_RKT3_T4_EUlifE0_EEvlNS_15PhiloxCudaStateESF_SG_,"axG",@progbits,_ZN2at6native12_GLOBAL__N_143distribution_elementwise_grid_stride_kernelIfLi4EZNS0_9templates4cuda21uniform_and_transformIffPNS_17CUDAGeneratorImplEZZZNS4_16bernoulli_kernelIS7_EEvRNS_18TensorIteratorBaseEdT_ENKUlvE_clEvENKUlvE5_clEvEUlfE_EEvSA_T1_T2_EUlP25hiprandStatePhilox4_32_10E_ZNS1_27distribution_nullary_kernelIff15HIP_vector_typeIdLj2EES7_SJ_SE_EEvSA_SG_RKT3_T4_EUlifE0_EEvlNS_15PhiloxCudaStateESF_SG_,comdat
	.globl	_ZN2at6native12_GLOBAL__N_143distribution_elementwise_grid_stride_kernelIfLi4EZNS0_9templates4cuda21uniform_and_transformIffPNS_17CUDAGeneratorImplEZZZNS4_16bernoulli_kernelIS7_EEvRNS_18TensorIteratorBaseEdT_ENKUlvE_clEvENKUlvE5_clEvEUlfE_EEvSA_T1_T2_EUlP25hiprandStatePhilox4_32_10E_ZNS1_27distribution_nullary_kernelIff15HIP_vector_typeIdLj2EES7_SJ_SE_EEvSA_SG_RKT3_T4_EUlifE0_EEvlNS_15PhiloxCudaStateESF_SG_ ; -- Begin function _ZN2at6native12_GLOBAL__N_143distribution_elementwise_grid_stride_kernelIfLi4EZNS0_9templates4cuda21uniform_and_transformIffPNS_17CUDAGeneratorImplEZZZNS4_16bernoulli_kernelIS7_EEvRNS_18TensorIteratorBaseEdT_ENKUlvE_clEvENKUlvE5_clEvEUlfE_EEvSA_T1_T2_EUlP25hiprandStatePhilox4_32_10E_ZNS1_27distribution_nullary_kernelIff15HIP_vector_typeIdLj2EES7_SJ_SE_EEvSA_SG_RKT3_T4_EUlifE0_EEvlNS_15PhiloxCudaStateESF_SG_
	.p2align	8
	.type	_ZN2at6native12_GLOBAL__N_143distribution_elementwise_grid_stride_kernelIfLi4EZNS0_9templates4cuda21uniform_and_transformIffPNS_17CUDAGeneratorImplEZZZNS4_16bernoulli_kernelIS7_EEvRNS_18TensorIteratorBaseEdT_ENKUlvE_clEvENKUlvE5_clEvEUlfE_EEvSA_T1_T2_EUlP25hiprandStatePhilox4_32_10E_ZNS1_27distribution_nullary_kernelIff15HIP_vector_typeIdLj2EES7_SJ_SE_EEvSA_SG_RKT3_T4_EUlifE0_EEvlNS_15PhiloxCudaStateESF_SG_,@function
_ZN2at6native12_GLOBAL__N_143distribution_elementwise_grid_stride_kernelIfLi4EZNS0_9templates4cuda21uniform_and_transformIffPNS_17CUDAGeneratorImplEZZZNS4_16bernoulli_kernelIS7_EEvRNS_18TensorIteratorBaseEdT_ENKUlvE_clEvENKUlvE5_clEvEUlfE_EEvSA_T1_T2_EUlP25hiprandStatePhilox4_32_10E_ZNS1_27distribution_nullary_kernelIff15HIP_vector_typeIdLj2EES7_SJ_SE_EEvSA_SG_RKT3_T4_EUlifE0_EEvlNS_15PhiloxCudaStateESF_SG_: ; @_ZN2at6native12_GLOBAL__N_143distribution_elementwise_grid_stride_kernelIfLi4EZNS0_9templates4cuda21uniform_and_transformIffPNS_17CUDAGeneratorImplEZZZNS4_16bernoulli_kernelIS7_EEvRNS_18TensorIteratorBaseEdT_ENKUlvE_clEvENKUlvE5_clEvEUlfE_EEvSA_T1_T2_EUlP25hiprandStatePhilox4_32_10E_ZNS1_27distribution_nullary_kernelIff15HIP_vector_typeIdLj2EES7_SJ_SE_EEvSA_SG_RKT3_T4_EUlifE0_EEvlNS_15PhiloxCudaStateESF_SG_
; %bb.0:
	s_clause 0x2
	s_load_b64 s[4:5], s[0:1], 0x10
	s_load_b128 s[16:19], s[0:1], 0x0
	s_load_b32 s2, s[0:1], 0x20
	s_waitcnt lgkmcnt(0)
	v_dual_mov_b32 v2, s4 :: v_dual_mov_b32 v3, s5
	v_dual_mov_b32 v11, s18 :: v_dual_mov_b32 v12, s19
	s_bitcmp0_b32 s2, 0
	s_mov_b32 s2, 0
	s_cbranch_scc1 .LBB146_2
; %bb.1:
	v_dual_mov_b32 v1, s4 :: v_dual_mov_b32 v2, s5
	v_dual_mov_b32 v4, s18 :: v_dual_mov_b32 v5, s19
	s_load_b64 s[4:5], s[0:1], 0x18
	flat_load_b64 v[2:3], v[1:2]
	flat_load_b64 v[11:12], v[4:5]
	s_waitcnt vmcnt(1) lgkmcnt(0)
	v_add_co_u32 v2, vcc_lo, v2, s4
	v_add_co_ci_u32_e32 v3, vcc_lo, s5, v3, vcc_lo
.LBB146_2:
	s_clause 0x1
	s_load_b32 s3, s[0:1], 0x154
	s_load_b32 s4, s[0:1], 0x148
	s_waitcnt lgkmcnt(0)
	s_and_b32 s5, s3, 0xffff
	s_add_u32 s6, s16, -1
	s_mul_i32 s24, s4, s5
	s_addc_u32 s3, s17, -1
	s_lshl_b32 s25, s24, 2
	s_cmp_lg_u64 s[2:3], 0
	s_cbranch_scc0 .LBB146_49
; %bb.3:
	v_cvt_f32_ubyte0_e32 v1, 0
	v_cvt_f32_u32_e32 v4, s25
	s_sub_u32 s8, 0, s25
	s_subb_u32 s9, 0, 0
	s_delay_alu instid0(VALU_DEP_1) | instskip(NEXT) | instid1(VALU_DEP_1)
	v_fmamk_f32 v1, v1, 0x4f800000, v4
	v_rcp_f32_e32 v1, v1
	s_waitcnt_depctr 0xfff
	v_mul_f32_e32 v1, 0x5f7ffffc, v1
	s_delay_alu instid0(VALU_DEP_1) | instskip(NEXT) | instid1(VALU_DEP_1)
	v_mul_f32_e32 v4, 0x2f800000, v1
	v_trunc_f32_e32 v4, v4
	s_delay_alu instid0(VALU_DEP_1) | instskip(SKIP_1) | instid1(VALU_DEP_2)
	v_fmamk_f32 v1, v4, 0xcf800000, v1
	v_cvt_u32_f32_e32 v4, v4
	v_cvt_u32_f32_e32 v1, v1
	s_delay_alu instid0(VALU_DEP_2) | instskip(NEXT) | instid1(VALU_DEP_2)
	v_readfirstlane_b32 s2, v4
	v_readfirstlane_b32 s7, v1
	s_delay_alu instid0(VALU_DEP_2) | instskip(NEXT) | instid1(VALU_DEP_1)
	s_mul_i32 s10, s8, s2
	s_mul_hi_u32 s12, s8, s7
	s_mul_i32 s11, s9, s7
	s_add_i32 s10, s12, s10
	s_mul_i32 s13, s8, s7
	s_add_i32 s10, s10, s11
	s_mul_hi_u32 s12, s7, s13
	s_mul_hi_u32 s14, s2, s13
	s_mul_i32 s11, s2, s13
	s_mul_hi_u32 s13, s7, s10
	s_mul_i32 s7, s7, s10
	s_mul_hi_u32 s18, s2, s10
	s_add_u32 s7, s12, s7
	s_addc_u32 s12, 0, s13
	s_add_u32 s7, s7, s11
	s_mul_i32 s10, s2, s10
	s_addc_u32 s7, s12, s14
	s_addc_u32 s11, s18, 0
	s_add_u32 s7, s7, s10
	s_addc_u32 s10, 0, s11
	v_add_co_u32 v1, s7, v1, s7
	s_delay_alu instid0(VALU_DEP_1) | instskip(SKIP_1) | instid1(VALU_DEP_1)
	s_cmp_lg_u32 s7, 0
	s_addc_u32 s2, s2, s10
	v_readfirstlane_b32 s7, v1
	s_mul_i32 s10, s8, s2
	s_delay_alu instid0(VALU_DEP_1)
	s_mul_hi_u32 s11, s8, s7
	s_mul_i32 s9, s9, s7
	s_add_i32 s10, s11, s10
	s_mul_i32 s8, s8, s7
	s_add_i32 s10, s10, s9
	s_mul_hi_u32 s11, s2, s8
	s_mul_i32 s12, s2, s8
	s_mul_hi_u32 s8, s7, s8
	s_mul_hi_u32 s13, s7, s10
	s_mul_i32 s7, s7, s10
	s_mul_hi_u32 s9, s2, s10
	s_add_u32 s7, s8, s7
	s_addc_u32 s8, 0, s13
	s_add_u32 s7, s7, s12
	s_mul_i32 s10, s2, s10
	s_addc_u32 s7, s8, s11
	s_addc_u32 s8, s9, 0
	s_add_u32 s7, s7, s10
	s_addc_u32 s8, 0, s8
	v_add_co_u32 v1, s7, v1, s7
	s_delay_alu instid0(VALU_DEP_1) | instskip(SKIP_2) | instid1(VALU_DEP_1)
	s_cmp_lg_u32 s7, 0
	s_addc_u32 s7, s2, s8
	s_ashr_i32 s8, s3, 31
	v_readfirstlane_b32 s10, v1
	s_add_u32 s2, s6, s8
	s_mov_b32 s9, s8
	s_addc_u32 s3, s3, s8
	s_delay_alu instid0(SALU_CYCLE_1) | instskip(NEXT) | instid1(SALU_CYCLE_1)
	s_xor_b64 s[2:3], s[2:3], s[8:9]
	s_mul_i32 s12, s2, s7
	s_mul_hi_u32 s13, s2, s10
	s_mul_hi_u32 s11, s2, s7
	;; [unrolled: 1-line block ×3, first 2 shown]
	s_mul_i32 s10, s3, s10
	s_add_u32 s12, s13, s12
	s_addc_u32 s11, 0, s11
	s_mul_hi_u32 s14, s3, s7
	s_add_u32 s10, s12, s10
	s_mul_i32 s7, s3, s7
	s_addc_u32 s10, s11, s18
	s_addc_u32 s11, s14, 0
	s_add_u32 s7, s10, s7
	s_addc_u32 s10, 0, s11
	s_mul_i32 s12, s25, s7
	s_add_u32 s11, s7, 1
	v_sub_co_u32 v1, s2, s2, s12
	s_mul_hi_u32 s12, s25, s7
	s_addc_u32 s13, s10, 0
	s_mul_i32 s14, s25, s10
	s_delay_alu instid0(VALU_DEP_1)
	v_sub_co_u32 v4, s18, v1, s25
	s_add_u32 s19, s7, 2
	s_addc_u32 s20, s10, 0
	s_add_i32 s12, s12, s14
	s_cmp_lg_u32 s2, 0
	v_readfirstlane_b32 s2, v4
	s_subb_u32 s3, s3, s12
	s_cmp_lg_u32 s18, 0
	s_subb_u32 s12, s3, 0
	s_delay_alu instid0(VALU_DEP_1) | instskip(SKIP_4) | instid1(SALU_CYCLE_1)
	s_cmp_ge_u32 s2, s25
	s_cselect_b32 s2, -1, 0
	s_cmp_eq_u32 s12, 0
	v_readfirstlane_b32 s12, v1
	s_cselect_b32 s2, s2, -1
	s_cmp_lg_u32 s2, 0
	s_cselect_b32 s2, s19, s11
	s_cselect_b32 s11, s20, s13
	s_cmp_ge_u32 s12, s25
	s_cselect_b32 s12, -1, 0
	s_cmp_eq_u32 s3, 0
	s_cselect_b32 s3, s12, -1
	s_delay_alu instid0(SALU_CYCLE_1) | instskip(SKIP_2) | instid1(SALU_CYCLE_1)
	s_cmp_lg_u32 s3, 0
	s_cselect_b32 s3, s11, s10
	s_cselect_b32 s2, s2, s7
	s_xor_b64 s[2:3], s[2:3], s[8:9]
	s_delay_alu instid0(SALU_CYCLE_1)
	s_sub_u32 s2, s2, s8
	s_subb_u32 s3, s3, s8
	s_cbranch_execnz .LBB146_5
.LBB146_4:
	v_cvt_f32_u32_e32 v1, s25
	s_sub_i32 s3, 0, s25
	s_delay_alu instid0(VALU_DEP_1) | instskip(SKIP_2) | instid1(VALU_DEP_1)
	v_rcp_iflag_f32_e32 v1, v1
	s_waitcnt_depctr 0xfff
	v_mul_f32_e32 v1, 0x4f7ffffe, v1
	v_cvt_u32_f32_e32 v1, v1
	s_delay_alu instid0(VALU_DEP_1) | instskip(NEXT) | instid1(VALU_DEP_1)
	v_readfirstlane_b32 s2, v1
	s_mul_i32 s3, s3, s2
	s_delay_alu instid0(SALU_CYCLE_1) | instskip(NEXT) | instid1(SALU_CYCLE_1)
	s_mul_hi_u32 s3, s2, s3
	s_add_i32 s2, s2, s3
	s_delay_alu instid0(SALU_CYCLE_1) | instskip(NEXT) | instid1(SALU_CYCLE_1)
	s_mul_hi_u32 s2, s6, s2
	s_mul_i32 s3, s2, s25
	s_delay_alu instid0(SALU_CYCLE_1)
	s_sub_i32 s3, s6, s3
	s_add_i32 s6, s2, 1
	s_sub_i32 s7, s3, s25
	s_cmp_ge_u32 s3, s25
	s_cselect_b32 s2, s6, s2
	s_cselect_b32 s3, s7, s3
	s_add_i32 s6, s2, 1
	s_cmp_ge_u32 s3, s25
	s_mov_b32 s3, 0
	s_cselect_b32 s2, s6, s2
.LBB146_5:
	v_mov_b32_e32 v1, 0
	s_add_u32 s2, s2, 1
	s_addc_u32 s3, s3, 0
	s_mul_hi_u32 s6, s24, s2
	s_mul_i32 s3, s24, s3
	v_mad_u64_u32 v[13:14], null, s5, s15, v[0:1]
	s_mul_hi_u32 s4, s4, s5
	s_add_i32 s3, s6, s3
	s_mul_i32 s4, s4, s2
	s_mul_i32 s2, s24, s2
	s_add_i32 s3, s3, s4
	s_mov_b32 s4, exec_lo
	s_lshl_b64 s[2:3], s[2:3], 2
	s_delay_alu instid0(SALU_CYCLE_1)
	v_cmpx_gt_i64_e64 s[2:3], v[13:14]
	s_cbranch_execz .LBB146_48
; %bb.6:
	v_alignbit_b32 v17, v3, v2, 2
	v_mad_u64_u32 v[4:5], null, 0xcd9e8d57, v13, 0
	v_lshrrev_b32_e32 v18, 2, v3
	s_waitcnt vmcnt(0)
	v_dual_mov_b32 v9, v12 :: v_dual_add_nc_u32 v28, 0x8ff34781, v11
	v_mad_u64_u32 v[0:1], null, 0xd2511f53, v17, 0
	v_add_co_u32 v20, null, 0x9e3779b9, v11
	v_xor3_b32 v3, v11, v5, v18
	s_delay_alu instid0(VALU_DEP_4) | instskip(SKIP_2) | instid1(VALU_DEP_4)
	v_add_co_u32 v19, null, 0xbb67ae85, v9
	v_add_co_u32 v21, null, 0x3c6ef372, v11
	v_xor_b32_e32 v1, v1, v12
	v_mad_u64_u32 v[5:6], null, 0xd2511f53, v3, 0
	v_add_co_u32 v22, null, 0x76cf5d0a, v9
	s_delay_alu instid0(VALU_DEP_3) | instskip(SKIP_2) | instid1(VALU_DEP_3)
	v_xor_b32_e32 v1, v1, v14
	v_add_co_u32 v23, null, 0x32370b8f, v9
	v_add_co_u32 v24, null, 0xdaa66d2b, v11
	v_mad_u64_u32 v[7:8], null, 0xcd9e8d57, v1, 0
	v_xor3_b32 v3, v19, v6, v0
	v_add_co_u32 v25, null, 0x78dde6e4, v11
	v_add_co_u32 v26, null, 0xed9eba14, v9
	s_delay_alu instid0(VALU_DEP_3) | instskip(SKIP_3) | instid1(VALU_DEP_3)
	v_mad_u64_u32 v[0:1], null, 0xcd9e8d57, v3, 0
	v_xor3_b32 v6, v20, v8, v4
	v_dual_mov_b32 v40, v14 :: v_dual_and_b32 v27, 3, v2
	v_add_co_u32 v29, null, 0xa9066899, v9
	v_mad_u64_u32 v[3:4], null, 0xd2511f53, v6, 0
	v_xor3_b32 v1, v21, v1, v7
	v_add_co_u32 v30, null, 0x1715609d, v11
	s_clause 0x1
	s_load_b64 s[20:21], s[0:1], 0xf4
	s_load_b128 s[12:15], s[0:1], 0x138
	v_add_co_u32 v32, null, 0xb54cda56, v11
	s_delay_alu instid0(VALU_DEP_4) | instskip(SKIP_2) | instid1(VALU_DEP_3)
	v_xor3_b32 v8, v22, v4, v5
	v_mad_u64_u32 v[4:5], null, 0xd2511f53, v1, 0
	v_add_co_u32 v33, null, 0x646e171e, v9
	v_mad_u64_u32 v[6:7], null, 0xcd9e8d57, v8, 0
	s_load_b256 s[4:11], s[0:1], 0x30
	v_add_co_u32 v31, null, 0x5384540f, v11
	s_delay_alu instid0(VALU_DEP_4) | instskip(SKIP_1) | instid1(VALU_DEP_4)
	v_xor3_b32 v3, v23, v5, v3
	v_add_co_u32 v35, null, 0x1fd5c5a3, v9
	v_xor3_b32 v5, v24, v7, v0
	v_add_co_u32 v34, null, 0xf1bbcdc8, v11
	s_delay_alu instid0(VALU_DEP_4) | instskip(NEXT) | instid1(VALU_DEP_3)
	v_mad_u64_u32 v[0:1], null, 0xcd9e8d57, v3, 0
	v_mad_u64_u32 v[7:8], null, 0xd2511f53, v5, 0
	s_waitcnt lgkmcnt(0)
	v_cvt_f32_f64_e32 v36, s[14:15]
	v_add_co_u32 v37, null, 0xdb3d7428, v9
	s_add_u32 s18, s0, 48
	s_delay_alu instid0(VALU_DEP_4) | instskip(SKIP_1) | instid1(VALU_DEP_4)
	v_xor3_b32 v3, v25, v1, v6
	s_addc_u32 s19, s1, 0
	v_xor3_b32 v5, v26, v8, v4
	s_add_i32 s22, s4, -1
	v_dual_mov_b32 v39, v13 :: v_dual_add_nc_u32 v38, 0x96a522ad, v12
	v_mad_u64_u32 v[1:2], null, 0xd2511f53, v3, 0
	s_delay_alu instid0(VALU_DEP_3) | instskip(SKIP_4) | instid1(VALU_DEP_2)
	v_mad_u64_u32 v[3:4], null, 0xcd9e8d57, v5, 0
	s_cmp_gt_u32 s22, 1
	s_mov_b32 s26, 0
	s_cselect_b32 s11, -1, 0
	s_cmp_lg_u32 s4, 0
	v_xor3_b32 v2, v29, v2, v7
	s_cselect_b32 s27, -1, 0
	s_delay_alu instid0(VALU_DEP_2) | instskip(SKIP_3) | instid1(VALU_DEP_2)
	v_xor3_b32 v0, v30, v4, v0
	s_add_u32 s0, s0, 0xf4
	s_addc_u32 s1, s1, 0
	v_mad_u64_u32 v[4:5], null, 0xcd9e8d57, v2, 0
	v_mad_u64_u32 v[6:7], null, 0xd2511f53, v0, 0
	s_min_u32 s14, s22, 15
	s_cmp_gt_u32 s4, 1
	s_cselect_b32 s4, -1, 0
	s_delay_alu instid0(VALU_DEP_2) | instskip(SKIP_1) | instid1(VALU_DEP_2)
	v_xor3_b32 v2, v32, v5, v3
	s_add_i32 s14, s14, 1
	v_xor3_b32 v5, v33, v7, v1
	s_and_b32 s28, s14, 3
	s_cmp_lg_u32 s22, 2
	v_mad_u64_u32 v[0:1], null, 0xd2511f53, v2, 0
	s_delay_alu instid0(VALU_DEP_2) | instskip(SKIP_3) | instid1(VALU_DEP_2)
	v_mad_u64_u32 v[2:3], null, 0xcd9e8d57, v5, 0
	s_cselect_b32 s29, -1, 0
	s_and_b32 s30, s14, 28
	s_cmp_lg_u32 s28, 0
	v_xor3_b32 v1, v35, v1, v6
	s_cselect_b32 s31, -1, 0
	s_delay_alu instid0(VALU_DEP_2) | instskip(NEXT) | instid1(VALU_DEP_2)
	v_xor3_b32 v3, v31, v3, v4
	v_mad_u64_u32 v[4:5], null, 0xcd9e8d57, v1, 0
	s_delay_alu instid0(VALU_DEP_2) | instskip(NEXT) | instid1(VALU_DEP_2)
	v_mad_u64_u32 v[6:7], null, 0xd2511f53, v3, 0
	v_xor3_b32 v1, v34, v5, v2
	s_delay_alu instid0(VALU_DEP_2) | instskip(NEXT) | instid1(VALU_DEP_2)
	v_xor3_b32 v0, v37, v7, v0
	v_mad_u64_u32 v[7:8], null, 0xd2511f53, v1, 0
	s_delay_alu instid0(VALU_DEP_2) | instskip(NEXT) | instid1(VALU_DEP_2)
	v_mad_u64_u32 v[1:2], null, 0xcd9e8d57, v0, 0
	v_mov_b32_e32 v3, v7
	s_delay_alu instid0(VALU_DEP_2) | instskip(NEXT) | instid1(VALU_DEP_4)
	v_xor3_b32 v0, v2, v4, v28
	v_xor3_b32 v2, v8, v6, v38
	s_branch .LBB146_9
.LBB146_7:                              ;   in Loop: Header=BB146_9 Depth=1
	v_lshrrev_b32_e32 v0, 11, v3
	v_cvt_f64_u32_e32 v[2:3], v2
	s_delay_alu instid0(VALU_DEP_2) | instskip(NEXT) | instid1(VALU_DEP_1)
	v_cvt_f64_u32_e32 v[7:8], v0
	v_ldexp_f64 v[7:8], v[7:8], 32
	s_delay_alu instid0(VALU_DEP_1) | instskip(NEXT) | instid1(VALU_DEP_1)
	v_add_f64 v[2:3], v[7:8], v[2:3]
	v_fma_f64 v[2:3], 0x3ca00000, v[2:3], 0x3ca00000
	s_delay_alu instid0(VALU_DEP_1) | instskip(NEXT) | instid1(VALU_DEP_1)
	v_cvt_f32_f64_e32 v0, v[2:3]
	v_cmp_gt_f32_e32 vcc_lo, v36, v0
	v_cndmask_b32_e64 v0, 0, 1.0, vcc_lo
	global_store_b32 v1, v0, s[12:13]
.LBB146_8:                              ;   in Loop: Header=BB146_9 Depth=1
	s_or_b32 exec_lo, exec_lo, s33
	v_add_co_u32 v13, vcc_lo, v13, s25
	v_add_co_ci_u32_e32 v14, vcc_lo, 0, v14, vcc_lo
	v_mov_b32_e32 v7, v15
	v_dual_mov_b32 v0, v4 :: v_dual_mov_b32 v1, v5
	s_delay_alu instid0(VALU_DEP_3) | instskip(NEXT) | instid1(VALU_DEP_3)
	v_cmp_le_i64_e32 vcc_lo, s[2:3], v[13:14]
	v_dual_mov_b32 v2, v6 :: v_dual_mov_b32 v3, v7
	s_waitcnt_vscnt null, 0x0
	s_barrier
	buffer_gl0_inv
	s_or_b32 s26, vcc_lo, s26
	s_delay_alu instid0(SALU_CYCLE_1)
	s_and_not1_b32 exec_lo, exec_lo, s26
	s_cbranch_execz .LBB146_48
.LBB146_9:                              ; =>This Loop Header: Depth=1
                                        ;     Child Loop BB146_24 Depth 2
                                        ;     Child Loop BB146_29 Depth 2
	;; [unrolled: 1-line block ×4, first 2 shown]
	v_add_co_u32 v17, vcc_lo, v17, 1
	s_delay_alu instid0(VALU_DEP_1) | instskip(SKIP_2) | instid1(VALU_DEP_1)
	v_cndmask_b32_e64 v4, 0, 1, vcc_lo
	v_add_co_ci_u32_e32 v18, vcc_lo, 0, v18, vcc_lo
	s_mov_b32 s14, exec_lo
	v_cmp_eq_u32_e32 vcc_lo, 0, v18
	s_delay_alu instid0(VALU_DEP_3) | instskip(NEXT) | instid1(VALU_DEP_1)
	v_cndmask_b32_e32 v4, 0, v4, vcc_lo
	v_add_nc_u32_e32 v39, v4, v39
	s_delay_alu instid0(VALU_DEP_1) | instskip(SKIP_2) | instid1(VALU_DEP_2)
	v_cmp_eq_u32_e32 vcc_lo, 0, v39
	v_cndmask_b32_e32 v4, 0, v4, vcc_lo
	v_mad_u64_u32 v[6:7], null, 0xcd9e8d57, v39, 0
	v_add_nc_u32_e32 v40, v4, v40
	v_mad_u64_u32 v[4:5], null, 0xd2511f53, v17, 0
	s_delay_alu instid0(VALU_DEP_3) | instskip(NEXT) | instid1(VALU_DEP_2)
	v_xor3_b32 v9, v7, v11, v18
	v_xor_b32_e32 v5, v5, v12
	s_delay_alu instid0(VALU_DEP_2) | instskip(NEXT) | instid1(VALU_DEP_2)
	v_mad_u64_u32 v[7:8], null, 0xd2511f53, v9, 0
	v_xor_b32_e32 v5, v40, v5
	s_delay_alu instid0(VALU_DEP_2) | instskip(NEXT) | instid1(VALU_DEP_2)
	v_xor3_b32 v8, v19, v8, v4
	v_mad_u64_u32 v[9:10], null, 0xcd9e8d57, v5, 0
	s_delay_alu instid0(VALU_DEP_2) | instskip(NEXT) | instid1(VALU_DEP_2)
	v_mad_u64_u32 v[4:5], null, 0xcd9e8d57, v8, 0
	v_xor3_b32 v6, v20, v10, v6
	s_delay_alu instid0(VALU_DEP_2) | instskip(NEXT) | instid1(VALU_DEP_2)
	v_xor3_b32 v8, v21, v5, v9
	v_mad_u64_u32 v[15:16], null, 0xd2511f53, v6, 0
	s_delay_alu instid0(VALU_DEP_2) | instskip(NEXT) | instid1(VALU_DEP_2)
	v_mad_u64_u32 v[5:6], null, 0xd2511f53, v8, 0
	v_xor3_b32 v9, v22, v16, v7
	s_delay_alu instid0(VALU_DEP_2) | instskip(NEXT) | instid1(VALU_DEP_2)
	v_xor3_b32 v6, v23, v6, v15
	v_mad_u64_u32 v[7:8], null, 0xcd9e8d57, v9, 0
	s_delay_alu instid0(VALU_DEP_1) | instskip(NEXT) | instid1(VALU_DEP_3)
	v_xor3_b32 v4, v24, v8, v4
	v_mad_u64_u32 v[8:9], null, 0xcd9e8d57, v6, 0
	s_delay_alu instid0(VALU_DEP_2) | instskip(NEXT) | instid1(VALU_DEP_2)
	v_mad_u64_u32 v[15:16], null, 0xd2511f53, v4, 0
	v_xor3_b32 v6, v25, v9, v7
	s_delay_alu instid0(VALU_DEP_2) | instskip(NEXT) | instid1(VALU_DEP_2)
	v_xor3_b32 v9, v26, v16, v5
	v_mad_u64_u32 v[4:5], null, 0xd2511f53, v6, 0
	s_delay_alu instid0(VALU_DEP_2) | instskip(NEXT) | instid1(VALU_DEP_2)
	v_mad_u64_u32 v[6:7], null, 0xcd9e8d57, v9, 0
	v_xor3_b32 v5, v29, v5, v15
	s_delay_alu instid0(VALU_DEP_2) | instskip(NEXT) | instid1(VALU_DEP_2)
	;; [unrolled: 6-line block ×6, first 2 shown]
	v_xor3_b32 v4, v6, v7, v28
	v_mov_b32_e32 v6, v10
	v_cmpx_lt_i32_e32 1, v27
	s_xor_b32 s14, exec_lo, s14
	s_cbranch_execnz .LBB146_12
; %bb.10:                               ;   in Loop: Header=BB146_9 Depth=1
	s_and_not1_saveexec_b32 s14, s14
	s_cbranch_execnz .LBB146_17
.LBB146_11:                             ;   in Loop: Header=BB146_9 Depth=1
	s_or_b32 exec_lo, exec_lo, s14
	s_delay_alu instid0(SALU_CYCLE_1)
	s_mov_b32 s33, exec_lo
	v_cmpx_gt_i64_e64 s[16:17], v[13:14]
	s_cbranch_execnz .LBB146_20
	s_branch .LBB146_34
.LBB146_12:                             ;   in Loop: Header=BB146_9 Depth=1
	s_mov_b32 s15, exec_lo
	v_cmpx_lt_i32_e32 2, v27
	s_xor_b32 s15, exec_lo, s15
; %bb.13:                               ;   in Loop: Header=BB146_9 Depth=1
	v_dual_mov_b32 v7, v3 :: v_dual_mov_b32 v8, v4
	v_mov_b32_e32 v9, v5
	s_delay_alu instid0(VALU_DEP_2) | instskip(NEXT) | instid1(VALU_DEP_2)
	v_dual_mov_b32 v0, v7 :: v_dual_mov_b32 v1, v8
	v_dual_mov_b32 v2, v9 :: v_dual_mov_b32 v3, v10
; %bb.14:                               ;   in Loop: Header=BB146_9 Depth=1
	s_and_not1_saveexec_b32 s15, s15
; %bb.15:                               ;   in Loop: Header=BB146_9 Depth=1
	s_delay_alu instid0(VALU_DEP_1)
	v_dual_mov_b32 v0, v2 :: v_dual_mov_b32 v1, v3
	v_dual_mov_b32 v2, v4 :: v_dual_mov_b32 v3, v5
; %bb.16:                               ;   in Loop: Header=BB146_9 Depth=1
	s_or_b32 exec_lo, exec_lo, s15
	s_and_not1_saveexec_b32 s14, s14
	s_cbranch_execz .LBB146_11
.LBB146_17:                             ;   in Loop: Header=BB146_9 Depth=1
	s_mov_b32 s15, exec_lo
	v_cmpx_eq_u32_e32 1, v27
; %bb.18:                               ;   in Loop: Header=BB146_9 Depth=1
	v_dual_mov_b32 v0, v1 :: v_dual_mov_b32 v1, v2
	v_dual_mov_b32 v2, v3 :: v_dual_mov_b32 v3, v4
; %bb.19:                               ;   in Loop: Header=BB146_9 Depth=1
	s_or_b32 exec_lo, exec_lo, s15
	s_delay_alu instid0(SALU_CYCLE_1) | instskip(NEXT) | instid1(SALU_CYCLE_1)
	s_or_b32 exec_lo, exec_lo, s14
	s_mov_b32 s33, exec_lo
	v_cmpx_gt_i64_e64 s[16:17], v[13:14]
	s_cbranch_execz .LBB146_34
.LBB146_20:                             ;   in Loop: Header=BB146_9 Depth=1
	s_and_not1_b32 vcc_lo, exec_lo, s11
	s_cbranch_vccnz .LBB146_26
; %bb.21:                               ;   in Loop: Header=BB146_9 Depth=1
	v_mov_b32_e32 v7, 0
	s_and_not1_b32 vcc_lo, exec_lo, s27
	s_cbranch_vccnz .LBB146_30
; %bb.22:                               ;   in Loop: Header=BB146_9 Depth=1
	s_and_not1_b32 vcc_lo, exec_lo, s29
	s_mov_b32 s14, 0
	s_cbranch_vccnz .LBB146_27
; %bb.23:                               ;   in Loop: Header=BB146_9 Depth=1
	v_dual_mov_b32 v7, 0 :: v_dual_mov_b32 v8, v13
	s_mov_b32 s34, 0
	s_mov_b64 s[14:15], s[18:19]
	s_mov_b64 s[22:23], s[0:1]
.LBB146_24:                             ;   Parent Loop BB146_9 Depth=1
                                        ; =>  This Inner Loop Header: Depth=2
	s_clause 0x1
	s_load_b256 s[36:43], s[14:15], 0x4
	s_load_b128 s[44:47], s[14:15], 0x24
	s_load_b128 s[48:51], s[22:23], 0x0
	s_add_u32 s14, s14, 48
	s_addc_u32 s15, s15, 0
	s_add_i32 s34, s34, 4
	s_add_u32 s22, s22, 16
	s_addc_u32 s23, s23, 0
	s_cmp_lg_u32 s30, s34
	s_waitcnt lgkmcnt(0)
	v_mul_hi_u32 v9, s37, v8
	s_delay_alu instid0(VALU_DEP_1) | instskip(NEXT) | instid1(VALU_DEP_1)
	v_add_nc_u32_e32 v9, v8, v9
	v_lshrrev_b32_e32 v9, s38, v9
	s_delay_alu instid0(VALU_DEP_1) | instskip(SKIP_1) | instid1(VALU_DEP_2)
	v_mul_hi_u32 v10, s40, v9
	v_mul_lo_u32 v42, v9, s36
	v_add_nc_u32_e32 v10, v9, v10
	s_delay_alu instid0(VALU_DEP_2) | instskip(NEXT) | instid1(VALU_DEP_2)
	v_sub_nc_u32_e32 v42, v8, v42
	v_lshrrev_b32_e32 v10, s41, v10
	s_delay_alu instid0(VALU_DEP_2) | instskip(NEXT) | instid1(VALU_DEP_2)
	v_mul_lo_u32 v42, v42, s48
	v_mul_hi_u32 v16, s43, v10
	v_mul_lo_u32 v43, v10, s39
	s_delay_alu instid0(VALU_DEP_2) | instskip(NEXT) | instid1(VALU_DEP_2)
	v_add_nc_u32_e32 v16, v10, v16
	v_sub_nc_u32_e32 v9, v9, v43
	s_delay_alu instid0(VALU_DEP_2) | instskip(NEXT) | instid1(VALU_DEP_2)
	v_lshrrev_b32_e32 v16, s44, v16
	v_mul_lo_u32 v9, v9, s49
	s_delay_alu instid0(VALU_DEP_2) | instskip(NEXT) | instid1(VALU_DEP_2)
	v_mul_hi_u32 v41, s46, v16
	v_add3_u32 v7, v42, v7, v9
	s_delay_alu instid0(VALU_DEP_2) | instskip(NEXT) | instid1(VALU_DEP_1)
	v_add_nc_u32_e32 v41, v16, v41
	v_lshrrev_b32_e32 v8, s47, v41
	v_mul_lo_u32 v41, v16, s42
	s_delay_alu instid0(VALU_DEP_2) | instskip(NEXT) | instid1(VALU_DEP_2)
	v_mul_lo_u32 v44, v8, s45
	v_sub_nc_u32_e32 v10, v10, v41
	s_delay_alu instid0(VALU_DEP_2) | instskip(NEXT) | instid1(VALU_DEP_2)
	v_sub_nc_u32_e32 v16, v16, v44
	v_mul_lo_u32 v10, v10, s50
	s_delay_alu instid0(VALU_DEP_2) | instskip(NEXT) | instid1(VALU_DEP_1)
	v_mul_lo_u32 v16, v16, s51
	v_add3_u32 v7, v10, v7, v16
	s_cbranch_scc1 .LBB146_24
; %bb.25:                               ;   in Loop: Header=BB146_9 Depth=1
	s_mov_b32 s14, s30
	s_and_not1_b32 vcc_lo, exec_lo, s31
	s_cbranch_vccz .LBB146_28
	s_branch .LBB146_30
.LBB146_26:                             ;   in Loop: Header=BB146_9 Depth=1
                                        ; implicit-def: $vgpr7
	s_branch .LBB146_31
.LBB146_27:                             ;   in Loop: Header=BB146_9 Depth=1
	v_mov_b32_e32 v8, v13
	s_and_not1_b32 vcc_lo, exec_lo, s31
	s_cbranch_vccnz .LBB146_30
.LBB146_28:                             ;   in Loop: Header=BB146_9 Depth=1
	s_lshl_b32 s15, s14, 2
	s_mul_i32 s22, s14, 12
	s_add_u32 s14, s0, s15
	s_addc_u32 s15, s1, 0
	s_add_u32 s22, s18, s22
	s_addc_u32 s23, s19, 0
	s_mov_b32 s34, s28
	.p2align	6
.LBB146_29:                             ;   Parent Loop BB146_9 Depth=1
                                        ; =>  This Inner Loop Header: Depth=2
	s_clause 0x1
	s_load_b64 s[36:37], s[22:23], 0x4
	s_load_b32 s35, s[22:23], 0xc
	s_add_u32 s22, s22, 12
	s_addc_u32 s23, s23, 0
	s_waitcnt lgkmcnt(0)
	v_mul_hi_u32 v9, s37, v8
	s_load_b32 s37, s[14:15], 0x0
	s_add_u32 s14, s14, 4
	s_addc_u32 s15, s15, 0
	s_add_i32 s34, s34, -1
	s_delay_alu instid0(SALU_CYCLE_1) | instskip(NEXT) | instid1(VALU_DEP_1)
	s_cmp_lg_u32 s34, 0
	v_add_nc_u32_e32 v9, v8, v9
	s_delay_alu instid0(VALU_DEP_1) | instskip(NEXT) | instid1(VALU_DEP_1)
	v_lshrrev_b32_e32 v16, s35, v9
	v_mul_lo_u32 v9, v16, s36
	s_delay_alu instid0(VALU_DEP_1) | instskip(SKIP_1) | instid1(VALU_DEP_1)
	v_sub_nc_u32_e32 v8, v8, v9
	s_waitcnt lgkmcnt(0)
	v_mad_u64_u32 v[9:10], null, v8, s37, v[7:8]
	s_delay_alu instid0(VALU_DEP_1)
	v_dual_mov_b32 v8, v16 :: v_dual_mov_b32 v7, v9
	s_cbranch_scc1 .LBB146_29
.LBB146_30:                             ;   in Loop: Header=BB146_9 Depth=1
	s_cbranch_execnz .LBB146_33
.LBB146_31:                             ;   in Loop: Header=BB146_9 Depth=1
	v_mul_hi_u32 v7, v13, s6
	s_and_not1_b32 vcc_lo, exec_lo, s4
	s_delay_alu instid0(VALU_DEP_1) | instskip(NEXT) | instid1(VALU_DEP_1)
	v_add_nc_u32_e32 v7, v7, v13
	v_lshrrev_b32_e32 v8, s7, v7
	s_delay_alu instid0(VALU_DEP_1) | instskip(NEXT) | instid1(VALU_DEP_1)
	v_mul_lo_u32 v7, v8, s5
	v_sub_nc_u32_e32 v7, v13, v7
	s_delay_alu instid0(VALU_DEP_1)
	v_mul_lo_u32 v7, v7, s20
	s_cbranch_vccnz .LBB146_33
; %bb.32:                               ;   in Loop: Header=BB146_9 Depth=1
	v_mul_hi_u32 v9, s9, v8
	s_delay_alu instid0(VALU_DEP_1) | instskip(NEXT) | instid1(VALU_DEP_1)
	v_add_nc_u32_e32 v9, v8, v9
	v_lshrrev_b32_e32 v9, s10, v9
	s_delay_alu instid0(VALU_DEP_1) | instskip(NEXT) | instid1(VALU_DEP_1)
	v_mul_lo_u32 v9, v9, s8
	v_sub_nc_u32_e32 v10, v8, v9
	s_delay_alu instid0(VALU_DEP_1) | instskip(NEXT) | instid1(VALU_DEP_1)
	v_mad_u64_u32 v[8:9], null, v10, s21, v[7:8]
	v_mov_b32_e32 v7, v8
.LBB146_33:                             ;   in Loop: Header=BB146_9 Depth=1
	v_lshrrev_b32_e32 v1, 11, v1
	s_delay_alu instid0(VALU_DEP_1) | instskip(SKIP_1) | instid1(VALU_DEP_2)
	v_cvt_f64_u32_e32 v[8:9], v1
	v_cvt_f64_u32_e32 v[0:1], v0
	v_ldexp_f64 v[8:9], v[8:9], 32
	s_delay_alu instid0(VALU_DEP_1) | instskip(NEXT) | instid1(VALU_DEP_1)
	v_add_f64 v[0:1], v[8:9], v[0:1]
	v_fma_f64 v[0:1], 0x3ca00000, v[0:1], 0x3ca00000
	s_delay_alu instid0(VALU_DEP_1) | instskip(NEXT) | instid1(VALU_DEP_1)
	v_cvt_f32_f64_e32 v0, v[0:1]
	v_cmp_gt_f32_e32 vcc_lo, v36, v0
	v_cndmask_b32_e64 v0, 0, 1.0, vcc_lo
	global_store_b32 v7, v0, s[12:13]
.LBB146_34:                             ;   in Loop: Header=BB146_9 Depth=1
	s_or_b32 exec_lo, exec_lo, s33
	v_add_co_u32 v0, vcc_lo, v13, s24
	v_add_co_ci_u32_e32 v1, vcc_lo, 0, v14, vcc_lo
	s_mov_b32 s33, exec_lo
	s_delay_alu instid0(VALU_DEP_1)
	v_cmpx_gt_i64_e64 s[16:17], v[0:1]
	s_cbranch_execz .LBB146_8
; %bb.35:                               ;   in Loop: Header=BB146_9 Depth=1
	s_and_not1_b32 vcc_lo, exec_lo, s11
	s_cbranch_vccnz .LBB146_41
; %bb.36:                               ;   in Loop: Header=BB146_9 Depth=1
	v_mov_b32_e32 v1, 0
	s_and_not1_b32 vcc_lo, exec_lo, s27
	s_cbranch_vccnz .LBB146_45
; %bb.37:                               ;   in Loop: Header=BB146_9 Depth=1
	s_and_not1_b32 vcc_lo, exec_lo, s29
	s_mov_b32 s14, 0
	s_cbranch_vccnz .LBB146_42
; %bb.38:                               ;   in Loop: Header=BB146_9 Depth=1
	v_mov_b32_e32 v1, 0
	v_mov_b32_e32 v7, v0
	s_mov_b32 s34, 0
	s_mov_b64 s[14:15], s[18:19]
	s_mov_b64 s[22:23], s[0:1]
.LBB146_39:                             ;   Parent Loop BB146_9 Depth=1
                                        ; =>  This Inner Loop Header: Depth=2
	s_clause 0x1
	s_load_b256 s[36:43], s[14:15], 0x4
	s_load_b128 s[44:47], s[14:15], 0x24
	s_load_b128 s[48:51], s[22:23], 0x0
	s_add_u32 s14, s14, 48
	s_addc_u32 s15, s15, 0
	s_add_i32 s34, s34, 4
	s_add_u32 s22, s22, 16
	s_addc_u32 s23, s23, 0
	s_cmp_eq_u32 s30, s34
	s_waitcnt lgkmcnt(0)
	v_mul_hi_u32 v8, s37, v7
	s_delay_alu instid0(VALU_DEP_1) | instskip(NEXT) | instid1(VALU_DEP_1)
	v_add_nc_u32_e32 v8, v7, v8
	v_lshrrev_b32_e32 v8, s38, v8
	s_delay_alu instid0(VALU_DEP_1) | instskip(SKIP_1) | instid1(VALU_DEP_2)
	v_mul_hi_u32 v9, s40, v8
	v_mul_lo_u32 v41, v8, s36
	v_add_nc_u32_e32 v9, v8, v9
	s_delay_alu instid0(VALU_DEP_2) | instskip(NEXT) | instid1(VALU_DEP_2)
	v_sub_nc_u32_e32 v41, v7, v41
	v_lshrrev_b32_e32 v9, s41, v9
	s_delay_alu instid0(VALU_DEP_2) | instskip(NEXT) | instid1(VALU_DEP_2)
	v_mul_lo_u32 v41, v41, s48
	v_mul_hi_u32 v10, s43, v9
	v_mul_lo_u32 v42, v9, s39
	s_delay_alu instid0(VALU_DEP_2) | instskip(NEXT) | instid1(VALU_DEP_2)
	v_add_nc_u32_e32 v10, v9, v10
	v_sub_nc_u32_e32 v8, v8, v42
	s_delay_alu instid0(VALU_DEP_2) | instskip(NEXT) | instid1(VALU_DEP_2)
	v_lshrrev_b32_e32 v10, s44, v10
	v_mul_lo_u32 v8, v8, s49
	s_delay_alu instid0(VALU_DEP_2) | instskip(NEXT) | instid1(VALU_DEP_2)
	v_mul_hi_u32 v16, s46, v10
	v_add3_u32 v1, v41, v1, v8
	s_delay_alu instid0(VALU_DEP_2) | instskip(NEXT) | instid1(VALU_DEP_1)
	v_add_nc_u32_e32 v16, v10, v16
	v_lshrrev_b32_e32 v7, s47, v16
	v_mul_lo_u32 v16, v10, s42
	s_delay_alu instid0(VALU_DEP_2) | instskip(NEXT) | instid1(VALU_DEP_2)
	v_mul_lo_u32 v43, v7, s45
	v_sub_nc_u32_e32 v9, v9, v16
	s_delay_alu instid0(VALU_DEP_2) | instskip(NEXT) | instid1(VALU_DEP_2)
	v_sub_nc_u32_e32 v10, v10, v43
	v_mul_lo_u32 v9, v9, s50
	s_delay_alu instid0(VALU_DEP_2) | instskip(NEXT) | instid1(VALU_DEP_1)
	v_mul_lo_u32 v10, v10, s51
	v_add3_u32 v1, v9, v1, v10
	s_cbranch_scc0 .LBB146_39
; %bb.40:                               ;   in Loop: Header=BB146_9 Depth=1
	s_mov_b32 s14, s30
	s_and_not1_b32 vcc_lo, exec_lo, s31
	s_cbranch_vccz .LBB146_43
	s_branch .LBB146_45
.LBB146_41:                             ;   in Loop: Header=BB146_9 Depth=1
                                        ; implicit-def: $vgpr1
	s_branch .LBB146_46
.LBB146_42:                             ;   in Loop: Header=BB146_9 Depth=1
	v_mov_b32_e32 v7, v0
	s_and_not1_b32 vcc_lo, exec_lo, s31
	s_cbranch_vccnz .LBB146_45
.LBB146_43:                             ;   in Loop: Header=BB146_9 Depth=1
	s_lshl_b32 s15, s14, 2
	s_mul_i32 s22, s14, 12
	s_add_u32 s14, s0, s15
	s_addc_u32 s15, s1, 0
	s_add_u32 s22, s18, s22
	s_addc_u32 s23, s19, 0
	s_mov_b32 s34, s28
	.p2align	6
.LBB146_44:                             ;   Parent Loop BB146_9 Depth=1
                                        ; =>  This Inner Loop Header: Depth=2
	s_clause 0x1
	s_load_b64 s[36:37], s[22:23], 0x4
	s_load_b32 s35, s[22:23], 0xc
	s_add_u32 s22, s22, 12
	s_addc_u32 s23, s23, 0
	s_waitcnt lgkmcnt(0)
	v_mul_hi_u32 v8, s37, v7
	s_load_b32 s37, s[14:15], 0x0
	s_add_u32 s14, s14, 4
	s_addc_u32 s15, s15, 0
	s_add_i32 s34, s34, -1
	s_delay_alu instid0(SALU_CYCLE_1) | instskip(NEXT) | instid1(VALU_DEP_1)
	s_cmp_lg_u32 s34, 0
	v_add_nc_u32_e32 v8, v7, v8
	s_delay_alu instid0(VALU_DEP_1) | instskip(NEXT) | instid1(VALU_DEP_1)
	v_lshrrev_b32_e32 v10, s35, v8
	v_mul_lo_u32 v8, v10, s36
	s_delay_alu instid0(VALU_DEP_1) | instskip(SKIP_1) | instid1(VALU_DEP_1)
	v_sub_nc_u32_e32 v7, v7, v8
	s_waitcnt lgkmcnt(0)
	v_mad_u64_u32 v[8:9], null, v7, s37, v[1:2]
	v_mov_b32_e32 v7, v10
	s_delay_alu instid0(VALU_DEP_2)
	v_mov_b32_e32 v1, v8
	s_cbranch_scc1 .LBB146_44
.LBB146_45:                             ;   in Loop: Header=BB146_9 Depth=1
	s_cbranch_execnz .LBB146_7
.LBB146_46:                             ;   in Loop: Header=BB146_9 Depth=1
	v_mul_hi_u32 v1, v0, s6
	s_and_not1_b32 vcc_lo, exec_lo, s4
	s_delay_alu instid0(VALU_DEP_1) | instskip(NEXT) | instid1(VALU_DEP_1)
	v_add_nc_u32_e32 v1, v1, v0
	v_lshrrev_b32_e32 v7, s7, v1
	s_delay_alu instid0(VALU_DEP_1) | instskip(NEXT) | instid1(VALU_DEP_1)
	v_mul_lo_u32 v1, v7, s5
	v_sub_nc_u32_e32 v0, v0, v1
	s_delay_alu instid0(VALU_DEP_1)
	v_mul_lo_u32 v1, v0, s20
	s_cbranch_vccnz .LBB146_7
; %bb.47:                               ;   in Loop: Header=BB146_9 Depth=1
	v_mul_hi_u32 v0, s9, v7
	s_delay_alu instid0(VALU_DEP_1) | instskip(NEXT) | instid1(VALU_DEP_1)
	v_add_nc_u32_e32 v0, v7, v0
	v_lshrrev_b32_e32 v0, s10, v0
	s_delay_alu instid0(VALU_DEP_1) | instskip(NEXT) | instid1(VALU_DEP_1)
	v_mul_lo_u32 v0, v0, s8
	v_sub_nc_u32_e32 v0, v7, v0
	s_delay_alu instid0(VALU_DEP_1) | instskip(NEXT) | instid1(VALU_DEP_1)
	v_mad_u64_u32 v[7:8], null, v0, s21, v[1:2]
	v_mov_b32_e32 v1, v7
	s_branch .LBB146_7
.LBB146_48:
	s_endpgm
.LBB146_49:
                                        ; implicit-def: $sgpr2_sgpr3
	s_branch .LBB146_4
	.section	.rodata,"a",@progbits
	.p2align	6, 0x0
	.amdhsa_kernel _ZN2at6native12_GLOBAL__N_143distribution_elementwise_grid_stride_kernelIfLi4EZNS0_9templates4cuda21uniform_and_transformIffPNS_17CUDAGeneratorImplEZZZNS4_16bernoulli_kernelIS7_EEvRNS_18TensorIteratorBaseEdT_ENKUlvE_clEvENKUlvE5_clEvEUlfE_EEvSA_T1_T2_EUlP25hiprandStatePhilox4_32_10E_ZNS1_27distribution_nullary_kernelIff15HIP_vector_typeIdLj2EES7_SJ_SE_EEvSA_SG_RKT3_T4_EUlifE0_EEvlNS_15PhiloxCudaStateESF_SG_
		.amdhsa_group_segment_fixed_size 0
		.amdhsa_private_segment_fixed_size 0
		.amdhsa_kernarg_size 584
		.amdhsa_user_sgpr_count 15
		.amdhsa_user_sgpr_dispatch_ptr 0
		.amdhsa_user_sgpr_queue_ptr 0
		.amdhsa_user_sgpr_kernarg_segment_ptr 1
		.amdhsa_user_sgpr_dispatch_id 0
		.amdhsa_user_sgpr_private_segment_size 0
		.amdhsa_wavefront_size32 1
		.amdhsa_uses_dynamic_stack 0
		.amdhsa_enable_private_segment 0
		.amdhsa_system_sgpr_workgroup_id_x 1
		.amdhsa_system_sgpr_workgroup_id_y 0
		.amdhsa_system_sgpr_workgroup_id_z 0
		.amdhsa_system_sgpr_workgroup_info 0
		.amdhsa_system_vgpr_workitem_id 0
		.amdhsa_next_free_vgpr 45
		.amdhsa_next_free_sgpr 52
		.amdhsa_reserve_vcc 1
		.amdhsa_float_round_mode_32 0
		.amdhsa_float_round_mode_16_64 0
		.amdhsa_float_denorm_mode_32 3
		.amdhsa_float_denorm_mode_16_64 3
		.amdhsa_dx10_clamp 1
		.amdhsa_ieee_mode 1
		.amdhsa_fp16_overflow 0
		.amdhsa_workgroup_processor_mode 1
		.amdhsa_memory_ordered 1
		.amdhsa_forward_progress 0
		.amdhsa_shared_vgpr_count 0
		.amdhsa_exception_fp_ieee_invalid_op 0
		.amdhsa_exception_fp_denorm_src 0
		.amdhsa_exception_fp_ieee_div_zero 0
		.amdhsa_exception_fp_ieee_overflow 0
		.amdhsa_exception_fp_ieee_underflow 0
		.amdhsa_exception_fp_ieee_inexact 0
		.amdhsa_exception_int_div_zero 0
	.end_amdhsa_kernel
	.section	.text._ZN2at6native12_GLOBAL__N_143distribution_elementwise_grid_stride_kernelIfLi4EZNS0_9templates4cuda21uniform_and_transformIffPNS_17CUDAGeneratorImplEZZZNS4_16bernoulli_kernelIS7_EEvRNS_18TensorIteratorBaseEdT_ENKUlvE_clEvENKUlvE5_clEvEUlfE_EEvSA_T1_T2_EUlP25hiprandStatePhilox4_32_10E_ZNS1_27distribution_nullary_kernelIff15HIP_vector_typeIdLj2EES7_SJ_SE_EEvSA_SG_RKT3_T4_EUlifE0_EEvlNS_15PhiloxCudaStateESF_SG_,"axG",@progbits,_ZN2at6native12_GLOBAL__N_143distribution_elementwise_grid_stride_kernelIfLi4EZNS0_9templates4cuda21uniform_and_transformIffPNS_17CUDAGeneratorImplEZZZNS4_16bernoulli_kernelIS7_EEvRNS_18TensorIteratorBaseEdT_ENKUlvE_clEvENKUlvE5_clEvEUlfE_EEvSA_T1_T2_EUlP25hiprandStatePhilox4_32_10E_ZNS1_27distribution_nullary_kernelIff15HIP_vector_typeIdLj2EES7_SJ_SE_EEvSA_SG_RKT3_T4_EUlifE0_EEvlNS_15PhiloxCudaStateESF_SG_,comdat
.Lfunc_end146:
	.size	_ZN2at6native12_GLOBAL__N_143distribution_elementwise_grid_stride_kernelIfLi4EZNS0_9templates4cuda21uniform_and_transformIffPNS_17CUDAGeneratorImplEZZZNS4_16bernoulli_kernelIS7_EEvRNS_18TensorIteratorBaseEdT_ENKUlvE_clEvENKUlvE5_clEvEUlfE_EEvSA_T1_T2_EUlP25hiprandStatePhilox4_32_10E_ZNS1_27distribution_nullary_kernelIff15HIP_vector_typeIdLj2EES7_SJ_SE_EEvSA_SG_RKT3_T4_EUlifE0_EEvlNS_15PhiloxCudaStateESF_SG_, .Lfunc_end146-_ZN2at6native12_GLOBAL__N_143distribution_elementwise_grid_stride_kernelIfLi4EZNS0_9templates4cuda21uniform_and_transformIffPNS_17CUDAGeneratorImplEZZZNS4_16bernoulli_kernelIS7_EEvRNS_18TensorIteratorBaseEdT_ENKUlvE_clEvENKUlvE5_clEvEUlfE_EEvSA_T1_T2_EUlP25hiprandStatePhilox4_32_10E_ZNS1_27distribution_nullary_kernelIff15HIP_vector_typeIdLj2EES7_SJ_SE_EEvSA_SG_RKT3_T4_EUlifE0_EEvlNS_15PhiloxCudaStateESF_SG_
                                        ; -- End function
	.section	.AMDGPU.csdata,"",@progbits
; Kernel info:
; codeLenInByte = 3960
; NumSgprs: 54
; NumVgprs: 45
; ScratchSize: 0
; MemoryBound: 0
; FloatMode: 240
; IeeeMode: 1
; LDSByteSize: 0 bytes/workgroup (compile time only)
; SGPRBlocks: 6
; VGPRBlocks: 5
; NumSGPRsForWavesPerEU: 54
; NumVGPRsForWavesPerEU: 45
; Occupancy: 16
; WaveLimiterHint : 1
; COMPUTE_PGM_RSRC2:SCRATCH_EN: 0
; COMPUTE_PGM_RSRC2:USER_SGPR: 15
; COMPUTE_PGM_RSRC2:TRAP_HANDLER: 0
; COMPUTE_PGM_RSRC2:TGID_X_EN: 1
; COMPUTE_PGM_RSRC2:TGID_Y_EN: 0
; COMPUTE_PGM_RSRC2:TGID_Z_EN: 0
; COMPUTE_PGM_RSRC2:TIDIG_COMP_CNT: 0
	.section	.text._ZN2at6native12_GLOBAL__N_143distribution_elementwise_grid_stride_kernelIfLi4EZNS0_9templates4cuda21uniform_and_transformIffPNS_17CUDAGeneratorImplEZZZNS4_16bernoulli_kernelIS7_EEvRNS_18TensorIteratorBaseEdT_ENKUlvE_clEvENKUlvE5_clEvEUlfE_EEvSA_T1_T2_EUlP25hiprandStatePhilox4_32_10E0_ZNS1_27distribution_nullary_kernelIff15HIP_vector_typeIfLj4EES7_SJ_SE_EEvSA_SG_RKT3_T4_EUlifE_EEvlNS_15PhiloxCudaStateESF_SG_,"axG",@progbits,_ZN2at6native12_GLOBAL__N_143distribution_elementwise_grid_stride_kernelIfLi4EZNS0_9templates4cuda21uniform_and_transformIffPNS_17CUDAGeneratorImplEZZZNS4_16bernoulli_kernelIS7_EEvRNS_18TensorIteratorBaseEdT_ENKUlvE_clEvENKUlvE5_clEvEUlfE_EEvSA_T1_T2_EUlP25hiprandStatePhilox4_32_10E0_ZNS1_27distribution_nullary_kernelIff15HIP_vector_typeIfLj4EES7_SJ_SE_EEvSA_SG_RKT3_T4_EUlifE_EEvlNS_15PhiloxCudaStateESF_SG_,comdat
	.globl	_ZN2at6native12_GLOBAL__N_143distribution_elementwise_grid_stride_kernelIfLi4EZNS0_9templates4cuda21uniform_and_transformIffPNS_17CUDAGeneratorImplEZZZNS4_16bernoulli_kernelIS7_EEvRNS_18TensorIteratorBaseEdT_ENKUlvE_clEvENKUlvE5_clEvEUlfE_EEvSA_T1_T2_EUlP25hiprandStatePhilox4_32_10E0_ZNS1_27distribution_nullary_kernelIff15HIP_vector_typeIfLj4EES7_SJ_SE_EEvSA_SG_RKT3_T4_EUlifE_EEvlNS_15PhiloxCudaStateESF_SG_ ; -- Begin function _ZN2at6native12_GLOBAL__N_143distribution_elementwise_grid_stride_kernelIfLi4EZNS0_9templates4cuda21uniform_and_transformIffPNS_17CUDAGeneratorImplEZZZNS4_16bernoulli_kernelIS7_EEvRNS_18TensorIteratorBaseEdT_ENKUlvE_clEvENKUlvE5_clEvEUlfE_EEvSA_T1_T2_EUlP25hiprandStatePhilox4_32_10E0_ZNS1_27distribution_nullary_kernelIff15HIP_vector_typeIfLj4EES7_SJ_SE_EEvSA_SG_RKT3_T4_EUlifE_EEvlNS_15PhiloxCudaStateESF_SG_
	.p2align	8
	.type	_ZN2at6native12_GLOBAL__N_143distribution_elementwise_grid_stride_kernelIfLi4EZNS0_9templates4cuda21uniform_and_transformIffPNS_17CUDAGeneratorImplEZZZNS4_16bernoulli_kernelIS7_EEvRNS_18TensorIteratorBaseEdT_ENKUlvE_clEvENKUlvE5_clEvEUlfE_EEvSA_T1_T2_EUlP25hiprandStatePhilox4_32_10E0_ZNS1_27distribution_nullary_kernelIff15HIP_vector_typeIfLj4EES7_SJ_SE_EEvSA_SG_RKT3_T4_EUlifE_EEvlNS_15PhiloxCudaStateESF_SG_,@function
_ZN2at6native12_GLOBAL__N_143distribution_elementwise_grid_stride_kernelIfLi4EZNS0_9templates4cuda21uniform_and_transformIffPNS_17CUDAGeneratorImplEZZZNS4_16bernoulli_kernelIS7_EEvRNS_18TensorIteratorBaseEdT_ENKUlvE_clEvENKUlvE5_clEvEUlfE_EEvSA_T1_T2_EUlP25hiprandStatePhilox4_32_10E0_ZNS1_27distribution_nullary_kernelIff15HIP_vector_typeIfLj4EES7_SJ_SE_EEvSA_SG_RKT3_T4_EUlifE_EEvlNS_15PhiloxCudaStateESF_SG_: ; @_ZN2at6native12_GLOBAL__N_143distribution_elementwise_grid_stride_kernelIfLi4EZNS0_9templates4cuda21uniform_and_transformIffPNS_17CUDAGeneratorImplEZZZNS4_16bernoulli_kernelIS7_EEvRNS_18TensorIteratorBaseEdT_ENKUlvE_clEvENKUlvE5_clEvEUlfE_EEvSA_T1_T2_EUlP25hiprandStatePhilox4_32_10E0_ZNS1_27distribution_nullary_kernelIff15HIP_vector_typeIfLj4EES7_SJ_SE_EEvSA_SG_RKT3_T4_EUlifE_EEvlNS_15PhiloxCudaStateESF_SG_
; %bb.0:
	s_clause 0x2
	s_load_b64 s[8:9], s[0:1], 0x10
	s_load_b128 s[4:7], s[0:1], 0x0
	s_load_b32 s2, s[0:1], 0x20
	s_waitcnt lgkmcnt(0)
	v_dual_mov_b32 v2, s8 :: v_dual_mov_b32 v3, s9
	v_dual_mov_b32 v12, s7 :: v_dual_mov_b32 v11, s6
	s_bitcmp0_b32 s2, 0
	s_mov_b32 s2, 0
	s_cbranch_scc1 .LBB147_2
; %bb.1:
	v_dual_mov_b32 v1, s8 :: v_dual_mov_b32 v2, s9
	v_dual_mov_b32 v4, s6 :: v_dual_mov_b32 v5, s7
	s_load_b64 s[6:7], s[0:1], 0x18
	flat_load_b64 v[2:3], v[1:2]
	flat_load_b64 v[11:12], v[4:5]
	s_waitcnt vmcnt(1) lgkmcnt(0)
	v_add_co_u32 v2, vcc_lo, v2, s6
	v_add_co_ci_u32_e32 v3, vcc_lo, s7, v3, vcc_lo
.LBB147_2:
	s_clause 0x1
	s_load_b32 s3, s[0:1], 0x54
	s_load_b32 s11, s[0:1], 0x48
	s_waitcnt lgkmcnt(0)
	s_and_b32 s10, s3, 0xffff
	s_add_u32 s6, s4, -1
	s_mul_i32 s8, s11, s10
	s_addc_u32 s3, s5, -1
	s_lshl_b32 s9, s8, 2
	s_cmp_lg_u64 s[2:3], 0
	s_cbranch_scc0 .LBB147_27
; %bb.3:
	v_cvt_f32_ubyte0_e32 v1, 0
	v_cvt_f32_u32_e32 v4, s9
	s_sub_u32 s12, 0, s9
	s_subb_u32 s13, 0, 0
	s_delay_alu instid0(VALU_DEP_1) | instskip(NEXT) | instid1(VALU_DEP_1)
	v_fmamk_f32 v1, v1, 0x4f800000, v4
	v_rcp_f32_e32 v1, v1
	s_waitcnt_depctr 0xfff
	v_mul_f32_e32 v1, 0x5f7ffffc, v1
	s_delay_alu instid0(VALU_DEP_1) | instskip(NEXT) | instid1(VALU_DEP_1)
	v_mul_f32_e32 v4, 0x2f800000, v1
	v_trunc_f32_e32 v4, v4
	s_delay_alu instid0(VALU_DEP_1) | instskip(SKIP_1) | instid1(VALU_DEP_2)
	v_fmamk_f32 v1, v4, 0xcf800000, v1
	v_cvt_u32_f32_e32 v4, v4
	v_cvt_u32_f32_e32 v1, v1
	s_delay_alu instid0(VALU_DEP_2) | instskip(NEXT) | instid1(VALU_DEP_2)
	v_readfirstlane_b32 s2, v4
	v_readfirstlane_b32 s7, v1
	s_delay_alu instid0(VALU_DEP_2) | instskip(NEXT) | instid1(VALU_DEP_1)
	s_mul_i32 s14, s12, s2
	s_mul_hi_u32 s17, s12, s7
	s_mul_i32 s16, s13, s7
	s_add_i32 s14, s17, s14
	s_mul_i32 s18, s12, s7
	s_add_i32 s14, s14, s16
	s_mul_hi_u32 s17, s7, s18
	s_mul_hi_u32 s19, s2, s18
	s_mul_i32 s16, s2, s18
	s_mul_hi_u32 s18, s7, s14
	s_mul_i32 s7, s7, s14
	s_mul_hi_u32 s20, s2, s14
	s_add_u32 s7, s17, s7
	s_addc_u32 s17, 0, s18
	s_add_u32 s7, s7, s16
	s_mul_i32 s14, s2, s14
	s_addc_u32 s7, s17, s19
	s_addc_u32 s16, s20, 0
	s_add_u32 s7, s7, s14
	s_addc_u32 s14, 0, s16
	v_add_co_u32 v1, s7, v1, s7
	s_delay_alu instid0(VALU_DEP_1) | instskip(SKIP_1) | instid1(VALU_DEP_1)
	s_cmp_lg_u32 s7, 0
	s_addc_u32 s2, s2, s14
	v_readfirstlane_b32 s7, v1
	s_mul_i32 s14, s12, s2
	s_delay_alu instid0(VALU_DEP_1)
	s_mul_hi_u32 s16, s12, s7
	s_mul_i32 s13, s13, s7
	s_add_i32 s14, s16, s14
	s_mul_i32 s12, s12, s7
	s_add_i32 s14, s14, s13
	s_mul_hi_u32 s16, s2, s12
	s_mul_i32 s17, s2, s12
	s_mul_hi_u32 s12, s7, s12
	s_mul_hi_u32 s18, s7, s14
	s_mul_i32 s7, s7, s14
	s_mul_hi_u32 s13, s2, s14
	s_add_u32 s7, s12, s7
	s_addc_u32 s12, 0, s18
	s_add_u32 s7, s7, s17
	s_mul_i32 s14, s2, s14
	s_addc_u32 s7, s12, s16
	s_addc_u32 s12, s13, 0
	s_add_u32 s7, s7, s14
	s_addc_u32 s12, 0, s12
	v_add_co_u32 v1, s7, v1, s7
	s_delay_alu instid0(VALU_DEP_1) | instskip(SKIP_2) | instid1(VALU_DEP_1)
	s_cmp_lg_u32 s7, 0
	s_addc_u32 s7, s2, s12
	s_ashr_i32 s12, s3, 31
	v_readfirstlane_b32 s14, v1
	s_add_u32 s2, s6, s12
	s_mov_b32 s13, s12
	s_addc_u32 s3, s3, s12
	s_delay_alu instid0(SALU_CYCLE_1) | instskip(NEXT) | instid1(SALU_CYCLE_1)
	s_xor_b64 s[2:3], s[2:3], s[12:13]
	s_mul_i32 s17, s2, s7
	s_mul_hi_u32 s18, s2, s14
	s_mul_hi_u32 s16, s2, s7
	;; [unrolled: 1-line block ×3, first 2 shown]
	s_mul_i32 s14, s3, s14
	s_add_u32 s17, s18, s17
	s_addc_u32 s16, 0, s16
	s_mul_hi_u32 s19, s3, s7
	s_add_u32 s14, s17, s14
	s_mul_i32 s7, s3, s7
	s_addc_u32 s14, s16, s20
	s_addc_u32 s16, s19, 0
	s_add_u32 s7, s14, s7
	s_addc_u32 s14, 0, s16
	s_mul_i32 s17, s9, s7
	s_add_u32 s16, s7, 1
	v_sub_co_u32 v1, s2, s2, s17
	s_mul_hi_u32 s17, s9, s7
	s_addc_u32 s18, s14, 0
	s_mul_i32 s19, s9, s14
	s_delay_alu instid0(VALU_DEP_1)
	v_sub_co_u32 v4, s20, v1, s9
	s_add_u32 s21, s7, 2
	s_addc_u32 s22, s14, 0
	s_add_i32 s17, s17, s19
	s_cmp_lg_u32 s2, 0
	v_readfirstlane_b32 s2, v4
	s_subb_u32 s3, s3, s17
	s_cmp_lg_u32 s20, 0
	s_subb_u32 s17, s3, 0
	s_delay_alu instid0(VALU_DEP_1) | instskip(SKIP_4) | instid1(SALU_CYCLE_1)
	s_cmp_ge_u32 s2, s9
	s_cselect_b32 s2, -1, 0
	s_cmp_eq_u32 s17, 0
	v_readfirstlane_b32 s17, v1
	s_cselect_b32 s2, s2, -1
	s_cmp_lg_u32 s2, 0
	s_cselect_b32 s2, s21, s16
	s_cselect_b32 s16, s22, s18
	s_cmp_ge_u32 s17, s9
	s_cselect_b32 s17, -1, 0
	s_cmp_eq_u32 s3, 0
	s_cselect_b32 s3, s17, -1
	s_delay_alu instid0(SALU_CYCLE_1) | instskip(SKIP_2) | instid1(SALU_CYCLE_1)
	s_cmp_lg_u32 s3, 0
	s_cselect_b32 s3, s16, s14
	s_cselect_b32 s2, s2, s7
	s_xor_b64 s[2:3], s[2:3], s[12:13]
	s_delay_alu instid0(SALU_CYCLE_1)
	s_sub_u32 s2, s2, s12
	s_subb_u32 s3, s3, s12
	s_cbranch_execnz .LBB147_5
.LBB147_4:
	v_cvt_f32_u32_e32 v1, s9
	s_sub_i32 s3, 0, s9
	s_delay_alu instid0(VALU_DEP_1) | instskip(SKIP_2) | instid1(VALU_DEP_1)
	v_rcp_iflag_f32_e32 v1, v1
	s_waitcnt_depctr 0xfff
	v_mul_f32_e32 v1, 0x4f7ffffe, v1
	v_cvt_u32_f32_e32 v1, v1
	s_delay_alu instid0(VALU_DEP_1) | instskip(NEXT) | instid1(VALU_DEP_1)
	v_readfirstlane_b32 s2, v1
	s_mul_i32 s3, s3, s2
	s_delay_alu instid0(SALU_CYCLE_1) | instskip(NEXT) | instid1(SALU_CYCLE_1)
	s_mul_hi_u32 s3, s2, s3
	s_add_i32 s2, s2, s3
	s_delay_alu instid0(SALU_CYCLE_1) | instskip(NEXT) | instid1(SALU_CYCLE_1)
	s_mul_hi_u32 s2, s6, s2
	s_mul_i32 s3, s2, s9
	s_delay_alu instid0(SALU_CYCLE_1)
	s_sub_i32 s3, s6, s3
	s_add_i32 s6, s2, 1
	s_sub_i32 s7, s3, s9
	s_cmp_ge_u32 s3, s9
	s_cselect_b32 s2, s6, s2
	s_cselect_b32 s3, s7, s3
	s_add_i32 s6, s2, 1
	s_cmp_ge_u32 s3, s9
	s_mov_b32 s3, 0
	s_cselect_b32 s2, s6, s2
.LBB147_5:
	v_mov_b32_e32 v1, 0
	s_add_u32 s2, s2, 1
	s_addc_u32 s3, s3, 0
	s_mul_hi_u32 s6, s8, s2
	s_mul_i32 s3, s8, s3
	v_mad_u64_u32 v[13:14], null, s10, s15, v[0:1]
	s_mul_hi_u32 s7, s11, s10
	s_add_i32 s3, s6, s3
	s_mul_i32 s7, s7, s2
	s_mul_i32 s2, s8, s2
	s_add_i32 s3, s3, s7
	s_mov_b32 s6, exec_lo
	s_lshl_b64 s[2:3], s[2:3], 2
	s_delay_alu instid0(SALU_CYCLE_1)
	v_cmpx_gt_i64_e64 s[2:3], v[13:14]
	s_cbranch_execz .LBB147_26
; %bb.6:
	v_alignbit_b32 v17, v3, v2, 2
	v_mad_u64_u32 v[6:7], null, 0xcd9e8d57, v13, 0
	v_lshrrev_b32_e32 v18, 2, v3
	s_waitcnt vmcnt(0)
	v_dual_mov_b32 v15, v12 :: v_dual_add_nc_u32 v28, 0x8ff34781, v11
	v_mad_u64_u32 v[4:5], null, 0xd2511f53, v17, 0
	v_add_co_u32 v20, null, 0x9e3779b9, v11
	v_xor3_b32 v3, v11, v7, v18
	s_delay_alu instid0(VALU_DEP_4) | instskip(SKIP_2) | instid1(VALU_DEP_4)
	v_add_co_u32 v19, null, 0xbb67ae85, v15
	v_add_co_u32 v21, null, 0x3c6ef372, v11
	v_xor_b32_e32 v1, v5, v12
	v_mad_u64_u32 v[7:8], null, 0xd2511f53, v3, 0
	v_add_co_u32 v22, null, 0x76cf5d0a, v15
	s_delay_alu instid0(VALU_DEP_3) | instskip(SKIP_2) | instid1(VALU_DEP_3)
	v_xor_b32_e32 v1, v1, v14
	v_add_co_u32 v23, null, 0x32370b8f, v15
	v_add_co_u32 v24, null, 0xdaa66d2b, v11
	v_mad_u64_u32 v[9:10], null, 0xcd9e8d57, v1, 0
	v_xor3_b32 v1, v19, v8, v4
	v_add_co_u32 v25, null, 0x78dde6e4, v11
	v_add_co_u32 v26, null, 0xed9eba14, v15
	s_delay_alu instid0(VALU_DEP_3) | instskip(SKIP_3) | instid1(VALU_DEP_3)
	v_mad_u64_u32 v[3:4], null, 0xcd9e8d57, v1, 0
	v_xor3_b32 v8, v20, v10, v6
	v_dual_mov_b32 v38, v13 :: v_dual_and_b32 v27, 3, v2
	v_add_co_u32 v29, null, 0xa9066899, v15
	v_mad_u64_u32 v[5:6], null, 0xd2511f53, v8, 0
	v_xor3_b32 v1, v21, v4, v9
	v_add_co_u32 v30, null, 0x1715609d, v11
	s_clause 0x2
	s_load_b64 s[6:7], s[0:1], 0x30
	s_load_b32 s14, s[0:1], 0x38
	s_load_b64 s[12:13], s[0:1], 0x40
	v_add_co_u32 v33, null, 0xb54cda56, v11
	v_xor3_b32 v4, v22, v6, v7
	v_mad_u64_u32 v[6:7], null, 0xd2511f53, v1, 0
	v_add_co_u32 v35, null, 0x646e171e, v15
	s_delay_alu instid0(VALU_DEP_3) | instskip(SKIP_1) | instid1(VALU_DEP_4)
	v_mad_u64_u32 v[8:9], null, 0xcd9e8d57, v4, 0
	v_add_co_u32 v36, null, 0x1fd5c5a3, v15
	v_xor3_b32 v1, v23, v7, v5
	v_add_co_u32 v32, null, 0x5384540f, v11
	v_add_co_u32 v34, null, 0xf1bbcdc8, v11
	v_xor3_b32 v5, v24, v9, v3
	s_delay_alu instid0(VALU_DEP_4)
	v_mad_u64_u32 v[3:4], null, 0xcd9e8d57, v1, 0
	s_waitcnt lgkmcnt(0)
	v_cvt_f32_f64_e32 v37, s[12:13]
	s_mul_i32 s16, s11, 3
	v_mad_u64_u32 v[9:10], null, 0xd2511f53, v5, 0
	s_add_i32 s18, s15, s11
	s_add_i32 s12, s15, s16
	s_delay_alu instid0(VALU_DEP_3) | instskip(SKIP_2) | instid1(VALU_DEP_3)
	v_xor3_b32 v4, v25, v4, v8
	v_add_co_u32 v39, null, 0xdb3d7428, v15
	s_lshl_b32 s17, s11, 1
	v_xor3_b32 v6, v26, v10, v6
	s_delay_alu instid0(VALU_DEP_3) | instskip(SKIP_1) | instid1(VALU_DEP_3)
	v_mad_u64_u32 v[1:2], null, 0xd2511f53, v4, 0
	v_dual_mov_b32 v44, v14 :: v_dual_add_nc_u32 v31, 0x96a522ad, v12
	v_mad_u64_u32 v[4:5], null, 0xcd9e8d57, v6, 0
	s_mul_i32 s11, s11, s14
	s_mov_b32 s0, 0
	s_delay_alu instid0(VALU_DEP_3) | instskip(SKIP_3) | instid1(VALU_DEP_2)
	v_xor3_b32 v6, v29, v2, v9
	s_mul_i32 s11, s11, s10
	s_lshl_b32 s1, s8, 1
	s_lshl_b32 s11, s11, 2
	v_xor3_b32 v7, v30, v5, v3
	v_mad_u64_u32 v[2:3], null, 0xcd9e8d57, v6, 0
	s_delay_alu instid0(VALU_DEP_2) | instskip(NEXT) | instid1(VALU_DEP_2)
	v_mad_u64_u32 v[5:6], null, 0xd2511f53, v7, 0
	v_xor3_b32 v8, v33, v3, v4
	v_mad_u64_u32 v[3:4], null, s15, s10, v[0:1]
	s_add_i32 s15, s15, s17
	s_delay_alu instid0(VALU_DEP_3) | instskip(NEXT) | instid1(VALU_DEP_3)
	v_xor3_b32 v1, v35, v6, v1
	v_mad_u64_u32 v[6:7], null, 0xd2511f53, v8, 0
	s_delay_alu instid0(VALU_DEP_2) | instskip(NEXT) | instid1(VALU_DEP_4)
	v_mad_u64_u32 v[8:9], null, 0xcd9e8d57, v1, 0
	v_mul_lo_u32 v40, s14, v3
	s_delay_alu instid0(VALU_DEP_3) | instskip(NEXT) | instid1(VALU_DEP_3)
	v_xor3_b32 v1, v36, v7, v5
	v_xor3_b32 v2, v32, v9, v2
	s_delay_alu instid0(VALU_DEP_2) | instskip(SKIP_1) | instid1(VALU_DEP_3)
	v_mad_u64_u32 v[4:5], null, 0xcd9e8d57, v1, 0
	v_mad_u64_u32 v[15:16], null, s18, s10, v[0:1]
	;; [unrolled: 1-line block ×4, first 2 shown]
	s_delay_alu instid0(VALU_DEP_4) | instskip(SKIP_1) | instid1(VALU_DEP_4)
	v_xor3_b32 v1, v34, v5, v8
	s_mov_b32 s12, 0
	v_mul_lo_u32 v43, s14, v15
	s_delay_alu instid0(VALU_DEP_4) | instskip(NEXT) | instid1(VALU_DEP_3)
	v_xor3_b32 v8, v39, v10, v6
	v_mad_u64_u32 v[5:6], null, s15, s10, v[0:1]
	v_mad_u64_u32 v[6:7], null, 0xd2511f53, v1, 0
	s_delay_alu instid0(VALU_DEP_3) | instskip(SKIP_2) | instid1(VALU_DEP_4)
	v_mad_u64_u32 v[1:2], null, 0xcd9e8d57, v8, 0
	v_mul_lo_u32 v41, s14, v41
	s_mul_i32 s10, s8, 3
	v_mul_lo_u32 v42, s14, v5
	s_delay_alu instid0(VALU_DEP_4) | instskip(NEXT) | instid1(VALU_DEP_4)
	v_mov_b32_e32 v3, v6
	v_xor3_b32 v0, v2, v4, v28
	v_xor3_b32 v2, v7, v9, v31
	s_branch .LBB147_8
.LBB147_7:                              ;   in Loop: Header=BB147_8 Depth=1
	s_or_b32 exec_lo, exec_lo, s13
	v_add_co_u32 v13, vcc_lo, v13, s9
	v_add_co_ci_u32_e32 v14, vcc_lo, 0, v14, vcc_lo
	v_mov_b32_e32 v7, v15
	v_dual_mov_b32 v0, v4 :: v_dual_mov_b32 v1, v5
	s_delay_alu instid0(VALU_DEP_3) | instskip(NEXT) | instid1(VALU_DEP_3)
	v_cmp_le_i64_e32 vcc_lo, s[2:3], v[13:14]
	v_dual_mov_b32 v2, v6 :: v_dual_mov_b32 v3, v7
	s_add_i32 s12, s12, s11
	s_waitcnt_vscnt null, 0x0
	s_barrier
	s_or_b32 s0, vcc_lo, s0
	buffer_gl0_inv
	s_and_not1_b32 exec_lo, exec_lo, s0
	s_cbranch_execz .LBB147_26
.LBB147_8:                              ; =>This Inner Loop Header: Depth=1
	v_add_co_u32 v17, vcc_lo, v17, 1
	s_delay_alu instid0(VALU_DEP_1) | instskip(SKIP_2) | instid1(VALU_DEP_1)
	v_cndmask_b32_e64 v4, 0, 1, vcc_lo
	v_add_co_ci_u32_e32 v18, vcc_lo, 0, v18, vcc_lo
	s_mov_b32 s13, exec_lo
	v_cmp_eq_u32_e32 vcc_lo, 0, v18
	s_delay_alu instid0(VALU_DEP_3) | instskip(NEXT) | instid1(VALU_DEP_1)
	v_cndmask_b32_e32 v4, 0, v4, vcc_lo
	v_add_nc_u32_e32 v38, v4, v38
	s_delay_alu instid0(VALU_DEP_1) | instskip(SKIP_2) | instid1(VALU_DEP_2)
	v_cmp_eq_u32_e32 vcc_lo, 0, v38
	v_mad_u64_u32 v[6:7], null, 0xcd9e8d57, v38, 0
	v_cndmask_b32_e32 v4, 0, v4, vcc_lo
	v_xor3_b32 v9, v7, v11, v18
	s_delay_alu instid0(VALU_DEP_2) | instskip(SKIP_1) | instid1(VALU_DEP_3)
	v_add_nc_u32_e32 v44, v4, v44
	v_mad_u64_u32 v[4:5], null, 0xd2511f53, v17, 0
	v_mad_u64_u32 v[7:8], null, 0xd2511f53, v9, 0
	s_delay_alu instid0(VALU_DEP_2) | instskip(NEXT) | instid1(VALU_DEP_2)
	v_xor_b32_e32 v5, v5, v12
	v_xor3_b32 v8, v19, v8, v4
	s_delay_alu instid0(VALU_DEP_2) | instskip(NEXT) | instid1(VALU_DEP_1)
	v_xor_b32_e32 v5, v44, v5
	v_mad_u64_u32 v[9:10], null, 0xcd9e8d57, v5, 0
	s_delay_alu instid0(VALU_DEP_3) | instskip(NEXT) | instid1(VALU_DEP_2)
	v_mad_u64_u32 v[4:5], null, 0xcd9e8d57, v8, 0
	v_xor3_b32 v6, v20, v10, v6
	s_delay_alu instid0(VALU_DEP_2) | instskip(NEXT) | instid1(VALU_DEP_2)
	v_xor3_b32 v8, v21, v5, v9
	v_mad_u64_u32 v[15:16], null, 0xd2511f53, v6, 0
	s_delay_alu instid0(VALU_DEP_2) | instskip(NEXT) | instid1(VALU_DEP_2)
	v_mad_u64_u32 v[5:6], null, 0xd2511f53, v8, 0
	v_xor3_b32 v9, v22, v16, v7
	s_delay_alu instid0(VALU_DEP_2) | instskip(NEXT) | instid1(VALU_DEP_2)
	v_xor3_b32 v6, v23, v6, v15
	v_mad_u64_u32 v[7:8], null, 0xcd9e8d57, v9, 0
	s_delay_alu instid0(VALU_DEP_1) | instskip(NEXT) | instid1(VALU_DEP_3)
	v_xor3_b32 v4, v24, v8, v4
	v_mad_u64_u32 v[8:9], null, 0xcd9e8d57, v6, 0
	s_delay_alu instid0(VALU_DEP_2) | instskip(NEXT) | instid1(VALU_DEP_2)
	v_mad_u64_u32 v[15:16], null, 0xd2511f53, v4, 0
	v_xor3_b32 v6, v25, v9, v7
	s_delay_alu instid0(VALU_DEP_2) | instskip(NEXT) | instid1(VALU_DEP_2)
	v_xor3_b32 v9, v26, v16, v5
	v_mad_u64_u32 v[4:5], null, 0xd2511f53, v6, 0
	s_delay_alu instid0(VALU_DEP_2) | instskip(NEXT) | instid1(VALU_DEP_2)
	v_mad_u64_u32 v[6:7], null, 0xcd9e8d57, v9, 0
	v_xor3_b32 v5, v29, v5, v15
	s_delay_alu instid0(VALU_DEP_2) | instskip(NEXT) | instid1(VALU_DEP_2)
	;; [unrolled: 6-line block ×6, first 2 shown]
	v_xor3_b32 v4, v6, v7, v28
	v_mov_b32_e32 v6, v10
	v_cmpx_lt_i32_e32 1, v27
	s_xor_b32 s13, exec_lo, s13
	s_cbranch_execnz .LBB147_18
; %bb.9:                                ;   in Loop: Header=BB147_8 Depth=1
	s_and_not1_saveexec_b32 s13, s13
	s_cbranch_execnz .LBB147_23
.LBB147_10:                             ;   in Loop: Header=BB147_8 Depth=1
	s_or_b32 exec_lo, exec_lo, s13
	s_delay_alu instid0(SALU_CYCLE_1)
	s_mov_b32 s13, exec_lo
	v_cmpx_gt_i64_e64 s[4:5], v[13:14]
	s_cbranch_execz .LBB147_12
.LBB147_11:                             ;   in Loop: Header=BB147_8 Depth=1
	v_add_nc_u32_e32 v7, s12, v40
	v_cvt_f32_u32_e32 v0, v0
	s_delay_alu instid0(VALU_DEP_2) | instskip(NEXT) | instid1(VALU_DEP_2)
	v_ashrrev_i32_e32 v8, 31, v7
	v_fmaak_f32 v0, 0x2f800000, v0, 0x2f800000
	v_add_co_u32 v7, vcc_lo, s6, v7
	s_delay_alu instid0(VALU_DEP_3) | instskip(NEXT) | instid1(VALU_DEP_3)
	v_add_co_ci_u32_e32 v8, vcc_lo, s7, v8, vcc_lo
	v_cmp_lt_f32_e32 vcc_lo, v0, v37
	v_cndmask_b32_e64 v0, 0, 1.0, vcc_lo
	global_store_b32 v[7:8], v0, off
.LBB147_12:                             ;   in Loop: Header=BB147_8 Depth=1
	s_or_b32 exec_lo, exec_lo, s13
	v_add_co_u32 v7, vcc_lo, s8, v13
	v_add_co_ci_u32_e32 v8, vcc_lo, 0, v14, vcc_lo
	s_mov_b32 s13, exec_lo
	s_delay_alu instid0(VALU_DEP_1)
	v_cmpx_gt_i64_e64 s[4:5], v[7:8]
	s_cbranch_execz .LBB147_14
; %bb.13:                               ;   in Loop: Header=BB147_8 Depth=1
	v_add_nc_u32_e32 v0, s12, v43
	v_cvt_f32_u32_e32 v1, v1
	s_delay_alu instid0(VALU_DEP_2) | instskip(NEXT) | instid1(VALU_DEP_2)
	v_ashrrev_i32_e32 v7, 31, v0
	v_fmaak_f32 v8, 0x2f800000, v1, 0x2f800000
	v_add_co_u32 v0, vcc_lo, s6, v0
	s_delay_alu instid0(VALU_DEP_3) | instskip(NEXT) | instid1(VALU_DEP_3)
	v_add_co_ci_u32_e32 v1, vcc_lo, s7, v7, vcc_lo
	v_cmp_lt_f32_e32 vcc_lo, v8, v37
	v_cndmask_b32_e64 v7, 0, 1.0, vcc_lo
	global_store_b32 v[0:1], v7, off
.LBB147_14:                             ;   in Loop: Header=BB147_8 Depth=1
	s_or_b32 exec_lo, exec_lo, s13
	v_add_co_u32 v0, vcc_lo, s1, v13
	v_add_co_ci_u32_e32 v1, vcc_lo, 0, v14, vcc_lo
	s_mov_b32 s13, exec_lo
	s_delay_alu instid0(VALU_DEP_1)
	v_cmpx_gt_i64_e64 s[4:5], v[0:1]
	s_cbranch_execz .LBB147_16
; %bb.15:                               ;   in Loop: Header=BB147_8 Depth=1
	v_cvt_f32_u32_e32 v1, v2
	s_delay_alu instid0(VALU_DEP_1) | instskip(NEXT) | instid1(VALU_DEP_1)
	v_dual_fmaak_f32 v7, 0x2f800000, v1, 0x2f800000 :: v_dual_add_nc_u32 v0, s12, v42
	v_ashrrev_i32_e32 v2, 31, v0
	v_add_co_u32 v0, vcc_lo, s6, v0
	s_delay_alu instid0(VALU_DEP_2) | instskip(NEXT) | instid1(VALU_DEP_4)
	v_add_co_ci_u32_e32 v1, vcc_lo, s7, v2, vcc_lo
	v_cmp_lt_f32_e32 vcc_lo, v7, v37
	v_cndmask_b32_e64 v2, 0, 1.0, vcc_lo
	global_store_b32 v[0:1], v2, off
.LBB147_16:                             ;   in Loop: Header=BB147_8 Depth=1
	s_or_b32 exec_lo, exec_lo, s13
	v_add_co_u32 v0, vcc_lo, s10, v13
	v_add_co_ci_u32_e32 v1, vcc_lo, 0, v14, vcc_lo
	s_mov_b32 s13, exec_lo
	s_delay_alu instid0(VALU_DEP_1)
	v_cmpx_gt_i64_e64 s[4:5], v[0:1]
	s_cbranch_execz .LBB147_7
; %bb.17:                               ;   in Loop: Header=BB147_8 Depth=1
	v_add_nc_u32_e32 v0, s12, v41
	v_cvt_f32_u32_e32 v1, v3
	s_delay_alu instid0(VALU_DEP_2) | instskip(NEXT) | instid1(VALU_DEP_2)
	v_ashrrev_i32_e32 v2, 31, v0
	v_fmaak_f32 v3, 0x2f800000, v1, 0x2f800000
	v_add_co_u32 v0, vcc_lo, s6, v0
	s_delay_alu instid0(VALU_DEP_3) | instskip(NEXT) | instid1(VALU_DEP_3)
	v_add_co_ci_u32_e32 v1, vcc_lo, s7, v2, vcc_lo
	v_cmp_lt_f32_e32 vcc_lo, v3, v37
	v_cndmask_b32_e64 v2, 0, 1.0, vcc_lo
	global_store_b32 v[0:1], v2, off
	s_branch .LBB147_7
.LBB147_18:                             ;   in Loop: Header=BB147_8 Depth=1
	s_mov_b32 s14, exec_lo
	v_cmpx_lt_i32_e32 2, v27
	s_xor_b32 s14, exec_lo, s14
; %bb.19:                               ;   in Loop: Header=BB147_8 Depth=1
	v_dual_mov_b32 v7, v3 :: v_dual_mov_b32 v8, v4
	v_mov_b32_e32 v9, v5
	s_delay_alu instid0(VALU_DEP_2) | instskip(NEXT) | instid1(VALU_DEP_2)
	v_dual_mov_b32 v0, v7 :: v_dual_mov_b32 v1, v8
	v_dual_mov_b32 v2, v9 :: v_dual_mov_b32 v3, v10
; %bb.20:                               ;   in Loop: Header=BB147_8 Depth=1
	s_and_not1_saveexec_b32 s14, s14
; %bb.21:                               ;   in Loop: Header=BB147_8 Depth=1
	s_delay_alu instid0(VALU_DEP_1)
	v_dual_mov_b32 v0, v2 :: v_dual_mov_b32 v1, v3
	v_dual_mov_b32 v2, v4 :: v_dual_mov_b32 v3, v5
; %bb.22:                               ;   in Loop: Header=BB147_8 Depth=1
	s_or_b32 exec_lo, exec_lo, s14
	s_and_not1_saveexec_b32 s13, s13
	s_cbranch_execz .LBB147_10
.LBB147_23:                             ;   in Loop: Header=BB147_8 Depth=1
	s_mov_b32 s14, exec_lo
	v_cmpx_eq_u32_e32 1, v27
; %bb.24:                               ;   in Loop: Header=BB147_8 Depth=1
	v_dual_mov_b32 v0, v1 :: v_dual_mov_b32 v1, v2
	v_dual_mov_b32 v2, v3 :: v_dual_mov_b32 v3, v4
; %bb.25:                               ;   in Loop: Header=BB147_8 Depth=1
	s_or_b32 exec_lo, exec_lo, s14
	s_delay_alu instid0(SALU_CYCLE_1) | instskip(NEXT) | instid1(SALU_CYCLE_1)
	s_or_b32 exec_lo, exec_lo, s13
	s_mov_b32 s13, exec_lo
	v_cmpx_gt_i64_e64 s[4:5], v[13:14]
	s_cbranch_execnz .LBB147_11
	s_branch .LBB147_12
.LBB147_26:
	s_endpgm
.LBB147_27:
                                        ; implicit-def: $sgpr2_sgpr3
	s_branch .LBB147_4
	.section	.rodata,"a",@progbits
	.p2align	6, 0x0
	.amdhsa_kernel _ZN2at6native12_GLOBAL__N_143distribution_elementwise_grid_stride_kernelIfLi4EZNS0_9templates4cuda21uniform_and_transformIffPNS_17CUDAGeneratorImplEZZZNS4_16bernoulli_kernelIS7_EEvRNS_18TensorIteratorBaseEdT_ENKUlvE_clEvENKUlvE5_clEvEUlfE_EEvSA_T1_T2_EUlP25hiprandStatePhilox4_32_10E0_ZNS1_27distribution_nullary_kernelIff15HIP_vector_typeIfLj4EES7_SJ_SE_EEvSA_SG_RKT3_T4_EUlifE_EEvlNS_15PhiloxCudaStateESF_SG_
		.amdhsa_group_segment_fixed_size 0
		.amdhsa_private_segment_fixed_size 0
		.amdhsa_kernarg_size 328
		.amdhsa_user_sgpr_count 15
		.amdhsa_user_sgpr_dispatch_ptr 0
		.amdhsa_user_sgpr_queue_ptr 0
		.amdhsa_user_sgpr_kernarg_segment_ptr 1
		.amdhsa_user_sgpr_dispatch_id 0
		.amdhsa_user_sgpr_private_segment_size 0
		.amdhsa_wavefront_size32 1
		.amdhsa_uses_dynamic_stack 0
		.amdhsa_enable_private_segment 0
		.amdhsa_system_sgpr_workgroup_id_x 1
		.amdhsa_system_sgpr_workgroup_id_y 0
		.amdhsa_system_sgpr_workgroup_id_z 0
		.amdhsa_system_sgpr_workgroup_info 0
		.amdhsa_system_vgpr_workitem_id 0
		.amdhsa_next_free_vgpr 45
		.amdhsa_next_free_sgpr 23
		.amdhsa_reserve_vcc 1
		.amdhsa_float_round_mode_32 0
		.amdhsa_float_round_mode_16_64 0
		.amdhsa_float_denorm_mode_32 3
		.amdhsa_float_denorm_mode_16_64 3
		.amdhsa_dx10_clamp 1
		.amdhsa_ieee_mode 1
		.amdhsa_fp16_overflow 0
		.amdhsa_workgroup_processor_mode 1
		.amdhsa_memory_ordered 1
		.amdhsa_forward_progress 0
		.amdhsa_shared_vgpr_count 0
		.amdhsa_exception_fp_ieee_invalid_op 0
		.amdhsa_exception_fp_denorm_src 0
		.amdhsa_exception_fp_ieee_div_zero 0
		.amdhsa_exception_fp_ieee_overflow 0
		.amdhsa_exception_fp_ieee_underflow 0
		.amdhsa_exception_fp_ieee_inexact 0
		.amdhsa_exception_int_div_zero 0
	.end_amdhsa_kernel
	.section	.text._ZN2at6native12_GLOBAL__N_143distribution_elementwise_grid_stride_kernelIfLi4EZNS0_9templates4cuda21uniform_and_transformIffPNS_17CUDAGeneratorImplEZZZNS4_16bernoulli_kernelIS7_EEvRNS_18TensorIteratorBaseEdT_ENKUlvE_clEvENKUlvE5_clEvEUlfE_EEvSA_T1_T2_EUlP25hiprandStatePhilox4_32_10E0_ZNS1_27distribution_nullary_kernelIff15HIP_vector_typeIfLj4EES7_SJ_SE_EEvSA_SG_RKT3_T4_EUlifE_EEvlNS_15PhiloxCudaStateESF_SG_,"axG",@progbits,_ZN2at6native12_GLOBAL__N_143distribution_elementwise_grid_stride_kernelIfLi4EZNS0_9templates4cuda21uniform_and_transformIffPNS_17CUDAGeneratorImplEZZZNS4_16bernoulli_kernelIS7_EEvRNS_18TensorIteratorBaseEdT_ENKUlvE_clEvENKUlvE5_clEvEUlfE_EEvSA_T1_T2_EUlP25hiprandStatePhilox4_32_10E0_ZNS1_27distribution_nullary_kernelIff15HIP_vector_typeIfLj4EES7_SJ_SE_EEvSA_SG_RKT3_T4_EUlifE_EEvlNS_15PhiloxCudaStateESF_SG_,comdat
.Lfunc_end147:
	.size	_ZN2at6native12_GLOBAL__N_143distribution_elementwise_grid_stride_kernelIfLi4EZNS0_9templates4cuda21uniform_and_transformIffPNS_17CUDAGeneratorImplEZZZNS4_16bernoulli_kernelIS7_EEvRNS_18TensorIteratorBaseEdT_ENKUlvE_clEvENKUlvE5_clEvEUlfE_EEvSA_T1_T2_EUlP25hiprandStatePhilox4_32_10E0_ZNS1_27distribution_nullary_kernelIff15HIP_vector_typeIfLj4EES7_SJ_SE_EEvSA_SG_RKT3_T4_EUlifE_EEvlNS_15PhiloxCudaStateESF_SG_, .Lfunc_end147-_ZN2at6native12_GLOBAL__N_143distribution_elementwise_grid_stride_kernelIfLi4EZNS0_9templates4cuda21uniform_and_transformIffPNS_17CUDAGeneratorImplEZZZNS4_16bernoulli_kernelIS7_EEvRNS_18TensorIteratorBaseEdT_ENKUlvE_clEvENKUlvE5_clEvEUlfE_EEvSA_T1_T2_EUlP25hiprandStatePhilox4_32_10E0_ZNS1_27distribution_nullary_kernelIff15HIP_vector_typeIfLj4EES7_SJ_SE_EEvSA_SG_RKT3_T4_EUlifE_EEvlNS_15PhiloxCudaStateESF_SG_
                                        ; -- End function
	.section	.AMDGPU.csdata,"",@progbits
; Kernel info:
; codeLenInByte = 2928
; NumSgprs: 25
; NumVgprs: 45
; ScratchSize: 0
; MemoryBound: 0
; FloatMode: 240
; IeeeMode: 1
; LDSByteSize: 0 bytes/workgroup (compile time only)
; SGPRBlocks: 3
; VGPRBlocks: 5
; NumSGPRsForWavesPerEU: 25
; NumVGPRsForWavesPerEU: 45
; Occupancy: 16
; WaveLimiterHint : 0
; COMPUTE_PGM_RSRC2:SCRATCH_EN: 0
; COMPUTE_PGM_RSRC2:USER_SGPR: 15
; COMPUTE_PGM_RSRC2:TRAP_HANDLER: 0
; COMPUTE_PGM_RSRC2:TGID_X_EN: 1
; COMPUTE_PGM_RSRC2:TGID_Y_EN: 0
; COMPUTE_PGM_RSRC2:TGID_Z_EN: 0
; COMPUTE_PGM_RSRC2:TIDIG_COMP_CNT: 0
	.section	.text._ZN2at6native12_GLOBAL__N_143distribution_elementwise_grid_stride_kernelIfLi4EZNS0_9templates4cuda21uniform_and_transformIffPNS_17CUDAGeneratorImplEZZZNS4_16bernoulli_kernelIS7_EEvRNS_18TensorIteratorBaseEdT_ENKUlvE_clEvENKUlvE5_clEvEUlfE_EEvSA_T1_T2_EUlP25hiprandStatePhilox4_32_10E0_ZNS1_27distribution_nullary_kernelIff15HIP_vector_typeIfLj4EES7_SJ_SE_EEvSA_SG_RKT3_T4_EUlifE0_EEvlNS_15PhiloxCudaStateESF_SG_,"axG",@progbits,_ZN2at6native12_GLOBAL__N_143distribution_elementwise_grid_stride_kernelIfLi4EZNS0_9templates4cuda21uniform_and_transformIffPNS_17CUDAGeneratorImplEZZZNS4_16bernoulli_kernelIS7_EEvRNS_18TensorIteratorBaseEdT_ENKUlvE_clEvENKUlvE5_clEvEUlfE_EEvSA_T1_T2_EUlP25hiprandStatePhilox4_32_10E0_ZNS1_27distribution_nullary_kernelIff15HIP_vector_typeIfLj4EES7_SJ_SE_EEvSA_SG_RKT3_T4_EUlifE0_EEvlNS_15PhiloxCudaStateESF_SG_,comdat
	.globl	_ZN2at6native12_GLOBAL__N_143distribution_elementwise_grid_stride_kernelIfLi4EZNS0_9templates4cuda21uniform_and_transformIffPNS_17CUDAGeneratorImplEZZZNS4_16bernoulli_kernelIS7_EEvRNS_18TensorIteratorBaseEdT_ENKUlvE_clEvENKUlvE5_clEvEUlfE_EEvSA_T1_T2_EUlP25hiprandStatePhilox4_32_10E0_ZNS1_27distribution_nullary_kernelIff15HIP_vector_typeIfLj4EES7_SJ_SE_EEvSA_SG_RKT3_T4_EUlifE0_EEvlNS_15PhiloxCudaStateESF_SG_ ; -- Begin function _ZN2at6native12_GLOBAL__N_143distribution_elementwise_grid_stride_kernelIfLi4EZNS0_9templates4cuda21uniform_and_transformIffPNS_17CUDAGeneratorImplEZZZNS4_16bernoulli_kernelIS7_EEvRNS_18TensorIteratorBaseEdT_ENKUlvE_clEvENKUlvE5_clEvEUlfE_EEvSA_T1_T2_EUlP25hiprandStatePhilox4_32_10E0_ZNS1_27distribution_nullary_kernelIff15HIP_vector_typeIfLj4EES7_SJ_SE_EEvSA_SG_RKT3_T4_EUlifE0_EEvlNS_15PhiloxCudaStateESF_SG_
	.p2align	8
	.type	_ZN2at6native12_GLOBAL__N_143distribution_elementwise_grid_stride_kernelIfLi4EZNS0_9templates4cuda21uniform_and_transformIffPNS_17CUDAGeneratorImplEZZZNS4_16bernoulli_kernelIS7_EEvRNS_18TensorIteratorBaseEdT_ENKUlvE_clEvENKUlvE5_clEvEUlfE_EEvSA_T1_T2_EUlP25hiprandStatePhilox4_32_10E0_ZNS1_27distribution_nullary_kernelIff15HIP_vector_typeIfLj4EES7_SJ_SE_EEvSA_SG_RKT3_T4_EUlifE0_EEvlNS_15PhiloxCudaStateESF_SG_,@function
_ZN2at6native12_GLOBAL__N_143distribution_elementwise_grid_stride_kernelIfLi4EZNS0_9templates4cuda21uniform_and_transformIffPNS_17CUDAGeneratorImplEZZZNS4_16bernoulli_kernelIS7_EEvRNS_18TensorIteratorBaseEdT_ENKUlvE_clEvENKUlvE5_clEvEUlfE_EEvSA_T1_T2_EUlP25hiprandStatePhilox4_32_10E0_ZNS1_27distribution_nullary_kernelIff15HIP_vector_typeIfLj4EES7_SJ_SE_EEvSA_SG_RKT3_T4_EUlifE0_EEvlNS_15PhiloxCudaStateESF_SG_: ; @_ZN2at6native12_GLOBAL__N_143distribution_elementwise_grid_stride_kernelIfLi4EZNS0_9templates4cuda21uniform_and_transformIffPNS_17CUDAGeneratorImplEZZZNS4_16bernoulli_kernelIS7_EEvRNS_18TensorIteratorBaseEdT_ENKUlvE_clEvENKUlvE5_clEvEUlfE_EEvSA_T1_T2_EUlP25hiprandStatePhilox4_32_10E0_ZNS1_27distribution_nullary_kernelIff15HIP_vector_typeIfLj4EES7_SJ_SE_EEvSA_SG_RKT3_T4_EUlifE0_EEvlNS_15PhiloxCudaStateESF_SG_
; %bb.0:
	s_clause 0x2
	s_load_b64 s[4:5], s[0:1], 0x10
	s_load_b128 s[16:19], s[0:1], 0x0
	s_load_b32 s2, s[0:1], 0x20
	s_waitcnt lgkmcnt(0)
	v_dual_mov_b32 v2, s4 :: v_dual_mov_b32 v3, s5
	v_dual_mov_b32 v11, s18 :: v_dual_mov_b32 v12, s19
	s_bitcmp0_b32 s2, 0
	s_mov_b32 s2, 0
	s_cbranch_scc1 .LBB148_2
; %bb.1:
	v_dual_mov_b32 v1, s4 :: v_dual_mov_b32 v2, s5
	v_dual_mov_b32 v4, s18 :: v_dual_mov_b32 v5, s19
	s_load_b64 s[4:5], s[0:1], 0x18
	flat_load_b64 v[2:3], v[1:2]
	flat_load_b64 v[11:12], v[4:5]
	s_waitcnt vmcnt(1) lgkmcnt(0)
	v_add_co_u32 v2, vcc_lo, v2, s4
	v_add_co_ci_u32_e32 v3, vcc_lo, s5, v3, vcc_lo
.LBB148_2:
	s_clause 0x1
	s_load_b32 s3, s[0:1], 0x154
	s_load_b32 s4, s[0:1], 0x148
	s_waitcnt lgkmcnt(0)
	s_and_b32 s5, s3, 0xffff
	s_add_u32 s6, s16, -1
	s_mul_i32 s24, s4, s5
	s_addc_u32 s3, s17, -1
	s_lshl_b32 s25, s24, 2
	s_cmp_lg_u64 s[2:3], 0
	s_cbranch_scc0 .LBB148_79
; %bb.3:
	v_cvt_f32_ubyte0_e32 v1, 0
	v_cvt_f32_u32_e32 v4, s25
	s_sub_u32 s8, 0, s25
	s_subb_u32 s9, 0, 0
	s_delay_alu instid0(VALU_DEP_1) | instskip(NEXT) | instid1(VALU_DEP_1)
	v_fmamk_f32 v1, v1, 0x4f800000, v4
	v_rcp_f32_e32 v1, v1
	s_waitcnt_depctr 0xfff
	v_mul_f32_e32 v1, 0x5f7ffffc, v1
	s_delay_alu instid0(VALU_DEP_1) | instskip(NEXT) | instid1(VALU_DEP_1)
	v_mul_f32_e32 v4, 0x2f800000, v1
	v_trunc_f32_e32 v4, v4
	s_delay_alu instid0(VALU_DEP_1) | instskip(SKIP_1) | instid1(VALU_DEP_2)
	v_fmamk_f32 v1, v4, 0xcf800000, v1
	v_cvt_u32_f32_e32 v4, v4
	v_cvt_u32_f32_e32 v1, v1
	s_delay_alu instid0(VALU_DEP_2) | instskip(NEXT) | instid1(VALU_DEP_2)
	v_readfirstlane_b32 s2, v4
	v_readfirstlane_b32 s7, v1
	s_delay_alu instid0(VALU_DEP_2) | instskip(NEXT) | instid1(VALU_DEP_1)
	s_mul_i32 s10, s8, s2
	s_mul_hi_u32 s12, s8, s7
	s_mul_i32 s11, s9, s7
	s_add_i32 s10, s12, s10
	s_mul_i32 s13, s8, s7
	s_add_i32 s10, s10, s11
	s_mul_hi_u32 s12, s7, s13
	s_mul_hi_u32 s14, s2, s13
	s_mul_i32 s11, s2, s13
	s_mul_hi_u32 s13, s7, s10
	s_mul_i32 s7, s7, s10
	s_mul_hi_u32 s18, s2, s10
	s_add_u32 s7, s12, s7
	s_addc_u32 s12, 0, s13
	s_add_u32 s7, s7, s11
	s_mul_i32 s10, s2, s10
	s_addc_u32 s7, s12, s14
	s_addc_u32 s11, s18, 0
	s_add_u32 s7, s7, s10
	s_addc_u32 s10, 0, s11
	v_add_co_u32 v1, s7, v1, s7
	s_delay_alu instid0(VALU_DEP_1) | instskip(SKIP_1) | instid1(VALU_DEP_1)
	s_cmp_lg_u32 s7, 0
	s_addc_u32 s2, s2, s10
	v_readfirstlane_b32 s7, v1
	s_mul_i32 s10, s8, s2
	s_delay_alu instid0(VALU_DEP_1)
	s_mul_hi_u32 s11, s8, s7
	s_mul_i32 s9, s9, s7
	s_add_i32 s10, s11, s10
	s_mul_i32 s8, s8, s7
	s_add_i32 s10, s10, s9
	s_mul_hi_u32 s11, s2, s8
	s_mul_i32 s12, s2, s8
	s_mul_hi_u32 s8, s7, s8
	s_mul_hi_u32 s13, s7, s10
	s_mul_i32 s7, s7, s10
	s_mul_hi_u32 s9, s2, s10
	s_add_u32 s7, s8, s7
	s_addc_u32 s8, 0, s13
	s_add_u32 s7, s7, s12
	s_mul_i32 s10, s2, s10
	s_addc_u32 s7, s8, s11
	s_addc_u32 s8, s9, 0
	s_add_u32 s7, s7, s10
	s_addc_u32 s8, 0, s8
	v_add_co_u32 v1, s7, v1, s7
	s_delay_alu instid0(VALU_DEP_1) | instskip(SKIP_2) | instid1(VALU_DEP_1)
	s_cmp_lg_u32 s7, 0
	s_addc_u32 s7, s2, s8
	s_ashr_i32 s8, s3, 31
	v_readfirstlane_b32 s10, v1
	s_add_u32 s2, s6, s8
	s_mov_b32 s9, s8
	s_addc_u32 s3, s3, s8
	s_delay_alu instid0(SALU_CYCLE_1) | instskip(NEXT) | instid1(SALU_CYCLE_1)
	s_xor_b64 s[2:3], s[2:3], s[8:9]
	s_mul_i32 s12, s2, s7
	s_mul_hi_u32 s13, s2, s10
	s_mul_hi_u32 s11, s2, s7
	;; [unrolled: 1-line block ×3, first 2 shown]
	s_mul_i32 s10, s3, s10
	s_add_u32 s12, s13, s12
	s_addc_u32 s11, 0, s11
	s_mul_hi_u32 s14, s3, s7
	s_add_u32 s10, s12, s10
	s_mul_i32 s7, s3, s7
	s_addc_u32 s10, s11, s18
	s_addc_u32 s11, s14, 0
	s_add_u32 s7, s10, s7
	s_addc_u32 s10, 0, s11
	s_mul_i32 s12, s25, s7
	s_add_u32 s11, s7, 1
	v_sub_co_u32 v1, s2, s2, s12
	s_mul_hi_u32 s12, s25, s7
	s_addc_u32 s13, s10, 0
	s_mul_i32 s14, s25, s10
	s_delay_alu instid0(VALU_DEP_1)
	v_sub_co_u32 v4, s18, v1, s25
	s_add_u32 s19, s7, 2
	s_addc_u32 s20, s10, 0
	s_add_i32 s12, s12, s14
	s_cmp_lg_u32 s2, 0
	v_readfirstlane_b32 s2, v4
	s_subb_u32 s3, s3, s12
	s_cmp_lg_u32 s18, 0
	s_subb_u32 s12, s3, 0
	s_delay_alu instid0(VALU_DEP_1) | instskip(SKIP_4) | instid1(SALU_CYCLE_1)
	s_cmp_ge_u32 s2, s25
	s_cselect_b32 s2, -1, 0
	s_cmp_eq_u32 s12, 0
	v_readfirstlane_b32 s12, v1
	s_cselect_b32 s2, s2, -1
	s_cmp_lg_u32 s2, 0
	s_cselect_b32 s2, s19, s11
	s_cselect_b32 s11, s20, s13
	s_cmp_ge_u32 s12, s25
	s_cselect_b32 s12, -1, 0
	s_cmp_eq_u32 s3, 0
	s_cselect_b32 s3, s12, -1
	s_delay_alu instid0(SALU_CYCLE_1) | instskip(SKIP_2) | instid1(SALU_CYCLE_1)
	s_cmp_lg_u32 s3, 0
	s_cselect_b32 s3, s11, s10
	s_cselect_b32 s2, s2, s7
	s_xor_b64 s[2:3], s[2:3], s[8:9]
	s_delay_alu instid0(SALU_CYCLE_1)
	s_sub_u32 s2, s2, s8
	s_subb_u32 s3, s3, s8
	s_cbranch_execnz .LBB148_5
.LBB148_4:
	v_cvt_f32_u32_e32 v1, s25
	s_sub_i32 s3, 0, s25
	s_delay_alu instid0(VALU_DEP_1) | instskip(SKIP_2) | instid1(VALU_DEP_1)
	v_rcp_iflag_f32_e32 v1, v1
	s_waitcnt_depctr 0xfff
	v_mul_f32_e32 v1, 0x4f7ffffe, v1
	v_cvt_u32_f32_e32 v1, v1
	s_delay_alu instid0(VALU_DEP_1) | instskip(NEXT) | instid1(VALU_DEP_1)
	v_readfirstlane_b32 s2, v1
	s_mul_i32 s3, s3, s2
	s_delay_alu instid0(SALU_CYCLE_1) | instskip(NEXT) | instid1(SALU_CYCLE_1)
	s_mul_hi_u32 s3, s2, s3
	s_add_i32 s2, s2, s3
	s_delay_alu instid0(SALU_CYCLE_1) | instskip(NEXT) | instid1(SALU_CYCLE_1)
	s_mul_hi_u32 s2, s6, s2
	s_mul_i32 s3, s2, s25
	s_delay_alu instid0(SALU_CYCLE_1)
	s_sub_i32 s3, s6, s3
	s_add_i32 s6, s2, 1
	s_sub_i32 s7, s3, s25
	s_cmp_ge_u32 s3, s25
	s_cselect_b32 s2, s6, s2
	s_cselect_b32 s3, s7, s3
	s_add_i32 s6, s2, 1
	s_cmp_ge_u32 s3, s25
	s_mov_b32 s3, 0
	s_cselect_b32 s2, s6, s2
.LBB148_5:
	v_mov_b32_e32 v1, 0
	s_add_u32 s2, s2, 1
	s_addc_u32 s3, s3, 0
	s_mul_hi_u32 s6, s24, s2
	s_mul_i32 s3, s24, s3
	v_mad_u64_u32 v[13:14], null, s5, s15, v[0:1]
	s_mul_hi_u32 s4, s4, s5
	s_add_i32 s3, s6, s3
	s_mul_i32 s4, s4, s2
	s_mul_i32 s2, s24, s2
	s_add_i32 s3, s3, s4
	s_mov_b32 s4, exec_lo
	s_lshl_b64 s[2:3], s[2:3], 2
	s_delay_alu instid0(SALU_CYCLE_1)
	v_cmpx_gt_i64_e64 s[2:3], v[13:14]
	s_cbranch_execz .LBB148_78
; %bb.6:
	v_alignbit_b32 v17, v3, v2, 2
	v_mad_u64_u32 v[4:5], null, 0xcd9e8d57, v13, 0
	v_lshrrev_b32_e32 v18, 2, v3
	s_waitcnt vmcnt(0)
	v_dual_mov_b32 v9, v12 :: v_dual_add_nc_u32 v28, 0x8ff34781, v11
	v_mad_u64_u32 v[0:1], null, 0xd2511f53, v17, 0
	v_add_co_u32 v20, null, 0x9e3779b9, v11
	v_xor3_b32 v3, v11, v5, v18
	s_delay_alu instid0(VALU_DEP_4) | instskip(SKIP_2) | instid1(VALU_DEP_4)
	v_add_co_u32 v19, null, 0xbb67ae85, v9
	v_add_co_u32 v21, null, 0x3c6ef372, v11
	v_xor_b32_e32 v1, v1, v12
	v_mad_u64_u32 v[5:6], null, 0xd2511f53, v3, 0
	v_add_co_u32 v22, null, 0x76cf5d0a, v9
	s_delay_alu instid0(VALU_DEP_3) | instskip(SKIP_2) | instid1(VALU_DEP_3)
	v_xor_b32_e32 v1, v1, v14
	v_add_co_u32 v23, null, 0x32370b8f, v9
	v_add_co_u32 v24, null, 0xdaa66d2b, v11
	v_mad_u64_u32 v[7:8], null, 0xcd9e8d57, v1, 0
	v_xor3_b32 v3, v19, v6, v0
	v_dual_mov_b32 v36, v13 :: v_dual_and_b32 v25, 3, v2
	v_add_co_u32 v26, null, 0x78dde6e4, v11
	s_delay_alu instid0(VALU_DEP_3) | instskip(SKIP_3) | instid1(VALU_DEP_3)
	v_mad_u64_u32 v[0:1], null, 0xcd9e8d57, v3, 0
	v_xor3_b32 v6, v20, v8, v4
	v_add_co_u32 v27, null, 0xed9eba14, v9
	v_add_co_u32 v31, null, 0xa9066899, v9
	v_mad_u64_u32 v[3:4], null, 0xd2511f53, v6, 0
	v_xor3_b32 v1, v21, v1, v7
	v_add_co_u32 v32, null, 0x1715609d, v11
	s_clause 0x1
	s_load_b64 s[20:21], s[0:1], 0xf4
	s_load_b128 s[12:15], s[0:1], 0x138
	v_add_co_u32 v33, null, 0xb54cda56, v11
	s_delay_alu instid0(VALU_DEP_4) | instskip(SKIP_2) | instid1(VALU_DEP_3)
	v_xor3_b32 v8, v22, v4, v5
	v_mad_u64_u32 v[4:5], null, 0xd2511f53, v1, 0
	v_add_co_u32 v34, null, 0x646e171e, v9
	v_mad_u64_u32 v[6:7], null, 0xcd9e8d57, v8, 0
	s_load_b256 s[4:11], s[0:1], 0x30
	v_add_co_u32 v30, null, 0x5384540f, v11
	s_delay_alu instid0(VALU_DEP_4) | instskip(SKIP_1) | instid1(VALU_DEP_4)
	v_xor3_b32 v3, v23, v5, v3
	v_add_co_u32 v37, null, 0x1fd5c5a3, v9
	v_xor3_b32 v5, v24, v7, v0
	v_add_co_u32 v35, null, 0xf1bbcdc8, v11
	s_delay_alu instid0(VALU_DEP_4) | instskip(NEXT) | instid1(VALU_DEP_3)
	v_mad_u64_u32 v[0:1], null, 0xcd9e8d57, v3, 0
	v_mad_u64_u32 v[2:3], null, 0xd2511f53, v5, 0
	s_waitcnt lgkmcnt(0)
	v_cvt_f32_f64_e32 v38, s[14:15]
	v_add_co_u32 v39, null, 0xdb3d7428, v9
	s_add_u32 s18, s0, 48
	s_delay_alu instid0(VALU_DEP_4) | instskip(SKIP_1) | instid1(VALU_DEP_4)
	v_xor3_b32 v1, v26, v1, v6
	s_addc_u32 s19, s1, 0
	v_xor3_b32 v7, v27, v3, v4
	s_add_i32 s22, s4, -1
	v_dual_mov_b32 v40, v14 :: v_dual_add_nc_u32 v29, 0x96a522ad, v12
	v_mad_u64_u32 v[3:4], null, 0xd2511f53, v1, 0
	s_delay_alu instid0(VALU_DEP_3) | instskip(SKIP_4) | instid1(VALU_DEP_2)
	v_mad_u64_u32 v[5:6], null, 0xcd9e8d57, v7, 0
	s_cmp_gt_u32 s22, 1
	s_mov_b32 s26, 0
	s_cselect_b32 s11, -1, 0
	s_cmp_lg_u32 s4, 0
	v_xor3_b32 v2, v31, v4, v2
	s_cselect_b32 s27, -1, 0
	s_delay_alu instid0(VALU_DEP_2) | instskip(SKIP_3) | instid1(VALU_DEP_2)
	v_xor3_b32 v4, v32, v6, v0
	s_add_u32 s0, s0, 0xf4
	s_addc_u32 s1, s1, 0
	v_mad_u64_u32 v[0:1], null, 0xcd9e8d57, v2, 0
	v_mad_u64_u32 v[6:7], null, 0xd2511f53, v4, 0
	s_min_u32 s14, s22, 15
	s_cmp_gt_u32 s4, 1
	s_mul_i32 s33, s24, 3
	s_cselect_b32 s4, -1, 0
	s_delay_alu instid0(VALU_DEP_2) | instskip(SKIP_1) | instid1(VALU_DEP_2)
	v_xor3_b32 v4, v33, v1, v5
	s_add_i32 s14, s14, 1
	v_xor3_b32 v5, v34, v7, v3
	s_lshl_b32 s28, s24, 1
	s_and_b32 s29, s14, 3
	v_mad_u64_u32 v[1:2], null, 0xd2511f53, v4, 0
	s_delay_alu instid0(VALU_DEP_2) | instskip(SKIP_3) | instid1(VALU_DEP_2)
	v_mad_u64_u32 v[3:4], null, 0xcd9e8d57, v5, 0
	s_cmp_lg_u32 s22, 2
	s_cselect_b32 s30, -1, 0
	s_and_b32 s31, s14, 28
	v_xor3_b32 v2, v37, v2, v6
	s_cmp_lg_u32 s29, 0
	s_delay_alu instid0(VALU_DEP_2) | instskip(SKIP_1) | instid1(VALU_DEP_2)
	v_xor3_b32 v0, v30, v4, v0
	s_cselect_b32 s34, -1, 0
	v_mad_u64_u32 v[4:5], null, 0xcd9e8d57, v2, 0
	s_delay_alu instid0(VALU_DEP_2) | instskip(NEXT) | instid1(VALU_DEP_2)
	v_mad_u64_u32 v[6:7], null, 0xd2511f53, v0, 0
	v_xor3_b32 v0, v35, v5, v3
	s_delay_alu instid0(VALU_DEP_2) | instskip(NEXT) | instid1(VALU_DEP_2)
	v_xor3_b32 v3, v39, v7, v1
	v_mad_u64_u32 v[7:8], null, 0xd2511f53, v0, 0
	s_delay_alu instid0(VALU_DEP_2) | instskip(NEXT) | instid1(VALU_DEP_2)
	v_mad_u64_u32 v[1:2], null, 0xcd9e8d57, v3, 0
	v_mov_b32_e32 v3, v7
	s_delay_alu instid0(VALU_DEP_2) | instskip(NEXT) | instid1(VALU_DEP_4)
	v_xor3_b32 v0, v2, v4, v28
	v_xor3_b32 v2, v8, v6, v29
	s_branch .LBB148_9
.LBB148_7:                              ;   in Loop: Header=BB148_9 Depth=1
	v_cvt_f32_u32_e32 v0, v3
	s_delay_alu instid0(VALU_DEP_1) | instskip(NEXT) | instid1(VALU_DEP_1)
	v_fmaak_f32 v0, 0x2f800000, v0, 0x2f800000
	v_cmp_lt_f32_e32 vcc_lo, v0, v38
	v_cndmask_b32_e64 v0, 0, 1.0, vcc_lo
	global_store_b32 v1, v0, s[12:13]
.LBB148_8:                              ;   in Loop: Header=BB148_9 Depth=1
	s_or_b32 exec_lo, exec_lo, s35
	v_add_co_u32 v13, vcc_lo, v13, s25
	v_add_co_ci_u32_e32 v14, vcc_lo, 0, v14, vcc_lo
	v_mov_b32_e32 v7, v15
	v_dual_mov_b32 v0, v4 :: v_dual_mov_b32 v1, v5
	s_delay_alu instid0(VALU_DEP_3) | instskip(NEXT) | instid1(VALU_DEP_3)
	v_cmp_le_i64_e32 vcc_lo, s[2:3], v[13:14]
	v_dual_mov_b32 v2, v6 :: v_dual_mov_b32 v3, v7
	s_waitcnt_vscnt null, 0x0
	s_barrier
	buffer_gl0_inv
	s_or_b32 s26, vcc_lo, s26
	s_delay_alu instid0(SALU_CYCLE_1)
	s_and_not1_b32 exec_lo, exec_lo, s26
	s_cbranch_execz .LBB148_78
.LBB148_9:                              ; =>This Loop Header: Depth=1
                                        ;     Child Loop BB148_24 Depth 2
                                        ;     Child Loop BB148_29 Depth 2
	;; [unrolled: 1-line block ×8, first 2 shown]
	v_add_co_u32 v17, vcc_lo, v17, 1
	s_delay_alu instid0(VALU_DEP_1) | instskip(SKIP_2) | instid1(VALU_DEP_1)
	v_cndmask_b32_e64 v4, 0, 1, vcc_lo
	v_add_co_ci_u32_e32 v18, vcc_lo, 0, v18, vcc_lo
	s_mov_b32 s14, exec_lo
	v_cmp_eq_u32_e32 vcc_lo, 0, v18
	s_delay_alu instid0(VALU_DEP_3) | instskip(NEXT) | instid1(VALU_DEP_1)
	v_cndmask_b32_e32 v4, 0, v4, vcc_lo
	v_add_nc_u32_e32 v36, v4, v36
	s_delay_alu instid0(VALU_DEP_1) | instskip(SKIP_2) | instid1(VALU_DEP_2)
	v_cmp_eq_u32_e32 vcc_lo, 0, v36
	v_mad_u64_u32 v[6:7], null, 0xcd9e8d57, v36, 0
	v_cndmask_b32_e32 v4, 0, v4, vcc_lo
	v_xor3_b32 v9, v7, v11, v18
	s_delay_alu instid0(VALU_DEP_2) | instskip(SKIP_1) | instid1(VALU_DEP_3)
	v_add_nc_u32_e32 v40, v4, v40
	v_mad_u64_u32 v[4:5], null, 0xd2511f53, v17, 0
	v_mad_u64_u32 v[7:8], null, 0xd2511f53, v9, 0
	s_delay_alu instid0(VALU_DEP_2) | instskip(NEXT) | instid1(VALU_DEP_2)
	v_xor_b32_e32 v5, v5, v12
	v_xor3_b32 v8, v19, v8, v4
	s_delay_alu instid0(VALU_DEP_2) | instskip(NEXT) | instid1(VALU_DEP_1)
	v_xor_b32_e32 v5, v40, v5
	v_mad_u64_u32 v[9:10], null, 0xcd9e8d57, v5, 0
	s_delay_alu instid0(VALU_DEP_3) | instskip(NEXT) | instid1(VALU_DEP_2)
	v_mad_u64_u32 v[4:5], null, 0xcd9e8d57, v8, 0
	v_xor3_b32 v6, v20, v10, v6
	s_delay_alu instid0(VALU_DEP_2) | instskip(NEXT) | instid1(VALU_DEP_2)
	v_xor3_b32 v8, v21, v5, v9
	v_mad_u64_u32 v[15:16], null, 0xd2511f53, v6, 0
	s_delay_alu instid0(VALU_DEP_2) | instskip(NEXT) | instid1(VALU_DEP_2)
	v_mad_u64_u32 v[5:6], null, 0xd2511f53, v8, 0
	v_xor3_b32 v9, v22, v16, v7
	s_delay_alu instid0(VALU_DEP_2) | instskip(NEXT) | instid1(VALU_DEP_2)
	v_xor3_b32 v6, v23, v6, v15
	v_mad_u64_u32 v[7:8], null, 0xcd9e8d57, v9, 0
	s_delay_alu instid0(VALU_DEP_1) | instskip(NEXT) | instid1(VALU_DEP_3)
	v_xor3_b32 v4, v24, v8, v4
	v_mad_u64_u32 v[8:9], null, 0xcd9e8d57, v6, 0
	s_delay_alu instid0(VALU_DEP_2) | instskip(NEXT) | instid1(VALU_DEP_2)
	v_mad_u64_u32 v[15:16], null, 0xd2511f53, v4, 0
	v_xor3_b32 v6, v26, v9, v7
	s_delay_alu instid0(VALU_DEP_2) | instskip(NEXT) | instid1(VALU_DEP_2)
	v_xor3_b32 v9, v27, v16, v5
	v_mad_u64_u32 v[4:5], null, 0xd2511f53, v6, 0
	s_delay_alu instid0(VALU_DEP_2) | instskip(NEXT) | instid1(VALU_DEP_2)
	v_mad_u64_u32 v[6:7], null, 0xcd9e8d57, v9, 0
	v_xor3_b32 v5, v31, v5, v15
	s_delay_alu instid0(VALU_DEP_2) | instskip(NEXT) | instid1(VALU_DEP_2)
	;; [unrolled: 6-line block ×6, first 2 shown]
	v_xor3_b32 v4, v6, v7, v28
	v_mov_b32_e32 v6, v10
	v_cmpx_lt_i32_e32 1, v25
	s_xor_b32 s14, exec_lo, s14
	s_cbranch_execnz .LBB148_12
; %bb.10:                               ;   in Loop: Header=BB148_9 Depth=1
	s_and_not1_saveexec_b32 s14, s14
	s_cbranch_execnz .LBB148_17
.LBB148_11:                             ;   in Loop: Header=BB148_9 Depth=1
	s_or_b32 exec_lo, exec_lo, s14
	s_delay_alu instid0(SALU_CYCLE_1)
	s_mov_b32 s35, exec_lo
	v_cmpx_gt_i64_e64 s[16:17], v[13:14]
	s_cbranch_execnz .LBB148_20
	s_branch .LBB148_34
.LBB148_12:                             ;   in Loop: Header=BB148_9 Depth=1
	s_mov_b32 s15, exec_lo
	v_cmpx_lt_i32_e32 2, v25
	s_xor_b32 s15, exec_lo, s15
; %bb.13:                               ;   in Loop: Header=BB148_9 Depth=1
	v_dual_mov_b32 v7, v3 :: v_dual_mov_b32 v8, v4
	v_mov_b32_e32 v9, v5
	s_delay_alu instid0(VALU_DEP_2) | instskip(NEXT) | instid1(VALU_DEP_2)
	v_dual_mov_b32 v0, v7 :: v_dual_mov_b32 v1, v8
	v_dual_mov_b32 v2, v9 :: v_dual_mov_b32 v3, v10
; %bb.14:                               ;   in Loop: Header=BB148_9 Depth=1
	s_and_not1_saveexec_b32 s15, s15
; %bb.15:                               ;   in Loop: Header=BB148_9 Depth=1
	s_delay_alu instid0(VALU_DEP_1)
	v_dual_mov_b32 v0, v2 :: v_dual_mov_b32 v1, v3
	v_dual_mov_b32 v2, v4 :: v_dual_mov_b32 v3, v5
; %bb.16:                               ;   in Loop: Header=BB148_9 Depth=1
	s_or_b32 exec_lo, exec_lo, s15
	s_and_not1_saveexec_b32 s14, s14
	s_cbranch_execz .LBB148_11
.LBB148_17:                             ;   in Loop: Header=BB148_9 Depth=1
	s_mov_b32 s15, exec_lo
	v_cmpx_eq_u32_e32 1, v25
; %bb.18:                               ;   in Loop: Header=BB148_9 Depth=1
	v_dual_mov_b32 v0, v1 :: v_dual_mov_b32 v1, v2
	v_dual_mov_b32 v2, v3 :: v_dual_mov_b32 v3, v4
; %bb.19:                               ;   in Loop: Header=BB148_9 Depth=1
	s_or_b32 exec_lo, exec_lo, s15
	s_delay_alu instid0(SALU_CYCLE_1) | instskip(NEXT) | instid1(SALU_CYCLE_1)
	s_or_b32 exec_lo, exec_lo, s14
	s_mov_b32 s35, exec_lo
	v_cmpx_gt_i64_e64 s[16:17], v[13:14]
	s_cbranch_execz .LBB148_34
.LBB148_20:                             ;   in Loop: Header=BB148_9 Depth=1
	s_and_not1_b32 vcc_lo, exec_lo, s11
	s_cbranch_vccnz .LBB148_26
; %bb.21:                               ;   in Loop: Header=BB148_9 Depth=1
	v_mov_b32_e32 v7, 0
	s_and_not1_b32 vcc_lo, exec_lo, s27
	s_cbranch_vccnz .LBB148_30
; %bb.22:                               ;   in Loop: Header=BB148_9 Depth=1
	s_and_not1_b32 vcc_lo, exec_lo, s30
	s_mov_b32 s14, 0
	s_cbranch_vccnz .LBB148_27
; %bb.23:                               ;   in Loop: Header=BB148_9 Depth=1
	v_dual_mov_b32 v7, 0 :: v_dual_mov_b32 v8, v13
	s_mov_b32 s36, 0
	s_mov_b64 s[14:15], s[18:19]
	s_mov_b64 s[22:23], s[0:1]
.LBB148_24:                             ;   Parent Loop BB148_9 Depth=1
                                        ; =>  This Inner Loop Header: Depth=2
	s_clause 0x1
	s_load_b256 s[40:47], s[14:15], 0x4
	s_load_b128 s[48:51], s[14:15], 0x24
	s_load_b128 s[52:55], s[22:23], 0x0
	s_add_u32 s14, s14, 48
	s_addc_u32 s15, s15, 0
	s_add_i32 s36, s36, 4
	s_add_u32 s22, s22, 16
	s_addc_u32 s23, s23, 0
	s_cmp_lg_u32 s31, s36
	s_waitcnt lgkmcnt(0)
	v_mul_hi_u32 v9, s41, v8
	s_delay_alu instid0(VALU_DEP_1) | instskip(NEXT) | instid1(VALU_DEP_1)
	v_add_nc_u32_e32 v9, v8, v9
	v_lshrrev_b32_e32 v9, s42, v9
	s_delay_alu instid0(VALU_DEP_1) | instskip(SKIP_1) | instid1(VALU_DEP_2)
	v_mul_hi_u32 v10, s44, v9
	v_mul_lo_u32 v42, v9, s40
	v_add_nc_u32_e32 v10, v9, v10
	s_delay_alu instid0(VALU_DEP_2) | instskip(NEXT) | instid1(VALU_DEP_2)
	v_sub_nc_u32_e32 v42, v8, v42
	v_lshrrev_b32_e32 v10, s45, v10
	s_delay_alu instid0(VALU_DEP_2) | instskip(NEXT) | instid1(VALU_DEP_2)
	v_mul_lo_u32 v42, v42, s52
	v_mul_hi_u32 v16, s47, v10
	v_mul_lo_u32 v43, v10, s43
	s_delay_alu instid0(VALU_DEP_2) | instskip(NEXT) | instid1(VALU_DEP_2)
	v_add_nc_u32_e32 v16, v10, v16
	v_sub_nc_u32_e32 v9, v9, v43
	s_delay_alu instid0(VALU_DEP_2) | instskip(NEXT) | instid1(VALU_DEP_2)
	v_lshrrev_b32_e32 v16, s48, v16
	v_mul_lo_u32 v9, v9, s53
	s_delay_alu instid0(VALU_DEP_2) | instskip(NEXT) | instid1(VALU_DEP_2)
	v_mul_hi_u32 v41, s50, v16
	v_add3_u32 v7, v42, v7, v9
	s_delay_alu instid0(VALU_DEP_2) | instskip(NEXT) | instid1(VALU_DEP_1)
	v_add_nc_u32_e32 v41, v16, v41
	v_lshrrev_b32_e32 v8, s51, v41
	v_mul_lo_u32 v41, v16, s46
	s_delay_alu instid0(VALU_DEP_2) | instskip(NEXT) | instid1(VALU_DEP_2)
	v_mul_lo_u32 v44, v8, s49
	v_sub_nc_u32_e32 v10, v10, v41
	s_delay_alu instid0(VALU_DEP_2) | instskip(NEXT) | instid1(VALU_DEP_2)
	v_sub_nc_u32_e32 v16, v16, v44
	v_mul_lo_u32 v10, v10, s54
	s_delay_alu instid0(VALU_DEP_2) | instskip(NEXT) | instid1(VALU_DEP_1)
	v_mul_lo_u32 v16, v16, s55
	v_add3_u32 v7, v10, v7, v16
	s_cbranch_scc1 .LBB148_24
; %bb.25:                               ;   in Loop: Header=BB148_9 Depth=1
	s_mov_b32 s14, s31
	s_and_not1_b32 vcc_lo, exec_lo, s34
	s_cbranch_vccz .LBB148_28
	s_branch .LBB148_30
.LBB148_26:                             ;   in Loop: Header=BB148_9 Depth=1
                                        ; implicit-def: $vgpr7
	s_branch .LBB148_31
.LBB148_27:                             ;   in Loop: Header=BB148_9 Depth=1
	v_mov_b32_e32 v8, v13
	s_and_not1_b32 vcc_lo, exec_lo, s34
	s_cbranch_vccnz .LBB148_30
.LBB148_28:                             ;   in Loop: Header=BB148_9 Depth=1
	s_lshl_b32 s15, s14, 2
	s_mul_i32 s22, s14, 12
	s_add_u32 s14, s0, s15
	s_addc_u32 s15, s1, 0
	s_add_u32 s22, s18, s22
	s_addc_u32 s23, s19, 0
	s_mov_b32 s36, s29
	.p2align	6
.LBB148_29:                             ;   Parent Loop BB148_9 Depth=1
                                        ; =>  This Inner Loop Header: Depth=2
	s_clause 0x1
	s_load_b64 s[38:39], s[22:23], 0x4
	s_load_b32 s37, s[22:23], 0xc
	s_add_u32 s22, s22, 12
	s_addc_u32 s23, s23, 0
	s_waitcnt lgkmcnt(0)
	v_mul_hi_u32 v9, s39, v8
	s_load_b32 s39, s[14:15], 0x0
	s_add_u32 s14, s14, 4
	s_addc_u32 s15, s15, 0
	s_add_i32 s36, s36, -1
	s_delay_alu instid0(SALU_CYCLE_1) | instskip(NEXT) | instid1(VALU_DEP_1)
	s_cmp_lg_u32 s36, 0
	v_add_nc_u32_e32 v9, v8, v9
	s_delay_alu instid0(VALU_DEP_1) | instskip(NEXT) | instid1(VALU_DEP_1)
	v_lshrrev_b32_e32 v16, s37, v9
	v_mul_lo_u32 v9, v16, s38
	s_delay_alu instid0(VALU_DEP_1) | instskip(SKIP_1) | instid1(VALU_DEP_1)
	v_sub_nc_u32_e32 v8, v8, v9
	s_waitcnt lgkmcnt(0)
	v_mad_u64_u32 v[9:10], null, v8, s39, v[7:8]
	s_delay_alu instid0(VALU_DEP_1)
	v_dual_mov_b32 v8, v16 :: v_dual_mov_b32 v7, v9
	s_cbranch_scc1 .LBB148_29
.LBB148_30:                             ;   in Loop: Header=BB148_9 Depth=1
	s_cbranch_execnz .LBB148_33
.LBB148_31:                             ;   in Loop: Header=BB148_9 Depth=1
	v_mul_hi_u32 v7, v13, s6
	s_and_not1_b32 vcc_lo, exec_lo, s4
	s_delay_alu instid0(VALU_DEP_1) | instskip(NEXT) | instid1(VALU_DEP_1)
	v_add_nc_u32_e32 v7, v7, v13
	v_lshrrev_b32_e32 v8, s7, v7
	s_delay_alu instid0(VALU_DEP_1) | instskip(NEXT) | instid1(VALU_DEP_1)
	v_mul_lo_u32 v7, v8, s5
	v_sub_nc_u32_e32 v7, v13, v7
	s_delay_alu instid0(VALU_DEP_1)
	v_mul_lo_u32 v7, v7, s20
	s_cbranch_vccnz .LBB148_33
; %bb.32:                               ;   in Loop: Header=BB148_9 Depth=1
	v_mul_hi_u32 v9, s9, v8
	s_delay_alu instid0(VALU_DEP_1) | instskip(NEXT) | instid1(VALU_DEP_1)
	v_add_nc_u32_e32 v9, v8, v9
	v_lshrrev_b32_e32 v9, s10, v9
	s_delay_alu instid0(VALU_DEP_1) | instskip(NEXT) | instid1(VALU_DEP_1)
	v_mul_lo_u32 v9, v9, s8
	v_sub_nc_u32_e32 v10, v8, v9
	s_delay_alu instid0(VALU_DEP_1) | instskip(NEXT) | instid1(VALU_DEP_1)
	v_mad_u64_u32 v[8:9], null, v10, s21, v[7:8]
	v_mov_b32_e32 v7, v8
.LBB148_33:                             ;   in Loop: Header=BB148_9 Depth=1
	v_cvt_f32_u32_e32 v0, v0
	s_delay_alu instid0(VALU_DEP_1) | instskip(NEXT) | instid1(VALU_DEP_1)
	v_fmaak_f32 v0, 0x2f800000, v0, 0x2f800000
	v_cmp_lt_f32_e32 vcc_lo, v0, v38
	v_cndmask_b32_e64 v0, 0, 1.0, vcc_lo
	global_store_b32 v7, v0, s[12:13]
.LBB148_34:                             ;   in Loop: Header=BB148_9 Depth=1
	s_or_b32 exec_lo, exec_lo, s35
	v_add_co_u32 v7, vcc_lo, v13, s24
	v_add_co_ci_u32_e32 v8, vcc_lo, 0, v14, vcc_lo
	s_mov_b32 s35, exec_lo
	s_delay_alu instid0(VALU_DEP_1)
	v_cmpx_gt_i64_e64 s[16:17], v[7:8]
	s_cbranch_execz .LBB148_49
; %bb.35:                               ;   in Loop: Header=BB148_9 Depth=1
	s_and_not1_b32 vcc_lo, exec_lo, s11
	s_cbranch_vccnz .LBB148_41
; %bb.36:                               ;   in Loop: Header=BB148_9 Depth=1
	v_mov_b32_e32 v0, 0
	s_and_not1_b32 vcc_lo, exec_lo, s27
	s_cbranch_vccnz .LBB148_45
; %bb.37:                               ;   in Loop: Header=BB148_9 Depth=1
	s_and_not1_b32 vcc_lo, exec_lo, s30
	s_mov_b32 s14, 0
	s_cbranch_vccnz .LBB148_42
; %bb.38:                               ;   in Loop: Header=BB148_9 Depth=1
	v_mov_b32_e32 v0, 0
	v_mov_b32_e32 v8, v7
	s_mov_b32 s36, 0
	s_mov_b64 s[14:15], s[18:19]
	s_mov_b64 s[22:23], s[0:1]
.LBB148_39:                             ;   Parent Loop BB148_9 Depth=1
                                        ; =>  This Inner Loop Header: Depth=2
	s_clause 0x1
	s_load_b256 s[40:47], s[14:15], 0x4
	s_load_b128 s[48:51], s[14:15], 0x24
	s_load_b128 s[52:55], s[22:23], 0x0
	s_add_u32 s14, s14, 48
	s_addc_u32 s15, s15, 0
	s_add_i32 s36, s36, 4
	s_add_u32 s22, s22, 16
	s_addc_u32 s23, s23, 0
	s_cmp_eq_u32 s31, s36
	s_waitcnt lgkmcnt(0)
	v_mul_hi_u32 v9, s41, v8
	s_delay_alu instid0(VALU_DEP_1) | instskip(NEXT) | instid1(VALU_DEP_1)
	v_add_nc_u32_e32 v9, v8, v9
	v_lshrrev_b32_e32 v9, s42, v9
	s_delay_alu instid0(VALU_DEP_1) | instskip(SKIP_1) | instid1(VALU_DEP_2)
	v_mul_hi_u32 v10, s44, v9
	v_mul_lo_u32 v42, v9, s40
	v_add_nc_u32_e32 v10, v9, v10
	s_delay_alu instid0(VALU_DEP_2) | instskip(NEXT) | instid1(VALU_DEP_2)
	v_sub_nc_u32_e32 v42, v8, v42
	v_lshrrev_b32_e32 v10, s45, v10
	s_delay_alu instid0(VALU_DEP_2) | instskip(NEXT) | instid1(VALU_DEP_2)
	v_mul_lo_u32 v42, v42, s52
	v_mul_hi_u32 v16, s47, v10
	v_mul_lo_u32 v43, v10, s43
	s_delay_alu instid0(VALU_DEP_2) | instskip(NEXT) | instid1(VALU_DEP_2)
	v_add_nc_u32_e32 v16, v10, v16
	v_sub_nc_u32_e32 v9, v9, v43
	s_delay_alu instid0(VALU_DEP_2) | instskip(NEXT) | instid1(VALU_DEP_2)
	v_lshrrev_b32_e32 v16, s48, v16
	v_mul_lo_u32 v9, v9, s53
	s_delay_alu instid0(VALU_DEP_2) | instskip(NEXT) | instid1(VALU_DEP_2)
	v_mul_hi_u32 v41, s50, v16
	v_add3_u32 v0, v42, v0, v9
	s_delay_alu instid0(VALU_DEP_2) | instskip(NEXT) | instid1(VALU_DEP_1)
	v_add_nc_u32_e32 v41, v16, v41
	v_lshrrev_b32_e32 v8, s51, v41
	v_mul_lo_u32 v41, v16, s46
	s_delay_alu instid0(VALU_DEP_2) | instskip(NEXT) | instid1(VALU_DEP_2)
	v_mul_lo_u32 v44, v8, s49
	v_sub_nc_u32_e32 v10, v10, v41
	s_delay_alu instid0(VALU_DEP_2) | instskip(NEXT) | instid1(VALU_DEP_2)
	v_sub_nc_u32_e32 v16, v16, v44
	v_mul_lo_u32 v10, v10, s54
	s_delay_alu instid0(VALU_DEP_2) | instskip(NEXT) | instid1(VALU_DEP_1)
	v_mul_lo_u32 v16, v16, s55
	v_add3_u32 v0, v10, v0, v16
	s_cbranch_scc0 .LBB148_39
; %bb.40:                               ;   in Loop: Header=BB148_9 Depth=1
	s_mov_b32 s14, s31
	s_and_not1_b32 vcc_lo, exec_lo, s34
	s_cbranch_vccz .LBB148_43
	s_branch .LBB148_45
.LBB148_41:                             ;   in Loop: Header=BB148_9 Depth=1
                                        ; implicit-def: $vgpr0
	s_branch .LBB148_46
.LBB148_42:                             ;   in Loop: Header=BB148_9 Depth=1
	v_mov_b32_e32 v8, v7
	s_and_not1_b32 vcc_lo, exec_lo, s34
	s_cbranch_vccnz .LBB148_45
.LBB148_43:                             ;   in Loop: Header=BB148_9 Depth=1
	s_lshl_b32 s15, s14, 2
	s_mul_i32 s22, s14, 12
	s_add_u32 s14, s0, s15
	s_addc_u32 s15, s1, 0
	s_add_u32 s22, s18, s22
	s_addc_u32 s23, s19, 0
	s_mov_b32 s36, s29
	.p2align	6
.LBB148_44:                             ;   Parent Loop BB148_9 Depth=1
                                        ; =>  This Inner Loop Header: Depth=2
	s_clause 0x1
	s_load_b64 s[38:39], s[22:23], 0x4
	s_load_b32 s37, s[22:23], 0xc
	s_add_u32 s22, s22, 12
	s_addc_u32 s23, s23, 0
	s_waitcnt lgkmcnt(0)
	v_mul_hi_u32 v9, s39, v8
	s_load_b32 s39, s[14:15], 0x0
	s_add_u32 s14, s14, 4
	s_addc_u32 s15, s15, 0
	s_add_i32 s36, s36, -1
	s_delay_alu instid0(SALU_CYCLE_1) | instskip(NEXT) | instid1(VALU_DEP_1)
	s_cmp_lg_u32 s36, 0
	v_add_nc_u32_e32 v9, v8, v9
	s_delay_alu instid0(VALU_DEP_1) | instskip(NEXT) | instid1(VALU_DEP_1)
	v_lshrrev_b32_e32 v16, s37, v9
	v_mul_lo_u32 v9, v16, s38
	s_delay_alu instid0(VALU_DEP_1) | instskip(SKIP_1) | instid1(VALU_DEP_1)
	v_sub_nc_u32_e32 v8, v8, v9
	s_waitcnt lgkmcnt(0)
	v_mad_u64_u32 v[9:10], null, v8, s39, v[0:1]
	v_mov_b32_e32 v8, v16
	s_delay_alu instid0(VALU_DEP_2)
	v_mov_b32_e32 v0, v9
	s_cbranch_scc1 .LBB148_44
.LBB148_45:                             ;   in Loop: Header=BB148_9 Depth=1
	s_cbranch_execnz .LBB148_48
.LBB148_46:                             ;   in Loop: Header=BB148_9 Depth=1
	v_mul_hi_u32 v0, v7, s6
	s_and_not1_b32 vcc_lo, exec_lo, s4
	s_delay_alu instid0(VALU_DEP_1) | instskip(NEXT) | instid1(VALU_DEP_1)
	v_add_nc_u32_e32 v0, v0, v7
	v_lshrrev_b32_e32 v8, s7, v0
	s_delay_alu instid0(VALU_DEP_1) | instskip(NEXT) | instid1(VALU_DEP_1)
	v_mul_lo_u32 v0, v8, s5
	v_sub_nc_u32_e32 v0, v7, v0
	s_delay_alu instid0(VALU_DEP_1)
	v_mul_lo_u32 v0, v0, s20
	s_cbranch_vccnz .LBB148_48
; %bb.47:                               ;   in Loop: Header=BB148_9 Depth=1
	v_mul_hi_u32 v7, s9, v8
	s_delay_alu instid0(VALU_DEP_1) | instskip(NEXT) | instid1(VALU_DEP_1)
	v_add_nc_u32_e32 v7, v8, v7
	v_lshrrev_b32_e32 v7, s10, v7
	s_delay_alu instid0(VALU_DEP_1) | instskip(NEXT) | instid1(VALU_DEP_1)
	v_mul_lo_u32 v7, v7, s8
	v_sub_nc_u32_e32 v9, v8, v7
	s_delay_alu instid0(VALU_DEP_1) | instskip(NEXT) | instid1(VALU_DEP_1)
	v_mad_u64_u32 v[7:8], null, v9, s21, v[0:1]
	v_mov_b32_e32 v0, v7
.LBB148_48:                             ;   in Loop: Header=BB148_9 Depth=1
	v_cvt_f32_u32_e32 v1, v1
	s_delay_alu instid0(VALU_DEP_1) | instskip(NEXT) | instid1(VALU_DEP_1)
	v_fmaak_f32 v1, 0x2f800000, v1, 0x2f800000
	v_cmp_lt_f32_e32 vcc_lo, v1, v38
	v_cndmask_b32_e64 v1, 0, 1.0, vcc_lo
	global_store_b32 v0, v1, s[12:13]
.LBB148_49:                             ;   in Loop: Header=BB148_9 Depth=1
	s_or_b32 exec_lo, exec_lo, s35
	v_add_co_u32 v0, vcc_lo, v13, s28
	v_add_co_ci_u32_e32 v1, vcc_lo, 0, v14, vcc_lo
	s_mov_b32 s35, exec_lo
	s_delay_alu instid0(VALU_DEP_1)
	v_cmpx_gt_i64_e64 s[16:17], v[0:1]
	s_cbranch_execz .LBB148_64
; %bb.50:                               ;   in Loop: Header=BB148_9 Depth=1
	s_and_not1_b32 vcc_lo, exec_lo, s11
	s_cbranch_vccnz .LBB148_56
; %bb.51:                               ;   in Loop: Header=BB148_9 Depth=1
	v_mov_b32_e32 v1, 0
	s_and_not1_b32 vcc_lo, exec_lo, s27
	s_cbranch_vccnz .LBB148_60
; %bb.52:                               ;   in Loop: Header=BB148_9 Depth=1
	s_and_not1_b32 vcc_lo, exec_lo, s30
	s_mov_b32 s14, 0
	s_cbranch_vccnz .LBB148_57
; %bb.53:                               ;   in Loop: Header=BB148_9 Depth=1
	v_mov_b32_e32 v1, 0
	v_mov_b32_e32 v7, v0
	s_mov_b32 s36, 0
	s_mov_b64 s[14:15], s[18:19]
	s_mov_b64 s[22:23], s[0:1]
.LBB148_54:                             ;   Parent Loop BB148_9 Depth=1
                                        ; =>  This Inner Loop Header: Depth=2
	s_clause 0x1
	s_load_b256 s[40:47], s[14:15], 0x4
	s_load_b128 s[48:51], s[14:15], 0x24
	s_load_b128 s[52:55], s[22:23], 0x0
	s_add_u32 s14, s14, 48
	s_addc_u32 s15, s15, 0
	s_add_i32 s36, s36, 4
	s_add_u32 s22, s22, 16
	s_addc_u32 s23, s23, 0
	s_cmp_eq_u32 s31, s36
	s_waitcnt lgkmcnt(0)
	v_mul_hi_u32 v8, s41, v7
	s_delay_alu instid0(VALU_DEP_1) | instskip(NEXT) | instid1(VALU_DEP_1)
	v_add_nc_u32_e32 v8, v7, v8
	v_lshrrev_b32_e32 v8, s42, v8
	s_delay_alu instid0(VALU_DEP_1) | instskip(SKIP_1) | instid1(VALU_DEP_2)
	v_mul_hi_u32 v9, s44, v8
	v_mul_lo_u32 v41, v8, s40
	v_add_nc_u32_e32 v9, v8, v9
	s_delay_alu instid0(VALU_DEP_2) | instskip(NEXT) | instid1(VALU_DEP_2)
	v_sub_nc_u32_e32 v41, v7, v41
	v_lshrrev_b32_e32 v9, s45, v9
	s_delay_alu instid0(VALU_DEP_2) | instskip(NEXT) | instid1(VALU_DEP_2)
	v_mul_lo_u32 v41, v41, s52
	v_mul_hi_u32 v10, s47, v9
	v_mul_lo_u32 v42, v9, s43
	s_delay_alu instid0(VALU_DEP_2) | instskip(NEXT) | instid1(VALU_DEP_2)
	v_add_nc_u32_e32 v10, v9, v10
	v_sub_nc_u32_e32 v8, v8, v42
	s_delay_alu instid0(VALU_DEP_2) | instskip(NEXT) | instid1(VALU_DEP_2)
	v_lshrrev_b32_e32 v10, s48, v10
	v_mul_lo_u32 v8, v8, s53
	s_delay_alu instid0(VALU_DEP_2) | instskip(NEXT) | instid1(VALU_DEP_2)
	v_mul_hi_u32 v16, s50, v10
	v_add3_u32 v1, v41, v1, v8
	s_delay_alu instid0(VALU_DEP_2) | instskip(NEXT) | instid1(VALU_DEP_1)
	v_add_nc_u32_e32 v16, v10, v16
	v_lshrrev_b32_e32 v7, s51, v16
	v_mul_lo_u32 v16, v10, s46
	s_delay_alu instid0(VALU_DEP_2) | instskip(NEXT) | instid1(VALU_DEP_2)
	v_mul_lo_u32 v43, v7, s49
	v_sub_nc_u32_e32 v9, v9, v16
	s_delay_alu instid0(VALU_DEP_2) | instskip(NEXT) | instid1(VALU_DEP_2)
	v_sub_nc_u32_e32 v10, v10, v43
	v_mul_lo_u32 v9, v9, s54
	s_delay_alu instid0(VALU_DEP_2) | instskip(NEXT) | instid1(VALU_DEP_1)
	v_mul_lo_u32 v10, v10, s55
	v_add3_u32 v1, v9, v1, v10
	s_cbranch_scc0 .LBB148_54
; %bb.55:                               ;   in Loop: Header=BB148_9 Depth=1
	s_mov_b32 s14, s31
	s_and_not1_b32 vcc_lo, exec_lo, s34
	s_cbranch_vccz .LBB148_58
	s_branch .LBB148_60
.LBB148_56:                             ;   in Loop: Header=BB148_9 Depth=1
                                        ; implicit-def: $vgpr1
	s_branch .LBB148_61
.LBB148_57:                             ;   in Loop: Header=BB148_9 Depth=1
	v_mov_b32_e32 v7, v0
	s_and_not1_b32 vcc_lo, exec_lo, s34
	s_cbranch_vccnz .LBB148_60
.LBB148_58:                             ;   in Loop: Header=BB148_9 Depth=1
	s_lshl_b32 s15, s14, 2
	s_mul_i32 s22, s14, 12
	s_add_u32 s14, s0, s15
	s_addc_u32 s15, s1, 0
	s_add_u32 s22, s18, s22
	s_addc_u32 s23, s19, 0
	s_mov_b32 s36, s29
	.p2align	6
.LBB148_59:                             ;   Parent Loop BB148_9 Depth=1
                                        ; =>  This Inner Loop Header: Depth=2
	s_clause 0x1
	s_load_b64 s[38:39], s[22:23], 0x4
	s_load_b32 s37, s[22:23], 0xc
	s_add_u32 s22, s22, 12
	s_addc_u32 s23, s23, 0
	s_waitcnt lgkmcnt(0)
	v_mul_hi_u32 v8, s39, v7
	s_load_b32 s39, s[14:15], 0x0
	s_add_u32 s14, s14, 4
	s_addc_u32 s15, s15, 0
	s_add_i32 s36, s36, -1
	s_delay_alu instid0(SALU_CYCLE_1) | instskip(NEXT) | instid1(VALU_DEP_1)
	s_cmp_lg_u32 s36, 0
	v_add_nc_u32_e32 v8, v7, v8
	s_delay_alu instid0(VALU_DEP_1) | instskip(NEXT) | instid1(VALU_DEP_1)
	v_lshrrev_b32_e32 v10, s37, v8
	v_mul_lo_u32 v8, v10, s38
	s_delay_alu instid0(VALU_DEP_1) | instskip(SKIP_1) | instid1(VALU_DEP_1)
	v_sub_nc_u32_e32 v7, v7, v8
	s_waitcnt lgkmcnt(0)
	v_mad_u64_u32 v[8:9], null, v7, s39, v[1:2]
	v_mov_b32_e32 v7, v10
	s_delay_alu instid0(VALU_DEP_2)
	v_mov_b32_e32 v1, v8
	s_cbranch_scc1 .LBB148_59
.LBB148_60:                             ;   in Loop: Header=BB148_9 Depth=1
	s_cbranch_execnz .LBB148_63
.LBB148_61:                             ;   in Loop: Header=BB148_9 Depth=1
	v_mul_hi_u32 v1, v0, s6
	s_and_not1_b32 vcc_lo, exec_lo, s4
	s_delay_alu instid0(VALU_DEP_1) | instskip(NEXT) | instid1(VALU_DEP_1)
	v_add_nc_u32_e32 v1, v1, v0
	v_lshrrev_b32_e32 v7, s7, v1
	s_delay_alu instid0(VALU_DEP_1) | instskip(NEXT) | instid1(VALU_DEP_1)
	v_mul_lo_u32 v1, v7, s5
	v_sub_nc_u32_e32 v0, v0, v1
	s_delay_alu instid0(VALU_DEP_1)
	v_mul_lo_u32 v1, v0, s20
	s_cbranch_vccnz .LBB148_63
; %bb.62:                               ;   in Loop: Header=BB148_9 Depth=1
	v_mul_hi_u32 v0, s9, v7
	s_delay_alu instid0(VALU_DEP_1) | instskip(NEXT) | instid1(VALU_DEP_1)
	v_add_nc_u32_e32 v0, v7, v0
	v_lshrrev_b32_e32 v0, s10, v0
	s_delay_alu instid0(VALU_DEP_1) | instskip(NEXT) | instid1(VALU_DEP_1)
	v_mul_lo_u32 v0, v0, s8
	v_sub_nc_u32_e32 v0, v7, v0
	s_delay_alu instid0(VALU_DEP_1) | instskip(NEXT) | instid1(VALU_DEP_1)
	v_mad_u64_u32 v[7:8], null, v0, s21, v[1:2]
	v_mov_b32_e32 v1, v7
.LBB148_63:                             ;   in Loop: Header=BB148_9 Depth=1
	v_cvt_f32_u32_e32 v0, v2
	s_delay_alu instid0(VALU_DEP_1) | instskip(NEXT) | instid1(VALU_DEP_1)
	v_fmaak_f32 v0, 0x2f800000, v0, 0x2f800000
	v_cmp_lt_f32_e32 vcc_lo, v0, v38
	v_cndmask_b32_e64 v0, 0, 1.0, vcc_lo
	global_store_b32 v1, v0, s[12:13]
.LBB148_64:                             ;   in Loop: Header=BB148_9 Depth=1
	s_or_b32 exec_lo, exec_lo, s35
	v_add_co_u32 v0, vcc_lo, v13, s33
	v_add_co_ci_u32_e32 v1, vcc_lo, 0, v14, vcc_lo
	s_mov_b32 s35, exec_lo
	s_delay_alu instid0(VALU_DEP_1)
	v_cmpx_gt_i64_e64 s[16:17], v[0:1]
	s_cbranch_execz .LBB148_8
; %bb.65:                               ;   in Loop: Header=BB148_9 Depth=1
	s_and_not1_b32 vcc_lo, exec_lo, s11
	s_cbranch_vccnz .LBB148_71
; %bb.66:                               ;   in Loop: Header=BB148_9 Depth=1
	v_mov_b32_e32 v1, 0
	s_and_not1_b32 vcc_lo, exec_lo, s27
	s_cbranch_vccnz .LBB148_75
; %bb.67:                               ;   in Loop: Header=BB148_9 Depth=1
	s_and_not1_b32 vcc_lo, exec_lo, s30
	s_mov_b32 s14, 0
	s_cbranch_vccnz .LBB148_72
; %bb.68:                               ;   in Loop: Header=BB148_9 Depth=1
	v_dual_mov_b32 v1, 0 :: v_dual_mov_b32 v2, v0
	s_mov_b32 s36, 0
	s_mov_b64 s[14:15], s[18:19]
	s_mov_b64 s[22:23], s[0:1]
.LBB148_69:                             ;   Parent Loop BB148_9 Depth=1
                                        ; =>  This Inner Loop Header: Depth=2
	s_clause 0x1
	s_load_b256 s[40:47], s[14:15], 0x4
	s_load_b128 s[48:51], s[14:15], 0x24
	s_load_b128 s[52:55], s[22:23], 0x0
	s_add_u32 s14, s14, 48
	s_addc_u32 s15, s15, 0
	s_add_i32 s36, s36, 4
	s_add_u32 s22, s22, 16
	s_addc_u32 s23, s23, 0
	s_cmp_eq_u32 s31, s36
	s_waitcnt lgkmcnt(0)
	v_mul_hi_u32 v7, s41, v2
	s_delay_alu instid0(VALU_DEP_1) | instskip(NEXT) | instid1(VALU_DEP_1)
	v_add_nc_u32_e32 v7, v2, v7
	v_lshrrev_b32_e32 v7, s42, v7
	s_delay_alu instid0(VALU_DEP_1) | instskip(SKIP_1) | instid1(VALU_DEP_2)
	v_mul_hi_u32 v8, s44, v7
	v_mul_lo_u32 v16, v7, s40
	v_add_nc_u32_e32 v8, v7, v8
	s_delay_alu instid0(VALU_DEP_2) | instskip(NEXT) | instid1(VALU_DEP_2)
	v_sub_nc_u32_e32 v16, v2, v16
	v_lshrrev_b32_e32 v8, s45, v8
	s_delay_alu instid0(VALU_DEP_2) | instskip(NEXT) | instid1(VALU_DEP_2)
	v_mul_lo_u32 v16, v16, s52
	v_mul_hi_u32 v9, s47, v8
	v_mul_lo_u32 v41, v8, s43
	s_delay_alu instid0(VALU_DEP_2) | instskip(NEXT) | instid1(VALU_DEP_2)
	v_add_nc_u32_e32 v9, v8, v9
	v_sub_nc_u32_e32 v7, v7, v41
	s_delay_alu instid0(VALU_DEP_2) | instskip(NEXT) | instid1(VALU_DEP_2)
	v_lshrrev_b32_e32 v9, s48, v9
	v_mul_lo_u32 v7, v7, s53
	s_delay_alu instid0(VALU_DEP_2) | instskip(NEXT) | instid1(VALU_DEP_2)
	v_mul_hi_u32 v10, s50, v9
	v_add3_u32 v1, v16, v1, v7
	s_delay_alu instid0(VALU_DEP_2) | instskip(NEXT) | instid1(VALU_DEP_1)
	v_add_nc_u32_e32 v10, v9, v10
	v_lshrrev_b32_e32 v2, s51, v10
	v_mul_lo_u32 v10, v9, s46
	s_delay_alu instid0(VALU_DEP_2) | instskip(NEXT) | instid1(VALU_DEP_2)
	v_mul_lo_u32 v42, v2, s49
	v_sub_nc_u32_e32 v8, v8, v10
	s_delay_alu instid0(VALU_DEP_2) | instskip(NEXT) | instid1(VALU_DEP_2)
	v_sub_nc_u32_e32 v9, v9, v42
	v_mul_lo_u32 v8, v8, s54
	s_delay_alu instid0(VALU_DEP_2) | instskip(NEXT) | instid1(VALU_DEP_1)
	v_mul_lo_u32 v9, v9, s55
	v_add3_u32 v1, v8, v1, v9
	s_cbranch_scc0 .LBB148_69
; %bb.70:                               ;   in Loop: Header=BB148_9 Depth=1
	s_mov_b32 s14, s31
	s_and_not1_b32 vcc_lo, exec_lo, s34
	s_cbranch_vccz .LBB148_73
	s_branch .LBB148_75
.LBB148_71:                             ;   in Loop: Header=BB148_9 Depth=1
                                        ; implicit-def: $vgpr1
	s_branch .LBB148_76
.LBB148_72:                             ;   in Loop: Header=BB148_9 Depth=1
	v_mov_b32_e32 v2, v0
	s_and_not1_b32 vcc_lo, exec_lo, s34
	s_cbranch_vccnz .LBB148_75
.LBB148_73:                             ;   in Loop: Header=BB148_9 Depth=1
	s_lshl_b32 s15, s14, 2
	s_mul_i32 s22, s14, 12
	s_add_u32 s14, s0, s15
	s_addc_u32 s15, s1, 0
	s_add_u32 s22, s18, s22
	s_addc_u32 s23, s19, 0
	s_mov_b32 s36, s29
	.p2align	6
.LBB148_74:                             ;   Parent Loop BB148_9 Depth=1
                                        ; =>  This Inner Loop Header: Depth=2
	s_clause 0x1
	s_load_b64 s[38:39], s[22:23], 0x4
	s_load_b32 s37, s[22:23], 0xc
	s_add_u32 s22, s22, 12
	s_addc_u32 s23, s23, 0
	s_waitcnt lgkmcnt(0)
	v_mul_hi_u32 v7, s39, v2
	s_load_b32 s39, s[14:15], 0x0
	s_add_u32 s14, s14, 4
	s_addc_u32 s15, s15, 0
	s_add_i32 s36, s36, -1
	s_delay_alu instid0(SALU_CYCLE_1) | instskip(NEXT) | instid1(VALU_DEP_1)
	s_cmp_lg_u32 s36, 0
	v_add_nc_u32_e32 v7, v2, v7
	s_delay_alu instid0(VALU_DEP_1) | instskip(NEXT) | instid1(VALU_DEP_1)
	v_lshrrev_b32_e32 v9, s37, v7
	v_mul_lo_u32 v7, v9, s38
	s_delay_alu instid0(VALU_DEP_1) | instskip(SKIP_1) | instid1(VALU_DEP_1)
	v_sub_nc_u32_e32 v2, v2, v7
	s_waitcnt lgkmcnt(0)
	v_mad_u64_u32 v[7:8], null, v2, s39, v[1:2]
	s_delay_alu instid0(VALU_DEP_1)
	v_dual_mov_b32 v2, v9 :: v_dual_mov_b32 v1, v7
	s_cbranch_scc1 .LBB148_74
.LBB148_75:                             ;   in Loop: Header=BB148_9 Depth=1
	s_cbranch_execnz .LBB148_7
.LBB148_76:                             ;   in Loop: Header=BB148_9 Depth=1
	v_mul_hi_u32 v1, v0, s6
	s_and_not1_b32 vcc_lo, exec_lo, s4
	s_delay_alu instid0(VALU_DEP_1) | instskip(NEXT) | instid1(VALU_DEP_1)
	v_add_nc_u32_e32 v1, v1, v0
	v_lshrrev_b32_e32 v2, s7, v1
	s_delay_alu instid0(VALU_DEP_1) | instskip(NEXT) | instid1(VALU_DEP_1)
	v_mul_lo_u32 v1, v2, s5
	v_sub_nc_u32_e32 v0, v0, v1
	s_delay_alu instid0(VALU_DEP_1)
	v_mul_lo_u32 v1, v0, s20
	s_cbranch_vccnz .LBB148_7
; %bb.77:                               ;   in Loop: Header=BB148_9 Depth=1
	v_mul_hi_u32 v0, s9, v2
	s_delay_alu instid0(VALU_DEP_1) | instskip(NEXT) | instid1(VALU_DEP_1)
	v_add_nc_u32_e32 v0, v2, v0
	v_lshrrev_b32_e32 v0, s10, v0
	s_delay_alu instid0(VALU_DEP_1) | instskip(NEXT) | instid1(VALU_DEP_1)
	v_mul_lo_u32 v0, v0, s8
	v_sub_nc_u32_e32 v0, v2, v0
	s_delay_alu instid0(VALU_DEP_1) | instskip(NEXT) | instid1(VALU_DEP_1)
	v_mad_u64_u32 v[7:8], null, v0, s21, v[1:2]
	v_mov_b32_e32 v1, v7
	s_branch .LBB148_7
.LBB148_78:
	s_endpgm
.LBB148_79:
                                        ; implicit-def: $sgpr2_sgpr3
	s_branch .LBB148_4
	.section	.rodata,"a",@progbits
	.p2align	6, 0x0
	.amdhsa_kernel _ZN2at6native12_GLOBAL__N_143distribution_elementwise_grid_stride_kernelIfLi4EZNS0_9templates4cuda21uniform_and_transformIffPNS_17CUDAGeneratorImplEZZZNS4_16bernoulli_kernelIS7_EEvRNS_18TensorIteratorBaseEdT_ENKUlvE_clEvENKUlvE5_clEvEUlfE_EEvSA_T1_T2_EUlP25hiprandStatePhilox4_32_10E0_ZNS1_27distribution_nullary_kernelIff15HIP_vector_typeIfLj4EES7_SJ_SE_EEvSA_SG_RKT3_T4_EUlifE0_EEvlNS_15PhiloxCudaStateESF_SG_
		.amdhsa_group_segment_fixed_size 0
		.amdhsa_private_segment_fixed_size 0
		.amdhsa_kernarg_size 584
		.amdhsa_user_sgpr_count 15
		.amdhsa_user_sgpr_dispatch_ptr 0
		.amdhsa_user_sgpr_queue_ptr 0
		.amdhsa_user_sgpr_kernarg_segment_ptr 1
		.amdhsa_user_sgpr_dispatch_id 0
		.amdhsa_user_sgpr_private_segment_size 0
		.amdhsa_wavefront_size32 1
		.amdhsa_uses_dynamic_stack 0
		.amdhsa_enable_private_segment 0
		.amdhsa_system_sgpr_workgroup_id_x 1
		.amdhsa_system_sgpr_workgroup_id_y 0
		.amdhsa_system_sgpr_workgroup_id_z 0
		.amdhsa_system_sgpr_workgroup_info 0
		.amdhsa_system_vgpr_workitem_id 0
		.amdhsa_next_free_vgpr 45
		.amdhsa_next_free_sgpr 56
		.amdhsa_reserve_vcc 1
		.amdhsa_float_round_mode_32 0
		.amdhsa_float_round_mode_16_64 0
		.amdhsa_float_denorm_mode_32 3
		.amdhsa_float_denorm_mode_16_64 3
		.amdhsa_dx10_clamp 1
		.amdhsa_ieee_mode 1
		.amdhsa_fp16_overflow 0
		.amdhsa_workgroup_processor_mode 1
		.amdhsa_memory_ordered 1
		.amdhsa_forward_progress 0
		.amdhsa_shared_vgpr_count 0
		.amdhsa_exception_fp_ieee_invalid_op 0
		.amdhsa_exception_fp_denorm_src 0
		.amdhsa_exception_fp_ieee_div_zero 0
		.amdhsa_exception_fp_ieee_overflow 0
		.amdhsa_exception_fp_ieee_underflow 0
		.amdhsa_exception_fp_ieee_inexact 0
		.amdhsa_exception_int_div_zero 0
	.end_amdhsa_kernel
	.section	.text._ZN2at6native12_GLOBAL__N_143distribution_elementwise_grid_stride_kernelIfLi4EZNS0_9templates4cuda21uniform_and_transformIffPNS_17CUDAGeneratorImplEZZZNS4_16bernoulli_kernelIS7_EEvRNS_18TensorIteratorBaseEdT_ENKUlvE_clEvENKUlvE5_clEvEUlfE_EEvSA_T1_T2_EUlP25hiprandStatePhilox4_32_10E0_ZNS1_27distribution_nullary_kernelIff15HIP_vector_typeIfLj4EES7_SJ_SE_EEvSA_SG_RKT3_T4_EUlifE0_EEvlNS_15PhiloxCudaStateESF_SG_,"axG",@progbits,_ZN2at6native12_GLOBAL__N_143distribution_elementwise_grid_stride_kernelIfLi4EZNS0_9templates4cuda21uniform_and_transformIffPNS_17CUDAGeneratorImplEZZZNS4_16bernoulli_kernelIS7_EEvRNS_18TensorIteratorBaseEdT_ENKUlvE_clEvENKUlvE5_clEvEUlfE_EEvSA_T1_T2_EUlP25hiprandStatePhilox4_32_10E0_ZNS1_27distribution_nullary_kernelIff15HIP_vector_typeIfLj4EES7_SJ_SE_EEvSA_SG_RKT3_T4_EUlifE0_EEvlNS_15PhiloxCudaStateESF_SG_,comdat
.Lfunc_end148:
	.size	_ZN2at6native12_GLOBAL__N_143distribution_elementwise_grid_stride_kernelIfLi4EZNS0_9templates4cuda21uniform_and_transformIffPNS_17CUDAGeneratorImplEZZZNS4_16bernoulli_kernelIS7_EEvRNS_18TensorIteratorBaseEdT_ENKUlvE_clEvENKUlvE5_clEvEUlfE_EEvSA_T1_T2_EUlP25hiprandStatePhilox4_32_10E0_ZNS1_27distribution_nullary_kernelIff15HIP_vector_typeIfLj4EES7_SJ_SE_EEvSA_SG_RKT3_T4_EUlifE0_EEvlNS_15PhiloxCudaStateESF_SG_, .Lfunc_end148-_ZN2at6native12_GLOBAL__N_143distribution_elementwise_grid_stride_kernelIfLi4EZNS0_9templates4cuda21uniform_and_transformIffPNS_17CUDAGeneratorImplEZZZNS4_16bernoulli_kernelIS7_EEvRNS_18TensorIteratorBaseEdT_ENKUlvE_clEvENKUlvE5_clEvEUlfE_EEvSA_T1_T2_EUlP25hiprandStatePhilox4_32_10E0_ZNS1_27distribution_nullary_kernelIff15HIP_vector_typeIfLj4EES7_SJ_SE_EEvSA_SG_RKT3_T4_EUlifE0_EEvlNS_15PhiloxCudaStateESF_SG_
                                        ; -- End function
	.section	.AMDGPU.csdata,"",@progbits
; Kernel info:
; codeLenInByte = 5256
; NumSgprs: 58
; NumVgprs: 45
; ScratchSize: 0
; MemoryBound: 0
; FloatMode: 240
; IeeeMode: 1
; LDSByteSize: 0 bytes/workgroup (compile time only)
; SGPRBlocks: 7
; VGPRBlocks: 5
; NumSGPRsForWavesPerEU: 58
; NumVGPRsForWavesPerEU: 45
; Occupancy: 16
; WaveLimiterHint : 1
; COMPUTE_PGM_RSRC2:SCRATCH_EN: 0
; COMPUTE_PGM_RSRC2:USER_SGPR: 15
; COMPUTE_PGM_RSRC2:TRAP_HANDLER: 0
; COMPUTE_PGM_RSRC2:TGID_X_EN: 1
; COMPUTE_PGM_RSRC2:TGID_Y_EN: 0
; COMPUTE_PGM_RSRC2:TGID_Z_EN: 0
; COMPUTE_PGM_RSRC2:TIDIG_COMP_CNT: 0
	.section	.text._ZN2at6native12_GLOBAL__N_143distribution_elementwise_grid_stride_kernelIfLi4EZNS0_9templates4cuda21uniform_and_transformIN3c104HalfEfPNS_17CUDAGeneratorImplEZZZNS4_16bernoulli_kernelIS9_EEvRNS_18TensorIteratorBaseEdT_ENKUlvE_clEvENKUlvE6_clEvEUlfE_EEvSC_T1_T2_EUlP25hiprandStatePhilox4_32_10E_ZNS1_27distribution_nullary_kernelIS7_f15HIP_vector_typeIdLj2EES9_SL_SG_EEvSC_SI_RKT3_T4_EUlifE_EEvlNS_15PhiloxCudaStateESH_SI_,"axG",@progbits,_ZN2at6native12_GLOBAL__N_143distribution_elementwise_grid_stride_kernelIfLi4EZNS0_9templates4cuda21uniform_and_transformIN3c104HalfEfPNS_17CUDAGeneratorImplEZZZNS4_16bernoulli_kernelIS9_EEvRNS_18TensorIteratorBaseEdT_ENKUlvE_clEvENKUlvE6_clEvEUlfE_EEvSC_T1_T2_EUlP25hiprandStatePhilox4_32_10E_ZNS1_27distribution_nullary_kernelIS7_f15HIP_vector_typeIdLj2EES9_SL_SG_EEvSC_SI_RKT3_T4_EUlifE_EEvlNS_15PhiloxCudaStateESH_SI_,comdat
	.globl	_ZN2at6native12_GLOBAL__N_143distribution_elementwise_grid_stride_kernelIfLi4EZNS0_9templates4cuda21uniform_and_transformIN3c104HalfEfPNS_17CUDAGeneratorImplEZZZNS4_16bernoulli_kernelIS9_EEvRNS_18TensorIteratorBaseEdT_ENKUlvE_clEvENKUlvE6_clEvEUlfE_EEvSC_T1_T2_EUlP25hiprandStatePhilox4_32_10E_ZNS1_27distribution_nullary_kernelIS7_f15HIP_vector_typeIdLj2EES9_SL_SG_EEvSC_SI_RKT3_T4_EUlifE_EEvlNS_15PhiloxCudaStateESH_SI_ ; -- Begin function _ZN2at6native12_GLOBAL__N_143distribution_elementwise_grid_stride_kernelIfLi4EZNS0_9templates4cuda21uniform_and_transformIN3c104HalfEfPNS_17CUDAGeneratorImplEZZZNS4_16bernoulli_kernelIS9_EEvRNS_18TensorIteratorBaseEdT_ENKUlvE_clEvENKUlvE6_clEvEUlfE_EEvSC_T1_T2_EUlP25hiprandStatePhilox4_32_10E_ZNS1_27distribution_nullary_kernelIS7_f15HIP_vector_typeIdLj2EES9_SL_SG_EEvSC_SI_RKT3_T4_EUlifE_EEvlNS_15PhiloxCudaStateESH_SI_
	.p2align	8
	.type	_ZN2at6native12_GLOBAL__N_143distribution_elementwise_grid_stride_kernelIfLi4EZNS0_9templates4cuda21uniform_and_transformIN3c104HalfEfPNS_17CUDAGeneratorImplEZZZNS4_16bernoulli_kernelIS9_EEvRNS_18TensorIteratorBaseEdT_ENKUlvE_clEvENKUlvE6_clEvEUlfE_EEvSC_T1_T2_EUlP25hiprandStatePhilox4_32_10E_ZNS1_27distribution_nullary_kernelIS7_f15HIP_vector_typeIdLj2EES9_SL_SG_EEvSC_SI_RKT3_T4_EUlifE_EEvlNS_15PhiloxCudaStateESH_SI_,@function
_ZN2at6native12_GLOBAL__N_143distribution_elementwise_grid_stride_kernelIfLi4EZNS0_9templates4cuda21uniform_and_transformIN3c104HalfEfPNS_17CUDAGeneratorImplEZZZNS4_16bernoulli_kernelIS9_EEvRNS_18TensorIteratorBaseEdT_ENKUlvE_clEvENKUlvE6_clEvEUlfE_EEvSC_T1_T2_EUlP25hiprandStatePhilox4_32_10E_ZNS1_27distribution_nullary_kernelIS7_f15HIP_vector_typeIdLj2EES9_SL_SG_EEvSC_SI_RKT3_T4_EUlifE_EEvlNS_15PhiloxCudaStateESH_SI_: ; @_ZN2at6native12_GLOBAL__N_143distribution_elementwise_grid_stride_kernelIfLi4EZNS0_9templates4cuda21uniform_and_transformIN3c104HalfEfPNS_17CUDAGeneratorImplEZZZNS4_16bernoulli_kernelIS9_EEvRNS_18TensorIteratorBaseEdT_ENKUlvE_clEvENKUlvE6_clEvEUlfE_EEvSC_T1_T2_EUlP25hiprandStatePhilox4_32_10E_ZNS1_27distribution_nullary_kernelIS7_f15HIP_vector_typeIdLj2EES9_SL_SG_EEvSC_SI_RKT3_T4_EUlifE_EEvlNS_15PhiloxCudaStateESH_SI_
; %bb.0:
	s_clause 0x2
	s_load_b64 s[8:9], s[0:1], 0x10
	s_load_b128 s[4:7], s[0:1], 0x0
	s_load_b32 s2, s[0:1], 0x20
	s_waitcnt lgkmcnt(0)
	v_dual_mov_b32 v2, s8 :: v_dual_mov_b32 v3, s9
	v_dual_mov_b32 v12, s7 :: v_dual_mov_b32 v11, s6
	s_bitcmp0_b32 s2, 0
	s_mov_b32 s2, 0
	s_cbranch_scc1 .LBB149_2
; %bb.1:
	v_dual_mov_b32 v1, s8 :: v_dual_mov_b32 v2, s9
	v_dual_mov_b32 v4, s6 :: v_dual_mov_b32 v5, s7
	s_load_b64 s[6:7], s[0:1], 0x18
	flat_load_b64 v[2:3], v[1:2]
	flat_load_b64 v[11:12], v[4:5]
	s_waitcnt vmcnt(1) lgkmcnt(0)
	v_add_co_u32 v2, vcc_lo, v2, s6
	v_add_co_ci_u32_e32 v3, vcc_lo, s7, v3, vcc_lo
.LBB149_2:
	s_clause 0x1
	s_load_b32 s3, s[0:1], 0x54
	s_load_b32 s11, s[0:1], 0x48
	s_waitcnt lgkmcnt(0)
	s_and_b32 s10, s3, 0xffff
	s_add_u32 s6, s4, -1
	s_mul_i32 s8, s11, s10
	s_addc_u32 s3, s5, -1
	s_lshl_b32 s9, s8, 2
	s_cmp_lg_u64 s[2:3], 0
	s_cbranch_scc0 .LBB149_23
; %bb.3:
	v_cvt_f32_ubyte0_e32 v1, 0
	v_cvt_f32_u32_e32 v4, s9
	s_sub_u32 s12, 0, s9
	s_subb_u32 s13, 0, 0
	s_delay_alu instid0(VALU_DEP_1) | instskip(NEXT) | instid1(VALU_DEP_1)
	v_fmamk_f32 v1, v1, 0x4f800000, v4
	v_rcp_f32_e32 v1, v1
	s_waitcnt_depctr 0xfff
	v_mul_f32_e32 v1, 0x5f7ffffc, v1
	s_delay_alu instid0(VALU_DEP_1) | instskip(NEXT) | instid1(VALU_DEP_1)
	v_mul_f32_e32 v4, 0x2f800000, v1
	v_trunc_f32_e32 v4, v4
	s_delay_alu instid0(VALU_DEP_1) | instskip(SKIP_1) | instid1(VALU_DEP_2)
	v_fmamk_f32 v1, v4, 0xcf800000, v1
	v_cvt_u32_f32_e32 v4, v4
	v_cvt_u32_f32_e32 v1, v1
	s_delay_alu instid0(VALU_DEP_2) | instskip(NEXT) | instid1(VALU_DEP_2)
	v_readfirstlane_b32 s2, v4
	v_readfirstlane_b32 s7, v1
	s_delay_alu instid0(VALU_DEP_2) | instskip(NEXT) | instid1(VALU_DEP_1)
	s_mul_i32 s14, s12, s2
	s_mul_hi_u32 s17, s12, s7
	s_mul_i32 s16, s13, s7
	s_add_i32 s14, s17, s14
	s_mul_i32 s18, s12, s7
	s_add_i32 s14, s14, s16
	s_mul_hi_u32 s17, s7, s18
	s_mul_hi_u32 s19, s2, s18
	s_mul_i32 s16, s2, s18
	s_mul_hi_u32 s18, s7, s14
	s_mul_i32 s7, s7, s14
	s_mul_hi_u32 s20, s2, s14
	s_add_u32 s7, s17, s7
	s_addc_u32 s17, 0, s18
	s_add_u32 s7, s7, s16
	s_mul_i32 s14, s2, s14
	s_addc_u32 s7, s17, s19
	s_addc_u32 s16, s20, 0
	s_add_u32 s7, s7, s14
	s_addc_u32 s14, 0, s16
	v_add_co_u32 v1, s7, v1, s7
	s_delay_alu instid0(VALU_DEP_1) | instskip(SKIP_1) | instid1(VALU_DEP_1)
	s_cmp_lg_u32 s7, 0
	s_addc_u32 s2, s2, s14
	v_readfirstlane_b32 s7, v1
	s_mul_i32 s14, s12, s2
	s_delay_alu instid0(VALU_DEP_1)
	s_mul_hi_u32 s16, s12, s7
	s_mul_i32 s13, s13, s7
	s_add_i32 s14, s16, s14
	s_mul_i32 s12, s12, s7
	s_add_i32 s14, s14, s13
	s_mul_hi_u32 s16, s2, s12
	s_mul_i32 s17, s2, s12
	s_mul_hi_u32 s12, s7, s12
	s_mul_hi_u32 s18, s7, s14
	s_mul_i32 s7, s7, s14
	s_mul_hi_u32 s13, s2, s14
	s_add_u32 s7, s12, s7
	s_addc_u32 s12, 0, s18
	s_add_u32 s7, s7, s17
	s_mul_i32 s14, s2, s14
	s_addc_u32 s7, s12, s16
	s_addc_u32 s12, s13, 0
	s_add_u32 s7, s7, s14
	s_addc_u32 s12, 0, s12
	v_add_co_u32 v1, s7, v1, s7
	s_delay_alu instid0(VALU_DEP_1) | instskip(SKIP_2) | instid1(VALU_DEP_1)
	s_cmp_lg_u32 s7, 0
	s_addc_u32 s7, s2, s12
	s_ashr_i32 s12, s3, 31
	v_readfirstlane_b32 s14, v1
	s_add_u32 s2, s6, s12
	s_mov_b32 s13, s12
	s_addc_u32 s3, s3, s12
	s_delay_alu instid0(SALU_CYCLE_1) | instskip(NEXT) | instid1(SALU_CYCLE_1)
	s_xor_b64 s[2:3], s[2:3], s[12:13]
	s_mul_i32 s17, s2, s7
	s_mul_hi_u32 s18, s2, s14
	s_mul_hi_u32 s16, s2, s7
	;; [unrolled: 1-line block ×3, first 2 shown]
	s_mul_i32 s14, s3, s14
	s_add_u32 s17, s18, s17
	s_addc_u32 s16, 0, s16
	s_mul_hi_u32 s19, s3, s7
	s_add_u32 s14, s17, s14
	s_mul_i32 s7, s3, s7
	s_addc_u32 s14, s16, s20
	s_addc_u32 s16, s19, 0
	s_add_u32 s7, s14, s7
	s_addc_u32 s14, 0, s16
	s_mul_i32 s17, s9, s7
	s_add_u32 s16, s7, 1
	v_sub_co_u32 v1, s2, s2, s17
	s_mul_hi_u32 s17, s9, s7
	s_addc_u32 s18, s14, 0
	s_mul_i32 s19, s9, s14
	s_delay_alu instid0(VALU_DEP_1)
	v_sub_co_u32 v4, s20, v1, s9
	s_add_u32 s21, s7, 2
	s_addc_u32 s22, s14, 0
	s_add_i32 s17, s17, s19
	s_cmp_lg_u32 s2, 0
	v_readfirstlane_b32 s2, v4
	s_subb_u32 s3, s3, s17
	s_cmp_lg_u32 s20, 0
	s_subb_u32 s17, s3, 0
	s_delay_alu instid0(VALU_DEP_1) | instskip(SKIP_4) | instid1(SALU_CYCLE_1)
	s_cmp_ge_u32 s2, s9
	s_cselect_b32 s2, -1, 0
	s_cmp_eq_u32 s17, 0
	v_readfirstlane_b32 s17, v1
	s_cselect_b32 s2, s2, -1
	s_cmp_lg_u32 s2, 0
	s_cselect_b32 s2, s21, s16
	s_cselect_b32 s16, s22, s18
	s_cmp_ge_u32 s17, s9
	s_cselect_b32 s17, -1, 0
	s_cmp_eq_u32 s3, 0
	s_cselect_b32 s3, s17, -1
	s_delay_alu instid0(SALU_CYCLE_1) | instskip(SKIP_2) | instid1(SALU_CYCLE_1)
	s_cmp_lg_u32 s3, 0
	s_cselect_b32 s3, s16, s14
	s_cselect_b32 s2, s2, s7
	s_xor_b64 s[2:3], s[2:3], s[12:13]
	s_delay_alu instid0(SALU_CYCLE_1)
	s_sub_u32 s2, s2, s12
	s_subb_u32 s3, s3, s12
	s_cbranch_execnz .LBB149_5
.LBB149_4:
	v_cvt_f32_u32_e32 v1, s9
	s_sub_i32 s3, 0, s9
	s_delay_alu instid0(VALU_DEP_1) | instskip(SKIP_2) | instid1(VALU_DEP_1)
	v_rcp_iflag_f32_e32 v1, v1
	s_waitcnt_depctr 0xfff
	v_mul_f32_e32 v1, 0x4f7ffffe, v1
	v_cvt_u32_f32_e32 v1, v1
	s_delay_alu instid0(VALU_DEP_1) | instskip(NEXT) | instid1(VALU_DEP_1)
	v_readfirstlane_b32 s2, v1
	s_mul_i32 s3, s3, s2
	s_delay_alu instid0(SALU_CYCLE_1) | instskip(NEXT) | instid1(SALU_CYCLE_1)
	s_mul_hi_u32 s3, s2, s3
	s_add_i32 s2, s2, s3
	s_delay_alu instid0(SALU_CYCLE_1) | instskip(NEXT) | instid1(SALU_CYCLE_1)
	s_mul_hi_u32 s2, s6, s2
	s_mul_i32 s3, s2, s9
	s_delay_alu instid0(SALU_CYCLE_1)
	s_sub_i32 s3, s6, s3
	s_add_i32 s6, s2, 1
	s_sub_i32 s7, s3, s9
	s_cmp_ge_u32 s3, s9
	s_cselect_b32 s2, s6, s2
	s_cselect_b32 s3, s7, s3
	s_add_i32 s6, s2, 1
	s_cmp_ge_u32 s3, s9
	s_mov_b32 s3, 0
	s_cselect_b32 s2, s6, s2
.LBB149_5:
	v_mov_b32_e32 v1, 0
	s_add_u32 s2, s2, 1
	s_addc_u32 s3, s3, 0
	s_mul_hi_u32 s6, s8, s2
	s_mul_i32 s3, s8, s3
	v_mad_u64_u32 v[13:14], null, s10, s15, v[0:1]
	s_mul_hi_u32 s7, s11, s10
	s_add_i32 s3, s6, s3
	s_mul_i32 s7, s7, s2
	s_mul_i32 s2, s8, s2
	s_add_i32 s3, s3, s7
	s_mov_b32 s6, exec_lo
	s_lshl_b64 s[2:3], s[2:3], 2
	s_delay_alu instid0(SALU_CYCLE_1)
	v_cmpx_gt_i64_e64 s[2:3], v[13:14]
	s_cbranch_execz .LBB149_22
; %bb.6:
	v_alignbit_b32 v17, v3, v2, 2
	v_mad_u64_u32 v[6:7], null, 0xcd9e8d57, v13, 0
	v_lshrrev_b32_e32 v18, 2, v3
	s_waitcnt vmcnt(0)
	v_dual_mov_b32 v15, v12 :: v_dual_and_b32 v34, 3, v2
	v_mad_u64_u32 v[4:5], null, 0xd2511f53, v17, 0
	v_add_co_u32 v20, null, 0x9e3779b9, v11
	v_xor3_b32 v3, v11, v7, v18
	s_delay_alu instid0(VALU_DEP_4) | instskip(SKIP_2) | instid1(VALU_DEP_4)
	v_add_co_u32 v19, null, 0xbb67ae85, v15
	v_add_co_u32 v21, null, 0x3c6ef372, v11
	v_xor_b32_e32 v1, v5, v12
	v_mad_u64_u32 v[7:8], null, 0xd2511f53, v3, 0
	v_add_co_u32 v22, null, 0x76cf5d0a, v15
	s_delay_alu instid0(VALU_DEP_3) | instskip(SKIP_2) | instid1(VALU_DEP_3)
	v_xor_b32_e32 v1, v1, v14
	v_add_co_u32 v23, null, 0x32370b8f, v15
	v_add_co_u32 v24, null, 0xdaa66d2b, v11
	v_mad_u64_u32 v[9:10], null, 0xcd9e8d57, v1, 0
	v_xor3_b32 v1, v19, v8, v4
	v_add_co_u32 v25, null, 0x78dde6e4, v11
	v_add_co_u32 v26, null, 0xed9eba14, v15
	s_delay_alu instid0(VALU_DEP_3) | instskip(SKIP_3) | instid1(VALU_DEP_3)
	v_mad_u64_u32 v[3:4], null, 0xcd9e8d57, v1, 0
	v_xor3_b32 v8, v20, v10, v6
	v_add_co_u32 v27, null, 0xa9066899, v15
	v_add_co_u32 v28, null, 0x1715609d, v11
	v_mad_u64_u32 v[5:6], null, 0xd2511f53, v8, 0
	v_xor3_b32 v1, v21, v4, v9
	s_load_b64 s[12:13], s[0:1], 0x40
	v_add_co_u32 v29, null, 0xb54cda56, v11
	v_add_co_u32 v30, null, 0x646e171e, v15
	s_delay_alu instid0(VALU_DEP_4) | instskip(SKIP_2) | instid1(VALU_DEP_3)
	v_xor3_b32 v4, v22, v6, v7
	v_mad_u64_u32 v[6:7], null, 0xd2511f53, v1, 0
	v_add_co_u32 v31, null, 0x1fd5c5a3, v15
	v_mad_u64_u32 v[8:9], null, 0xcd9e8d57, v4, 0
	v_add_co_u32 v32, null, 0x5384540f, v11
	s_delay_alu instid0(VALU_DEP_4) | instskip(SKIP_4) | instid1(VALU_DEP_4)
	v_xor3_b32 v1, v23, v7, v5
	s_clause 0x1
	s_load_b64 s[6:7], s[0:1], 0x30
	s_load_b32 s0, s[0:1], 0x38
	v_add_co_u32 v36, null, 0xf1bbcdc8, v11
	v_xor3_b32 v5, v24, v9, v3
	v_mad_u64_u32 v[3:4], null, 0xcd9e8d57, v1, 0
	s_waitcnt lgkmcnt(0)
	v_cvt_f32_f64_e32 v33, s[12:13]
	v_add_co_u32 v37, null, 0xdb3d7428, v15
	v_mad_u64_u32 v[9:10], null, 0xd2511f53, v5, 0
	v_dual_mov_b32 v42, v14 :: v_dual_add_nc_u32 v35, 0x8ff34781, v11
	v_xor3_b32 v1, v25, v4, v8
	v_dual_mov_b32 v39, v13 :: v_dual_add_nc_u32 v38, 0x96a522ad, v12
	s_delay_alu instid0(VALU_DEP_4) | instskip(NEXT) | instid1(VALU_DEP_3)
	v_xor3_b32 v8, v26, v10, v6
	v_mad_u64_u32 v[4:5], null, 0xd2511f53, v1, 0
	s_mul_i32 s1, s11, s0
	s_delay_alu instid0(VALU_DEP_2) | instskip(SKIP_1) | instid1(VALU_DEP_2)
	v_mad_u64_u32 v[6:7], null, 0xcd9e8d57, v8, 0
	s_mul_i32 s1, s1, s10
	v_xor3_b32 v1, v27, v5, v9
	s_lshl_b32 s1, s1, 2
	s_delay_alu instid0(VALU_DEP_2) | instskip(NEXT) | instid1(VALU_DEP_2)
	v_xor3_b32 v3, v28, v7, v3
	v_mad_u64_u32 v[7:8], null, 0xcd9e8d57, v1, 0
	s_delay_alu instid0(VALU_DEP_2) | instskip(NEXT) | instid1(VALU_DEP_2)
	v_mad_u64_u32 v[9:10], null, 0xd2511f53, v3, 0
	v_xor3_b32 v1, v29, v8, v6
	s_delay_alu instid0(VALU_DEP_2) | instskip(NEXT) | instid1(VALU_DEP_2)
	v_xor3_b32 v8, v30, v10, v4
	v_mad_u64_u32 v[3:4], null, 0xd2511f53, v1, 0
	s_delay_alu instid0(VALU_DEP_2) | instskip(NEXT) | instid1(VALU_DEP_2)
	v_mad_u64_u32 v[5:6], null, 0xcd9e8d57, v8, 0
	v_xor3_b32 v1, v31, v4, v9
	s_delay_alu instid0(VALU_DEP_2) | instskip(NEXT) | instid1(VALU_DEP_2)
	v_xor3_b32 v2, v32, v6, v7
	v_mad_u64_u32 v[6:7], null, 0xcd9e8d57, v1, 0
	v_mad_u64_u32 v[15:16], null, s15, s10, v[0:1]
	s_delay_alu instid0(VALU_DEP_3) | instskip(SKIP_1) | instid1(VALU_DEP_3)
	v_mad_u64_u32 v[8:9], null, 0xd2511f53, v2, 0
	s_add_i32 s15, s15, s11
	v_xor3_b32 v1, v36, v7, v5
	s_delay_alu instid0(VALU_DEP_3) | instskip(NEXT) | instid1(VALU_DEP_3)
	v_mul_lo_u32 v40, s0, v15
	v_xor3_b32 v7, v37, v9, v3
	s_delay_alu instid0(VALU_DEP_3) | instskip(SKIP_1) | instid1(VALU_DEP_3)
	v_mad_u64_u32 v[3:4], null, s15, s10, v[0:1]
	v_mad_u64_u32 v[4:5], null, 0xd2511f53, v1, 0
	;; [unrolled: 1-line block ×3, first 2 shown]
	s_mov_b32 s10, 0
	s_delay_alu instid0(VALU_DEP_3) | instskip(SKIP_1) | instid1(VALU_DEP_3)
	v_mul_lo_u32 v41, s0, v3
	s_mov_b32 s0, 0
	v_mov_b32_e32 v3, v4
	s_delay_alu instid0(VALU_DEP_3)
	v_xor3_b32 v0, v2, v6, v35
	v_xor3_b32 v2, v5, v8, v38
	s_branch .LBB149_8
.LBB149_7:                              ;   in Loop: Header=BB149_8 Depth=1
	s_or_b32 exec_lo, exec_lo, s11
	v_add_co_u32 v13, vcc_lo, v13, s9
	v_add_co_ci_u32_e32 v14, vcc_lo, 0, v14, vcc_lo
	v_mov_b32_e32 v7, v15
	v_dual_mov_b32 v0, v4 :: v_dual_mov_b32 v1, v5
	s_delay_alu instid0(VALU_DEP_3) | instskip(NEXT) | instid1(VALU_DEP_3)
	v_cmp_le_i64_e32 vcc_lo, s[2:3], v[13:14]
	v_dual_mov_b32 v2, v6 :: v_dual_mov_b32 v3, v7
	s_add_i32 s10, s10, s1
	s_waitcnt_vscnt null, 0x0
	s_barrier
	s_or_b32 s0, vcc_lo, s0
	buffer_gl0_inv
	s_and_not1_b32 exec_lo, exec_lo, s0
	s_cbranch_execz .LBB149_22
.LBB149_8:                              ; =>This Inner Loop Header: Depth=1
	v_add_co_u32 v17, vcc_lo, v17, 1
	s_delay_alu instid0(VALU_DEP_1) | instskip(SKIP_2) | instid1(VALU_DEP_1)
	v_cndmask_b32_e64 v4, 0, 1, vcc_lo
	v_add_co_ci_u32_e32 v18, vcc_lo, 0, v18, vcc_lo
	s_mov_b32 s11, exec_lo
	v_cmp_eq_u32_e32 vcc_lo, 0, v18
	s_delay_alu instid0(VALU_DEP_3) | instskip(NEXT) | instid1(VALU_DEP_1)
	v_cndmask_b32_e32 v4, 0, v4, vcc_lo
	v_add_nc_u32_e32 v39, v4, v39
	s_delay_alu instid0(VALU_DEP_1) | instskip(SKIP_2) | instid1(VALU_DEP_2)
	v_cmp_eq_u32_e32 vcc_lo, 0, v39
	v_cndmask_b32_e32 v4, 0, v4, vcc_lo
	v_mad_u64_u32 v[6:7], null, 0xcd9e8d57, v39, 0
	v_add_nc_u32_e32 v42, v4, v42
	v_mad_u64_u32 v[4:5], null, 0xd2511f53, v17, 0
	s_delay_alu instid0(VALU_DEP_3) | instskip(NEXT) | instid1(VALU_DEP_2)
	v_xor3_b32 v9, v7, v11, v18
	v_xor_b32_e32 v5, v5, v12
	s_delay_alu instid0(VALU_DEP_2) | instskip(NEXT) | instid1(VALU_DEP_2)
	v_mad_u64_u32 v[7:8], null, 0xd2511f53, v9, 0
	v_xor_b32_e32 v5, v42, v5
	s_delay_alu instid0(VALU_DEP_2) | instskip(NEXT) | instid1(VALU_DEP_2)
	v_xor3_b32 v8, v19, v8, v4
	v_mad_u64_u32 v[9:10], null, 0xcd9e8d57, v5, 0
	s_delay_alu instid0(VALU_DEP_2) | instskip(NEXT) | instid1(VALU_DEP_2)
	v_mad_u64_u32 v[4:5], null, 0xcd9e8d57, v8, 0
	v_xor3_b32 v6, v20, v10, v6
	s_delay_alu instid0(VALU_DEP_2) | instskip(NEXT) | instid1(VALU_DEP_2)
	v_xor3_b32 v8, v21, v5, v9
	v_mad_u64_u32 v[15:16], null, 0xd2511f53, v6, 0
	s_delay_alu instid0(VALU_DEP_2) | instskip(NEXT) | instid1(VALU_DEP_2)
	v_mad_u64_u32 v[5:6], null, 0xd2511f53, v8, 0
	v_xor3_b32 v9, v22, v16, v7
	s_delay_alu instid0(VALU_DEP_2) | instskip(NEXT) | instid1(VALU_DEP_2)
	v_xor3_b32 v6, v23, v6, v15
	v_mad_u64_u32 v[7:8], null, 0xcd9e8d57, v9, 0
	s_delay_alu instid0(VALU_DEP_1) | instskip(NEXT) | instid1(VALU_DEP_3)
	v_xor3_b32 v4, v24, v8, v4
	v_mad_u64_u32 v[8:9], null, 0xcd9e8d57, v6, 0
	s_delay_alu instid0(VALU_DEP_2) | instskip(NEXT) | instid1(VALU_DEP_2)
	v_mad_u64_u32 v[15:16], null, 0xd2511f53, v4, 0
	v_xor3_b32 v6, v25, v9, v7
	s_delay_alu instid0(VALU_DEP_2) | instskip(NEXT) | instid1(VALU_DEP_2)
	v_xor3_b32 v9, v26, v16, v5
	v_mad_u64_u32 v[4:5], null, 0xd2511f53, v6, 0
	s_delay_alu instid0(VALU_DEP_2) | instskip(NEXT) | instid1(VALU_DEP_2)
	v_mad_u64_u32 v[6:7], null, 0xcd9e8d57, v9, 0
	v_xor3_b32 v5, v27, v5, v15
	s_delay_alu instid0(VALU_DEP_2) | instskip(NEXT) | instid1(VALU_DEP_2)
	;; [unrolled: 6-line block ×6, first 2 shown]
	v_xor3_b32 v4, v6, v7, v35
	v_mov_b32_e32 v6, v10
	v_cmpx_lt_i32_e32 1, v34
	s_xor_b32 s11, exec_lo, s11
	s_cbranch_execnz .LBB149_14
; %bb.9:                                ;   in Loop: Header=BB149_8 Depth=1
	s_and_not1_saveexec_b32 s11, s11
	s_cbranch_execnz .LBB149_19
.LBB149_10:                             ;   in Loop: Header=BB149_8 Depth=1
	s_or_b32 exec_lo, exec_lo, s11
	s_delay_alu instid0(SALU_CYCLE_1)
	s_mov_b32 s11, exec_lo
	v_cmpx_gt_i64_e64 s[4:5], v[13:14]
	s_cbranch_execz .LBB149_12
.LBB149_11:                             ;   in Loop: Header=BB149_8 Depth=1
	v_lshrrev_b32_e32 v1, 11, v1
	s_delay_alu instid0(VALU_DEP_1) | instskip(SKIP_1) | instid1(VALU_DEP_2)
	v_cvt_f64_u32_e32 v[7:8], v1
	v_cvt_f64_u32_e32 v[0:1], v0
	v_ldexp_f64 v[7:8], v[7:8], 32
	s_delay_alu instid0(VALU_DEP_1) | instskip(NEXT) | instid1(VALU_DEP_1)
	v_add_f64 v[0:1], v[7:8], v[0:1]
	v_fma_f64 v[0:1], 0x3ca00000, v[0:1], 0x3ca00000
	s_delay_alu instid0(VALU_DEP_1) | instskip(SKIP_1) | instid1(VALU_DEP_1)
	v_cvt_f32_f64_e32 v7, v[0:1]
	v_add_nc_u32_e32 v0, s10, v40
	v_ashrrev_i32_e32 v1, 31, v0
	v_add_co_u32 v0, vcc_lo, s6, v0
	s_delay_alu instid0(VALU_DEP_2)
	v_add_co_ci_u32_e32 v1, vcc_lo, s7, v1, vcc_lo
	v_cmp_gt_f32_e32 vcc_lo, v33, v7
	v_cndmask_b32_e64 v7, 0, 0x3c00, vcc_lo
	global_store_b16 v[0:1], v7, off
.LBB149_12:                             ;   in Loop: Header=BB149_8 Depth=1
	s_or_b32 exec_lo, exec_lo, s11
	v_add_co_u32 v0, vcc_lo, s8, v13
	v_add_co_ci_u32_e32 v1, vcc_lo, 0, v14, vcc_lo
	s_mov_b32 s11, exec_lo
	s_delay_alu instid0(VALU_DEP_1)
	v_cmpx_gt_i64_e64 s[4:5], v[0:1]
	s_cbranch_execz .LBB149_7
; %bb.13:                               ;   in Loop: Header=BB149_8 Depth=1
	v_lshrrev_b32_e32 v0, 11, v3
	v_cvt_f64_u32_e32 v[2:3], v2
	s_delay_alu instid0(VALU_DEP_2) | instskip(NEXT) | instid1(VALU_DEP_1)
	v_cvt_f64_u32_e32 v[0:1], v0
	v_ldexp_f64 v[0:1], v[0:1], 32
	s_delay_alu instid0(VALU_DEP_1) | instskip(NEXT) | instid1(VALU_DEP_1)
	v_add_f64 v[0:1], v[0:1], v[2:3]
	v_fma_f64 v[0:1], 0x3ca00000, v[0:1], 0x3ca00000
	s_delay_alu instid0(VALU_DEP_1) | instskip(SKIP_1) | instid1(VALU_DEP_1)
	v_cvt_f32_f64_e32 v2, v[0:1]
	v_add_nc_u32_e32 v0, s10, v41
	v_ashrrev_i32_e32 v1, 31, v0
	v_add_co_u32 v0, vcc_lo, s6, v0
	s_delay_alu instid0(VALU_DEP_2)
	v_add_co_ci_u32_e32 v1, vcc_lo, s7, v1, vcc_lo
	v_cmp_gt_f32_e32 vcc_lo, v33, v2
	v_cndmask_b32_e64 v2, 0, 0x3c00, vcc_lo
	global_store_b16 v[0:1], v2, off
	s_branch .LBB149_7
.LBB149_14:                             ;   in Loop: Header=BB149_8 Depth=1
	s_mov_b32 s12, exec_lo
	v_cmpx_lt_i32_e32 2, v34
	s_xor_b32 s12, exec_lo, s12
; %bb.15:                               ;   in Loop: Header=BB149_8 Depth=1
	v_dual_mov_b32 v7, v3 :: v_dual_mov_b32 v8, v4
	v_mov_b32_e32 v9, v5
	s_delay_alu instid0(VALU_DEP_2) | instskip(NEXT) | instid1(VALU_DEP_2)
	v_dual_mov_b32 v0, v7 :: v_dual_mov_b32 v1, v8
	v_dual_mov_b32 v2, v9 :: v_dual_mov_b32 v3, v10
; %bb.16:                               ;   in Loop: Header=BB149_8 Depth=1
	s_and_not1_saveexec_b32 s12, s12
; %bb.17:                               ;   in Loop: Header=BB149_8 Depth=1
	s_delay_alu instid0(VALU_DEP_1)
	v_dual_mov_b32 v0, v2 :: v_dual_mov_b32 v1, v3
	v_dual_mov_b32 v2, v4 :: v_dual_mov_b32 v3, v5
; %bb.18:                               ;   in Loop: Header=BB149_8 Depth=1
	s_or_b32 exec_lo, exec_lo, s12
	s_and_not1_saveexec_b32 s11, s11
	s_cbranch_execz .LBB149_10
.LBB149_19:                             ;   in Loop: Header=BB149_8 Depth=1
	s_mov_b32 s12, exec_lo
	v_cmpx_eq_u32_e32 1, v34
; %bb.20:                               ;   in Loop: Header=BB149_8 Depth=1
	v_dual_mov_b32 v0, v1 :: v_dual_mov_b32 v1, v2
	v_dual_mov_b32 v2, v3 :: v_dual_mov_b32 v3, v4
; %bb.21:                               ;   in Loop: Header=BB149_8 Depth=1
	s_or_b32 exec_lo, exec_lo, s12
	s_delay_alu instid0(SALU_CYCLE_1) | instskip(NEXT) | instid1(SALU_CYCLE_1)
	s_or_b32 exec_lo, exec_lo, s11
	s_mov_b32 s11, exec_lo
	v_cmpx_gt_i64_e64 s[4:5], v[13:14]
	s_cbranch_execnz .LBB149_11
	s_branch .LBB149_12
.LBB149_22:
	s_endpgm
.LBB149_23:
                                        ; implicit-def: $sgpr2_sgpr3
	s_branch .LBB149_4
	.section	.rodata,"a",@progbits
	.p2align	6, 0x0
	.amdhsa_kernel _ZN2at6native12_GLOBAL__N_143distribution_elementwise_grid_stride_kernelIfLi4EZNS0_9templates4cuda21uniform_and_transformIN3c104HalfEfPNS_17CUDAGeneratorImplEZZZNS4_16bernoulli_kernelIS9_EEvRNS_18TensorIteratorBaseEdT_ENKUlvE_clEvENKUlvE6_clEvEUlfE_EEvSC_T1_T2_EUlP25hiprandStatePhilox4_32_10E_ZNS1_27distribution_nullary_kernelIS7_f15HIP_vector_typeIdLj2EES9_SL_SG_EEvSC_SI_RKT3_T4_EUlifE_EEvlNS_15PhiloxCudaStateESH_SI_
		.amdhsa_group_segment_fixed_size 0
		.amdhsa_private_segment_fixed_size 0
		.amdhsa_kernarg_size 328
		.amdhsa_user_sgpr_count 15
		.amdhsa_user_sgpr_dispatch_ptr 0
		.amdhsa_user_sgpr_queue_ptr 0
		.amdhsa_user_sgpr_kernarg_segment_ptr 1
		.amdhsa_user_sgpr_dispatch_id 0
		.amdhsa_user_sgpr_private_segment_size 0
		.amdhsa_wavefront_size32 1
		.amdhsa_uses_dynamic_stack 0
		.amdhsa_enable_private_segment 0
		.amdhsa_system_sgpr_workgroup_id_x 1
		.amdhsa_system_sgpr_workgroup_id_y 0
		.amdhsa_system_sgpr_workgroup_id_z 0
		.amdhsa_system_sgpr_workgroup_info 0
		.amdhsa_system_vgpr_workitem_id 0
		.amdhsa_next_free_vgpr 43
		.amdhsa_next_free_sgpr 23
		.amdhsa_reserve_vcc 1
		.amdhsa_float_round_mode_32 0
		.amdhsa_float_round_mode_16_64 0
		.amdhsa_float_denorm_mode_32 3
		.amdhsa_float_denorm_mode_16_64 3
		.amdhsa_dx10_clamp 1
		.amdhsa_ieee_mode 1
		.amdhsa_fp16_overflow 0
		.amdhsa_workgroup_processor_mode 1
		.amdhsa_memory_ordered 1
		.amdhsa_forward_progress 0
		.amdhsa_shared_vgpr_count 0
		.amdhsa_exception_fp_ieee_invalid_op 0
		.amdhsa_exception_fp_denorm_src 0
		.amdhsa_exception_fp_ieee_div_zero 0
		.amdhsa_exception_fp_ieee_overflow 0
		.amdhsa_exception_fp_ieee_underflow 0
		.amdhsa_exception_fp_ieee_inexact 0
		.amdhsa_exception_int_div_zero 0
	.end_amdhsa_kernel
	.section	.text._ZN2at6native12_GLOBAL__N_143distribution_elementwise_grid_stride_kernelIfLi4EZNS0_9templates4cuda21uniform_and_transformIN3c104HalfEfPNS_17CUDAGeneratorImplEZZZNS4_16bernoulli_kernelIS9_EEvRNS_18TensorIteratorBaseEdT_ENKUlvE_clEvENKUlvE6_clEvEUlfE_EEvSC_T1_T2_EUlP25hiprandStatePhilox4_32_10E_ZNS1_27distribution_nullary_kernelIS7_f15HIP_vector_typeIdLj2EES9_SL_SG_EEvSC_SI_RKT3_T4_EUlifE_EEvlNS_15PhiloxCudaStateESH_SI_,"axG",@progbits,_ZN2at6native12_GLOBAL__N_143distribution_elementwise_grid_stride_kernelIfLi4EZNS0_9templates4cuda21uniform_and_transformIN3c104HalfEfPNS_17CUDAGeneratorImplEZZZNS4_16bernoulli_kernelIS9_EEvRNS_18TensorIteratorBaseEdT_ENKUlvE_clEvENKUlvE6_clEvEUlfE_EEvSC_T1_T2_EUlP25hiprandStatePhilox4_32_10E_ZNS1_27distribution_nullary_kernelIS7_f15HIP_vector_typeIdLj2EES9_SL_SG_EEvSC_SI_RKT3_T4_EUlifE_EEvlNS_15PhiloxCudaStateESH_SI_,comdat
.Lfunc_end149:
	.size	_ZN2at6native12_GLOBAL__N_143distribution_elementwise_grid_stride_kernelIfLi4EZNS0_9templates4cuda21uniform_and_transformIN3c104HalfEfPNS_17CUDAGeneratorImplEZZZNS4_16bernoulli_kernelIS9_EEvRNS_18TensorIteratorBaseEdT_ENKUlvE_clEvENKUlvE6_clEvEUlfE_EEvSC_T1_T2_EUlP25hiprandStatePhilox4_32_10E_ZNS1_27distribution_nullary_kernelIS7_f15HIP_vector_typeIdLj2EES9_SL_SG_EEvSC_SI_RKT3_T4_EUlifE_EEvlNS_15PhiloxCudaStateESH_SI_, .Lfunc_end149-_ZN2at6native12_GLOBAL__N_143distribution_elementwise_grid_stride_kernelIfLi4EZNS0_9templates4cuda21uniform_and_transformIN3c104HalfEfPNS_17CUDAGeneratorImplEZZZNS4_16bernoulli_kernelIS9_EEvRNS_18TensorIteratorBaseEdT_ENKUlvE_clEvENKUlvE6_clEvEUlfE_EEvSC_T1_T2_EUlP25hiprandStatePhilox4_32_10E_ZNS1_27distribution_nullary_kernelIS7_f15HIP_vector_typeIdLj2EES9_SL_SG_EEvSC_SI_RKT3_T4_EUlifE_EEvlNS_15PhiloxCudaStateESH_SI_
                                        ; -- End function
	.section	.AMDGPU.csdata,"",@progbits
; Kernel info:
; codeLenInByte = 2768
; NumSgprs: 25
; NumVgprs: 43
; ScratchSize: 0
; MemoryBound: 0
; FloatMode: 240
; IeeeMode: 1
; LDSByteSize: 0 bytes/workgroup (compile time only)
; SGPRBlocks: 3
; VGPRBlocks: 5
; NumSGPRsForWavesPerEU: 25
; NumVGPRsForWavesPerEU: 43
; Occupancy: 16
; WaveLimiterHint : 0
; COMPUTE_PGM_RSRC2:SCRATCH_EN: 0
; COMPUTE_PGM_RSRC2:USER_SGPR: 15
; COMPUTE_PGM_RSRC2:TRAP_HANDLER: 0
; COMPUTE_PGM_RSRC2:TGID_X_EN: 1
; COMPUTE_PGM_RSRC2:TGID_Y_EN: 0
; COMPUTE_PGM_RSRC2:TGID_Z_EN: 0
; COMPUTE_PGM_RSRC2:TIDIG_COMP_CNT: 0
	.section	.text._ZN2at6native12_GLOBAL__N_143distribution_elementwise_grid_stride_kernelIfLi4EZNS0_9templates4cuda21uniform_and_transformIN3c104HalfEfPNS_17CUDAGeneratorImplEZZZNS4_16bernoulli_kernelIS9_EEvRNS_18TensorIteratorBaseEdT_ENKUlvE_clEvENKUlvE6_clEvEUlfE_EEvSC_T1_T2_EUlP25hiprandStatePhilox4_32_10E_ZNS1_27distribution_nullary_kernelIS7_f15HIP_vector_typeIdLj2EES9_SL_SG_EEvSC_SI_RKT3_T4_EUlifE0_EEvlNS_15PhiloxCudaStateESH_SI_,"axG",@progbits,_ZN2at6native12_GLOBAL__N_143distribution_elementwise_grid_stride_kernelIfLi4EZNS0_9templates4cuda21uniform_and_transformIN3c104HalfEfPNS_17CUDAGeneratorImplEZZZNS4_16bernoulli_kernelIS9_EEvRNS_18TensorIteratorBaseEdT_ENKUlvE_clEvENKUlvE6_clEvEUlfE_EEvSC_T1_T2_EUlP25hiprandStatePhilox4_32_10E_ZNS1_27distribution_nullary_kernelIS7_f15HIP_vector_typeIdLj2EES9_SL_SG_EEvSC_SI_RKT3_T4_EUlifE0_EEvlNS_15PhiloxCudaStateESH_SI_,comdat
	.globl	_ZN2at6native12_GLOBAL__N_143distribution_elementwise_grid_stride_kernelIfLi4EZNS0_9templates4cuda21uniform_and_transformIN3c104HalfEfPNS_17CUDAGeneratorImplEZZZNS4_16bernoulli_kernelIS9_EEvRNS_18TensorIteratorBaseEdT_ENKUlvE_clEvENKUlvE6_clEvEUlfE_EEvSC_T1_T2_EUlP25hiprandStatePhilox4_32_10E_ZNS1_27distribution_nullary_kernelIS7_f15HIP_vector_typeIdLj2EES9_SL_SG_EEvSC_SI_RKT3_T4_EUlifE0_EEvlNS_15PhiloxCudaStateESH_SI_ ; -- Begin function _ZN2at6native12_GLOBAL__N_143distribution_elementwise_grid_stride_kernelIfLi4EZNS0_9templates4cuda21uniform_and_transformIN3c104HalfEfPNS_17CUDAGeneratorImplEZZZNS4_16bernoulli_kernelIS9_EEvRNS_18TensorIteratorBaseEdT_ENKUlvE_clEvENKUlvE6_clEvEUlfE_EEvSC_T1_T2_EUlP25hiprandStatePhilox4_32_10E_ZNS1_27distribution_nullary_kernelIS7_f15HIP_vector_typeIdLj2EES9_SL_SG_EEvSC_SI_RKT3_T4_EUlifE0_EEvlNS_15PhiloxCudaStateESH_SI_
	.p2align	8
	.type	_ZN2at6native12_GLOBAL__N_143distribution_elementwise_grid_stride_kernelIfLi4EZNS0_9templates4cuda21uniform_and_transformIN3c104HalfEfPNS_17CUDAGeneratorImplEZZZNS4_16bernoulli_kernelIS9_EEvRNS_18TensorIteratorBaseEdT_ENKUlvE_clEvENKUlvE6_clEvEUlfE_EEvSC_T1_T2_EUlP25hiprandStatePhilox4_32_10E_ZNS1_27distribution_nullary_kernelIS7_f15HIP_vector_typeIdLj2EES9_SL_SG_EEvSC_SI_RKT3_T4_EUlifE0_EEvlNS_15PhiloxCudaStateESH_SI_,@function
_ZN2at6native12_GLOBAL__N_143distribution_elementwise_grid_stride_kernelIfLi4EZNS0_9templates4cuda21uniform_and_transformIN3c104HalfEfPNS_17CUDAGeneratorImplEZZZNS4_16bernoulli_kernelIS9_EEvRNS_18TensorIteratorBaseEdT_ENKUlvE_clEvENKUlvE6_clEvEUlfE_EEvSC_T1_T2_EUlP25hiprandStatePhilox4_32_10E_ZNS1_27distribution_nullary_kernelIS7_f15HIP_vector_typeIdLj2EES9_SL_SG_EEvSC_SI_RKT3_T4_EUlifE0_EEvlNS_15PhiloxCudaStateESH_SI_: ; @_ZN2at6native12_GLOBAL__N_143distribution_elementwise_grid_stride_kernelIfLi4EZNS0_9templates4cuda21uniform_and_transformIN3c104HalfEfPNS_17CUDAGeneratorImplEZZZNS4_16bernoulli_kernelIS9_EEvRNS_18TensorIteratorBaseEdT_ENKUlvE_clEvENKUlvE6_clEvEUlfE_EEvSC_T1_T2_EUlP25hiprandStatePhilox4_32_10E_ZNS1_27distribution_nullary_kernelIS7_f15HIP_vector_typeIdLj2EES9_SL_SG_EEvSC_SI_RKT3_T4_EUlifE0_EEvlNS_15PhiloxCudaStateESH_SI_
; %bb.0:
	s_clause 0x2
	s_load_b64 s[4:5], s[0:1], 0x10
	s_load_b128 s[16:19], s[0:1], 0x0
	s_load_b32 s2, s[0:1], 0x20
	s_waitcnt lgkmcnt(0)
	v_dual_mov_b32 v2, s4 :: v_dual_mov_b32 v3, s5
	v_dual_mov_b32 v11, s18 :: v_dual_mov_b32 v12, s19
	s_bitcmp0_b32 s2, 0
	s_mov_b32 s2, 0
	s_cbranch_scc1 .LBB150_2
; %bb.1:
	v_dual_mov_b32 v1, s4 :: v_dual_mov_b32 v2, s5
	v_dual_mov_b32 v4, s18 :: v_dual_mov_b32 v5, s19
	s_load_b64 s[4:5], s[0:1], 0x18
	flat_load_b64 v[2:3], v[1:2]
	flat_load_b64 v[11:12], v[4:5]
	s_waitcnt vmcnt(1) lgkmcnt(0)
	v_add_co_u32 v2, vcc_lo, v2, s4
	v_add_co_ci_u32_e32 v3, vcc_lo, s5, v3, vcc_lo
.LBB150_2:
	s_clause 0x1
	s_load_b32 s3, s[0:1], 0x154
	s_load_b32 s4, s[0:1], 0x148
	s_waitcnt lgkmcnt(0)
	s_and_b32 s5, s3, 0xffff
	s_add_u32 s6, s16, -1
	s_mul_i32 s24, s4, s5
	s_addc_u32 s3, s17, -1
	s_lshl_b32 s25, s24, 2
	s_cmp_lg_u64 s[2:3], 0
	s_cbranch_scc0 .LBB150_49
; %bb.3:
	v_cvt_f32_ubyte0_e32 v1, 0
	v_cvt_f32_u32_e32 v4, s25
	s_sub_u32 s8, 0, s25
	s_subb_u32 s9, 0, 0
	s_delay_alu instid0(VALU_DEP_1) | instskip(NEXT) | instid1(VALU_DEP_1)
	v_fmamk_f32 v1, v1, 0x4f800000, v4
	v_rcp_f32_e32 v1, v1
	s_waitcnt_depctr 0xfff
	v_mul_f32_e32 v1, 0x5f7ffffc, v1
	s_delay_alu instid0(VALU_DEP_1) | instskip(NEXT) | instid1(VALU_DEP_1)
	v_mul_f32_e32 v4, 0x2f800000, v1
	v_trunc_f32_e32 v4, v4
	s_delay_alu instid0(VALU_DEP_1) | instskip(SKIP_1) | instid1(VALU_DEP_2)
	v_fmamk_f32 v1, v4, 0xcf800000, v1
	v_cvt_u32_f32_e32 v4, v4
	v_cvt_u32_f32_e32 v1, v1
	s_delay_alu instid0(VALU_DEP_2) | instskip(NEXT) | instid1(VALU_DEP_2)
	v_readfirstlane_b32 s2, v4
	v_readfirstlane_b32 s7, v1
	s_delay_alu instid0(VALU_DEP_2) | instskip(NEXT) | instid1(VALU_DEP_1)
	s_mul_i32 s10, s8, s2
	s_mul_hi_u32 s12, s8, s7
	s_mul_i32 s11, s9, s7
	s_add_i32 s10, s12, s10
	s_mul_i32 s13, s8, s7
	s_add_i32 s10, s10, s11
	s_mul_hi_u32 s12, s7, s13
	s_mul_hi_u32 s14, s2, s13
	s_mul_i32 s11, s2, s13
	s_mul_hi_u32 s13, s7, s10
	s_mul_i32 s7, s7, s10
	s_mul_hi_u32 s18, s2, s10
	s_add_u32 s7, s12, s7
	s_addc_u32 s12, 0, s13
	s_add_u32 s7, s7, s11
	s_mul_i32 s10, s2, s10
	s_addc_u32 s7, s12, s14
	s_addc_u32 s11, s18, 0
	s_add_u32 s7, s7, s10
	s_addc_u32 s10, 0, s11
	v_add_co_u32 v1, s7, v1, s7
	s_delay_alu instid0(VALU_DEP_1) | instskip(SKIP_1) | instid1(VALU_DEP_1)
	s_cmp_lg_u32 s7, 0
	s_addc_u32 s2, s2, s10
	v_readfirstlane_b32 s7, v1
	s_mul_i32 s10, s8, s2
	s_delay_alu instid0(VALU_DEP_1)
	s_mul_hi_u32 s11, s8, s7
	s_mul_i32 s9, s9, s7
	s_add_i32 s10, s11, s10
	s_mul_i32 s8, s8, s7
	s_add_i32 s10, s10, s9
	s_mul_hi_u32 s11, s2, s8
	s_mul_i32 s12, s2, s8
	s_mul_hi_u32 s8, s7, s8
	s_mul_hi_u32 s13, s7, s10
	s_mul_i32 s7, s7, s10
	s_mul_hi_u32 s9, s2, s10
	s_add_u32 s7, s8, s7
	s_addc_u32 s8, 0, s13
	s_add_u32 s7, s7, s12
	s_mul_i32 s10, s2, s10
	s_addc_u32 s7, s8, s11
	s_addc_u32 s8, s9, 0
	s_add_u32 s7, s7, s10
	s_addc_u32 s8, 0, s8
	v_add_co_u32 v1, s7, v1, s7
	s_delay_alu instid0(VALU_DEP_1) | instskip(SKIP_2) | instid1(VALU_DEP_1)
	s_cmp_lg_u32 s7, 0
	s_addc_u32 s7, s2, s8
	s_ashr_i32 s8, s3, 31
	v_readfirstlane_b32 s10, v1
	s_add_u32 s2, s6, s8
	s_mov_b32 s9, s8
	s_addc_u32 s3, s3, s8
	s_delay_alu instid0(SALU_CYCLE_1) | instskip(NEXT) | instid1(SALU_CYCLE_1)
	s_xor_b64 s[2:3], s[2:3], s[8:9]
	s_mul_i32 s12, s2, s7
	s_mul_hi_u32 s13, s2, s10
	s_mul_hi_u32 s11, s2, s7
	;; [unrolled: 1-line block ×3, first 2 shown]
	s_mul_i32 s10, s3, s10
	s_add_u32 s12, s13, s12
	s_addc_u32 s11, 0, s11
	s_mul_hi_u32 s14, s3, s7
	s_add_u32 s10, s12, s10
	s_mul_i32 s7, s3, s7
	s_addc_u32 s10, s11, s18
	s_addc_u32 s11, s14, 0
	s_add_u32 s7, s10, s7
	s_addc_u32 s10, 0, s11
	s_mul_i32 s12, s25, s7
	s_add_u32 s11, s7, 1
	v_sub_co_u32 v1, s2, s2, s12
	s_mul_hi_u32 s12, s25, s7
	s_addc_u32 s13, s10, 0
	s_mul_i32 s14, s25, s10
	s_delay_alu instid0(VALU_DEP_1)
	v_sub_co_u32 v4, s18, v1, s25
	s_add_u32 s19, s7, 2
	s_addc_u32 s20, s10, 0
	s_add_i32 s12, s12, s14
	s_cmp_lg_u32 s2, 0
	v_readfirstlane_b32 s2, v4
	s_subb_u32 s3, s3, s12
	s_cmp_lg_u32 s18, 0
	s_subb_u32 s12, s3, 0
	s_delay_alu instid0(VALU_DEP_1) | instskip(SKIP_4) | instid1(SALU_CYCLE_1)
	s_cmp_ge_u32 s2, s25
	s_cselect_b32 s2, -1, 0
	s_cmp_eq_u32 s12, 0
	v_readfirstlane_b32 s12, v1
	s_cselect_b32 s2, s2, -1
	s_cmp_lg_u32 s2, 0
	s_cselect_b32 s2, s19, s11
	s_cselect_b32 s11, s20, s13
	s_cmp_ge_u32 s12, s25
	s_cselect_b32 s12, -1, 0
	s_cmp_eq_u32 s3, 0
	s_cselect_b32 s3, s12, -1
	s_delay_alu instid0(SALU_CYCLE_1) | instskip(SKIP_2) | instid1(SALU_CYCLE_1)
	s_cmp_lg_u32 s3, 0
	s_cselect_b32 s3, s11, s10
	s_cselect_b32 s2, s2, s7
	s_xor_b64 s[2:3], s[2:3], s[8:9]
	s_delay_alu instid0(SALU_CYCLE_1)
	s_sub_u32 s2, s2, s8
	s_subb_u32 s3, s3, s8
	s_cbranch_execnz .LBB150_5
.LBB150_4:
	v_cvt_f32_u32_e32 v1, s25
	s_sub_i32 s3, 0, s25
	s_delay_alu instid0(VALU_DEP_1) | instskip(SKIP_2) | instid1(VALU_DEP_1)
	v_rcp_iflag_f32_e32 v1, v1
	s_waitcnt_depctr 0xfff
	v_mul_f32_e32 v1, 0x4f7ffffe, v1
	v_cvt_u32_f32_e32 v1, v1
	s_delay_alu instid0(VALU_DEP_1) | instskip(NEXT) | instid1(VALU_DEP_1)
	v_readfirstlane_b32 s2, v1
	s_mul_i32 s3, s3, s2
	s_delay_alu instid0(SALU_CYCLE_1) | instskip(NEXT) | instid1(SALU_CYCLE_1)
	s_mul_hi_u32 s3, s2, s3
	s_add_i32 s2, s2, s3
	s_delay_alu instid0(SALU_CYCLE_1) | instskip(NEXT) | instid1(SALU_CYCLE_1)
	s_mul_hi_u32 s2, s6, s2
	s_mul_i32 s3, s2, s25
	s_delay_alu instid0(SALU_CYCLE_1)
	s_sub_i32 s3, s6, s3
	s_add_i32 s6, s2, 1
	s_sub_i32 s7, s3, s25
	s_cmp_ge_u32 s3, s25
	s_cselect_b32 s2, s6, s2
	s_cselect_b32 s3, s7, s3
	s_add_i32 s6, s2, 1
	s_cmp_ge_u32 s3, s25
	s_mov_b32 s3, 0
	s_cselect_b32 s2, s6, s2
.LBB150_5:
	v_mov_b32_e32 v1, 0
	s_add_u32 s2, s2, 1
	s_addc_u32 s3, s3, 0
	s_mul_hi_u32 s6, s24, s2
	s_mul_i32 s3, s24, s3
	v_mad_u64_u32 v[13:14], null, s5, s15, v[0:1]
	s_mul_hi_u32 s4, s4, s5
	s_add_i32 s3, s6, s3
	s_mul_i32 s4, s4, s2
	s_mul_i32 s2, s24, s2
	s_add_i32 s3, s3, s4
	s_mov_b32 s4, exec_lo
	s_lshl_b64 s[2:3], s[2:3], 2
	s_delay_alu instid0(SALU_CYCLE_1)
	v_cmpx_gt_i64_e64 s[2:3], v[13:14]
	s_cbranch_execz .LBB150_48
; %bb.6:
	v_alignbit_b32 v17, v3, v2, 2
	v_mad_u64_u32 v[4:5], null, 0xcd9e8d57, v13, 0
	v_lshrrev_b32_e32 v18, 2, v3
	s_waitcnt vmcnt(0)
	v_dual_mov_b32 v9, v12 :: v_dual_add_nc_u32 v28, 0x8ff34781, v11
	v_mad_u64_u32 v[0:1], null, 0xd2511f53, v17, 0
	v_add_co_u32 v20, null, 0x9e3779b9, v11
	v_xor3_b32 v3, v11, v5, v18
	s_delay_alu instid0(VALU_DEP_4) | instskip(SKIP_2) | instid1(VALU_DEP_4)
	v_add_co_u32 v19, null, 0xbb67ae85, v9
	v_add_co_u32 v21, null, 0x3c6ef372, v11
	v_xor_b32_e32 v1, v1, v12
	v_mad_u64_u32 v[5:6], null, 0xd2511f53, v3, 0
	v_add_co_u32 v22, null, 0x76cf5d0a, v9
	s_delay_alu instid0(VALU_DEP_3) | instskip(SKIP_2) | instid1(VALU_DEP_3)
	v_xor_b32_e32 v1, v1, v14
	v_add_co_u32 v23, null, 0x32370b8f, v9
	v_add_co_u32 v24, null, 0xdaa66d2b, v11
	v_mad_u64_u32 v[7:8], null, 0xcd9e8d57, v1, 0
	v_xor3_b32 v3, v19, v6, v0
	v_add_co_u32 v25, null, 0x78dde6e4, v11
	v_add_co_u32 v26, null, 0xed9eba14, v9
	s_delay_alu instid0(VALU_DEP_3) | instskip(SKIP_3) | instid1(VALU_DEP_3)
	v_mad_u64_u32 v[0:1], null, 0xcd9e8d57, v3, 0
	v_xor3_b32 v6, v20, v8, v4
	v_dual_mov_b32 v40, v14 :: v_dual_and_b32 v27, 3, v2
	v_add_co_u32 v29, null, 0xa9066899, v9
	v_mad_u64_u32 v[3:4], null, 0xd2511f53, v6, 0
	v_xor3_b32 v1, v21, v1, v7
	v_add_co_u32 v30, null, 0x1715609d, v11
	s_clause 0x1
	s_load_b64 s[20:21], s[0:1], 0xf4
	s_load_b128 s[12:15], s[0:1], 0x138
	v_add_co_u32 v32, null, 0xb54cda56, v11
	s_delay_alu instid0(VALU_DEP_4) | instskip(SKIP_2) | instid1(VALU_DEP_3)
	v_xor3_b32 v8, v22, v4, v5
	v_mad_u64_u32 v[4:5], null, 0xd2511f53, v1, 0
	v_add_co_u32 v33, null, 0x646e171e, v9
	v_mad_u64_u32 v[6:7], null, 0xcd9e8d57, v8, 0
	s_load_b256 s[4:11], s[0:1], 0x30
	v_add_co_u32 v31, null, 0x5384540f, v11
	s_delay_alu instid0(VALU_DEP_4) | instskip(SKIP_1) | instid1(VALU_DEP_4)
	v_xor3_b32 v3, v23, v5, v3
	v_add_co_u32 v35, null, 0x1fd5c5a3, v9
	v_xor3_b32 v5, v24, v7, v0
	v_add_co_u32 v34, null, 0xf1bbcdc8, v11
	s_delay_alu instid0(VALU_DEP_4) | instskip(NEXT) | instid1(VALU_DEP_3)
	v_mad_u64_u32 v[0:1], null, 0xcd9e8d57, v3, 0
	v_mad_u64_u32 v[7:8], null, 0xd2511f53, v5, 0
	s_waitcnt lgkmcnt(0)
	v_cvt_f32_f64_e32 v36, s[14:15]
	v_add_co_u32 v37, null, 0xdb3d7428, v9
	s_add_u32 s18, s0, 48
	s_delay_alu instid0(VALU_DEP_4) | instskip(SKIP_1) | instid1(VALU_DEP_4)
	v_xor3_b32 v3, v25, v1, v6
	s_addc_u32 s19, s1, 0
	v_xor3_b32 v5, v26, v8, v4
	s_add_i32 s22, s4, -1
	v_dual_mov_b32 v39, v13 :: v_dual_add_nc_u32 v38, 0x96a522ad, v12
	v_mad_u64_u32 v[1:2], null, 0xd2511f53, v3, 0
	s_delay_alu instid0(VALU_DEP_3) | instskip(SKIP_4) | instid1(VALU_DEP_2)
	v_mad_u64_u32 v[3:4], null, 0xcd9e8d57, v5, 0
	s_cmp_gt_u32 s22, 1
	s_mov_b32 s26, 0
	s_cselect_b32 s11, -1, 0
	s_cmp_lg_u32 s4, 0
	v_xor3_b32 v2, v29, v2, v7
	s_cselect_b32 s27, -1, 0
	s_delay_alu instid0(VALU_DEP_2) | instskip(SKIP_3) | instid1(VALU_DEP_2)
	v_xor3_b32 v0, v30, v4, v0
	s_add_u32 s0, s0, 0xf4
	s_addc_u32 s1, s1, 0
	v_mad_u64_u32 v[4:5], null, 0xcd9e8d57, v2, 0
	v_mad_u64_u32 v[6:7], null, 0xd2511f53, v0, 0
	s_min_u32 s14, s22, 15
	s_cmp_gt_u32 s4, 1
	s_cselect_b32 s4, -1, 0
	s_delay_alu instid0(VALU_DEP_2) | instskip(SKIP_1) | instid1(VALU_DEP_2)
	v_xor3_b32 v2, v32, v5, v3
	s_add_i32 s14, s14, 1
	v_xor3_b32 v5, v33, v7, v1
	s_and_b32 s28, s14, 3
	s_cmp_lg_u32 s22, 2
	v_mad_u64_u32 v[0:1], null, 0xd2511f53, v2, 0
	s_delay_alu instid0(VALU_DEP_2) | instskip(SKIP_3) | instid1(VALU_DEP_2)
	v_mad_u64_u32 v[2:3], null, 0xcd9e8d57, v5, 0
	s_cselect_b32 s29, -1, 0
	s_and_b32 s30, s14, 28
	s_cmp_lg_u32 s28, 0
	v_xor3_b32 v1, v35, v1, v6
	s_cselect_b32 s31, -1, 0
	s_delay_alu instid0(VALU_DEP_2) | instskip(NEXT) | instid1(VALU_DEP_2)
	v_xor3_b32 v3, v31, v3, v4
	v_mad_u64_u32 v[4:5], null, 0xcd9e8d57, v1, 0
	s_delay_alu instid0(VALU_DEP_2) | instskip(NEXT) | instid1(VALU_DEP_2)
	v_mad_u64_u32 v[6:7], null, 0xd2511f53, v3, 0
	v_xor3_b32 v1, v34, v5, v2
	s_delay_alu instid0(VALU_DEP_2) | instskip(NEXT) | instid1(VALU_DEP_2)
	v_xor3_b32 v0, v37, v7, v0
	v_mad_u64_u32 v[7:8], null, 0xd2511f53, v1, 0
	s_delay_alu instid0(VALU_DEP_2) | instskip(NEXT) | instid1(VALU_DEP_2)
	v_mad_u64_u32 v[1:2], null, 0xcd9e8d57, v0, 0
	v_mov_b32_e32 v3, v7
	s_delay_alu instid0(VALU_DEP_2) | instskip(NEXT) | instid1(VALU_DEP_4)
	v_xor3_b32 v0, v2, v4, v28
	v_xor3_b32 v2, v8, v6, v38
	s_branch .LBB150_9
.LBB150_7:                              ;   in Loop: Header=BB150_9 Depth=1
	v_lshrrev_b32_e32 v0, 11, v3
	v_cvt_f64_u32_e32 v[2:3], v2
	s_delay_alu instid0(VALU_DEP_2) | instskip(NEXT) | instid1(VALU_DEP_1)
	v_cvt_f64_u32_e32 v[7:8], v0
	v_ldexp_f64 v[7:8], v[7:8], 32
	s_delay_alu instid0(VALU_DEP_1) | instskip(NEXT) | instid1(VALU_DEP_1)
	v_add_f64 v[2:3], v[7:8], v[2:3]
	v_fma_f64 v[2:3], 0x3ca00000, v[2:3], 0x3ca00000
	s_delay_alu instid0(VALU_DEP_1) | instskip(NEXT) | instid1(VALU_DEP_1)
	v_cvt_f32_f64_e32 v0, v[2:3]
	v_cmp_gt_f32_e32 vcc_lo, v36, v0
	v_cndmask_b32_e64 v0, 0, 0x3c00, vcc_lo
	global_store_b16 v1, v0, s[12:13]
.LBB150_8:                              ;   in Loop: Header=BB150_9 Depth=1
	s_or_b32 exec_lo, exec_lo, s33
	v_add_co_u32 v13, vcc_lo, v13, s25
	v_add_co_ci_u32_e32 v14, vcc_lo, 0, v14, vcc_lo
	v_mov_b32_e32 v7, v15
	v_dual_mov_b32 v0, v4 :: v_dual_mov_b32 v1, v5
	s_delay_alu instid0(VALU_DEP_3) | instskip(NEXT) | instid1(VALU_DEP_3)
	v_cmp_le_i64_e32 vcc_lo, s[2:3], v[13:14]
	v_dual_mov_b32 v2, v6 :: v_dual_mov_b32 v3, v7
	s_waitcnt_vscnt null, 0x0
	s_barrier
	buffer_gl0_inv
	s_or_b32 s26, vcc_lo, s26
	s_delay_alu instid0(SALU_CYCLE_1)
	s_and_not1_b32 exec_lo, exec_lo, s26
	s_cbranch_execz .LBB150_48
.LBB150_9:                              ; =>This Loop Header: Depth=1
                                        ;     Child Loop BB150_24 Depth 2
                                        ;     Child Loop BB150_29 Depth 2
	;; [unrolled: 1-line block ×4, first 2 shown]
	v_add_co_u32 v17, vcc_lo, v17, 1
	s_delay_alu instid0(VALU_DEP_1) | instskip(SKIP_2) | instid1(VALU_DEP_1)
	v_cndmask_b32_e64 v4, 0, 1, vcc_lo
	v_add_co_ci_u32_e32 v18, vcc_lo, 0, v18, vcc_lo
	s_mov_b32 s14, exec_lo
	v_cmp_eq_u32_e32 vcc_lo, 0, v18
	s_delay_alu instid0(VALU_DEP_3) | instskip(NEXT) | instid1(VALU_DEP_1)
	v_cndmask_b32_e32 v4, 0, v4, vcc_lo
	v_add_nc_u32_e32 v39, v4, v39
	s_delay_alu instid0(VALU_DEP_1) | instskip(SKIP_2) | instid1(VALU_DEP_2)
	v_cmp_eq_u32_e32 vcc_lo, 0, v39
	v_cndmask_b32_e32 v4, 0, v4, vcc_lo
	v_mad_u64_u32 v[6:7], null, 0xcd9e8d57, v39, 0
	v_add_nc_u32_e32 v40, v4, v40
	v_mad_u64_u32 v[4:5], null, 0xd2511f53, v17, 0
	s_delay_alu instid0(VALU_DEP_3) | instskip(NEXT) | instid1(VALU_DEP_2)
	v_xor3_b32 v9, v7, v11, v18
	v_xor_b32_e32 v5, v5, v12
	s_delay_alu instid0(VALU_DEP_2) | instskip(NEXT) | instid1(VALU_DEP_2)
	v_mad_u64_u32 v[7:8], null, 0xd2511f53, v9, 0
	v_xor_b32_e32 v5, v40, v5
	s_delay_alu instid0(VALU_DEP_2) | instskip(NEXT) | instid1(VALU_DEP_2)
	v_xor3_b32 v8, v19, v8, v4
	v_mad_u64_u32 v[9:10], null, 0xcd9e8d57, v5, 0
	s_delay_alu instid0(VALU_DEP_2) | instskip(NEXT) | instid1(VALU_DEP_2)
	v_mad_u64_u32 v[4:5], null, 0xcd9e8d57, v8, 0
	v_xor3_b32 v6, v20, v10, v6
	s_delay_alu instid0(VALU_DEP_2) | instskip(NEXT) | instid1(VALU_DEP_2)
	v_xor3_b32 v8, v21, v5, v9
	v_mad_u64_u32 v[15:16], null, 0xd2511f53, v6, 0
	s_delay_alu instid0(VALU_DEP_2) | instskip(NEXT) | instid1(VALU_DEP_2)
	v_mad_u64_u32 v[5:6], null, 0xd2511f53, v8, 0
	v_xor3_b32 v9, v22, v16, v7
	s_delay_alu instid0(VALU_DEP_2) | instskip(NEXT) | instid1(VALU_DEP_2)
	v_xor3_b32 v6, v23, v6, v15
	v_mad_u64_u32 v[7:8], null, 0xcd9e8d57, v9, 0
	s_delay_alu instid0(VALU_DEP_1) | instskip(NEXT) | instid1(VALU_DEP_3)
	v_xor3_b32 v4, v24, v8, v4
	v_mad_u64_u32 v[8:9], null, 0xcd9e8d57, v6, 0
	s_delay_alu instid0(VALU_DEP_2) | instskip(NEXT) | instid1(VALU_DEP_2)
	v_mad_u64_u32 v[15:16], null, 0xd2511f53, v4, 0
	v_xor3_b32 v6, v25, v9, v7
	s_delay_alu instid0(VALU_DEP_2) | instskip(NEXT) | instid1(VALU_DEP_2)
	v_xor3_b32 v9, v26, v16, v5
	v_mad_u64_u32 v[4:5], null, 0xd2511f53, v6, 0
	s_delay_alu instid0(VALU_DEP_2) | instskip(NEXT) | instid1(VALU_DEP_2)
	v_mad_u64_u32 v[6:7], null, 0xcd9e8d57, v9, 0
	v_xor3_b32 v5, v29, v5, v15
	s_delay_alu instid0(VALU_DEP_2) | instskip(NEXT) | instid1(VALU_DEP_2)
	;; [unrolled: 6-line block ×6, first 2 shown]
	v_xor3_b32 v4, v6, v7, v28
	v_mov_b32_e32 v6, v10
	v_cmpx_lt_i32_e32 1, v27
	s_xor_b32 s14, exec_lo, s14
	s_cbranch_execnz .LBB150_12
; %bb.10:                               ;   in Loop: Header=BB150_9 Depth=1
	s_and_not1_saveexec_b32 s14, s14
	s_cbranch_execnz .LBB150_17
.LBB150_11:                             ;   in Loop: Header=BB150_9 Depth=1
	s_or_b32 exec_lo, exec_lo, s14
	s_delay_alu instid0(SALU_CYCLE_1)
	s_mov_b32 s33, exec_lo
	v_cmpx_gt_i64_e64 s[16:17], v[13:14]
	s_cbranch_execnz .LBB150_20
	s_branch .LBB150_34
.LBB150_12:                             ;   in Loop: Header=BB150_9 Depth=1
	s_mov_b32 s15, exec_lo
	v_cmpx_lt_i32_e32 2, v27
	s_xor_b32 s15, exec_lo, s15
; %bb.13:                               ;   in Loop: Header=BB150_9 Depth=1
	v_dual_mov_b32 v7, v3 :: v_dual_mov_b32 v8, v4
	v_mov_b32_e32 v9, v5
	s_delay_alu instid0(VALU_DEP_2) | instskip(NEXT) | instid1(VALU_DEP_2)
	v_dual_mov_b32 v0, v7 :: v_dual_mov_b32 v1, v8
	v_dual_mov_b32 v2, v9 :: v_dual_mov_b32 v3, v10
; %bb.14:                               ;   in Loop: Header=BB150_9 Depth=1
	s_and_not1_saveexec_b32 s15, s15
; %bb.15:                               ;   in Loop: Header=BB150_9 Depth=1
	s_delay_alu instid0(VALU_DEP_1)
	v_dual_mov_b32 v0, v2 :: v_dual_mov_b32 v1, v3
	v_dual_mov_b32 v2, v4 :: v_dual_mov_b32 v3, v5
; %bb.16:                               ;   in Loop: Header=BB150_9 Depth=1
	s_or_b32 exec_lo, exec_lo, s15
	s_and_not1_saveexec_b32 s14, s14
	s_cbranch_execz .LBB150_11
.LBB150_17:                             ;   in Loop: Header=BB150_9 Depth=1
	s_mov_b32 s15, exec_lo
	v_cmpx_eq_u32_e32 1, v27
; %bb.18:                               ;   in Loop: Header=BB150_9 Depth=1
	v_dual_mov_b32 v0, v1 :: v_dual_mov_b32 v1, v2
	v_dual_mov_b32 v2, v3 :: v_dual_mov_b32 v3, v4
; %bb.19:                               ;   in Loop: Header=BB150_9 Depth=1
	s_or_b32 exec_lo, exec_lo, s15
	s_delay_alu instid0(SALU_CYCLE_1) | instskip(NEXT) | instid1(SALU_CYCLE_1)
	s_or_b32 exec_lo, exec_lo, s14
	s_mov_b32 s33, exec_lo
	v_cmpx_gt_i64_e64 s[16:17], v[13:14]
	s_cbranch_execz .LBB150_34
.LBB150_20:                             ;   in Loop: Header=BB150_9 Depth=1
	s_and_not1_b32 vcc_lo, exec_lo, s11
	s_cbranch_vccnz .LBB150_26
; %bb.21:                               ;   in Loop: Header=BB150_9 Depth=1
	v_mov_b32_e32 v7, 0
	s_and_not1_b32 vcc_lo, exec_lo, s27
	s_cbranch_vccnz .LBB150_30
; %bb.22:                               ;   in Loop: Header=BB150_9 Depth=1
	s_and_not1_b32 vcc_lo, exec_lo, s29
	s_mov_b32 s14, 0
	s_cbranch_vccnz .LBB150_27
; %bb.23:                               ;   in Loop: Header=BB150_9 Depth=1
	v_dual_mov_b32 v7, 0 :: v_dual_mov_b32 v8, v13
	s_mov_b32 s34, 0
	s_mov_b64 s[14:15], s[18:19]
	s_mov_b64 s[22:23], s[0:1]
.LBB150_24:                             ;   Parent Loop BB150_9 Depth=1
                                        ; =>  This Inner Loop Header: Depth=2
	s_clause 0x1
	s_load_b256 s[36:43], s[14:15], 0x4
	s_load_b128 s[44:47], s[14:15], 0x24
	s_load_b128 s[48:51], s[22:23], 0x0
	s_add_u32 s14, s14, 48
	s_addc_u32 s15, s15, 0
	s_add_i32 s34, s34, 4
	s_add_u32 s22, s22, 16
	s_addc_u32 s23, s23, 0
	s_cmp_lg_u32 s30, s34
	s_waitcnt lgkmcnt(0)
	v_mul_hi_u32 v9, s37, v8
	s_delay_alu instid0(VALU_DEP_1) | instskip(NEXT) | instid1(VALU_DEP_1)
	v_add_nc_u32_e32 v9, v8, v9
	v_lshrrev_b32_e32 v9, s38, v9
	s_delay_alu instid0(VALU_DEP_1) | instskip(SKIP_1) | instid1(VALU_DEP_2)
	v_mul_hi_u32 v10, s40, v9
	v_mul_lo_u32 v42, v9, s36
	v_add_nc_u32_e32 v10, v9, v10
	s_delay_alu instid0(VALU_DEP_2) | instskip(NEXT) | instid1(VALU_DEP_2)
	v_sub_nc_u32_e32 v42, v8, v42
	v_lshrrev_b32_e32 v10, s41, v10
	s_delay_alu instid0(VALU_DEP_2) | instskip(NEXT) | instid1(VALU_DEP_2)
	v_mul_lo_u32 v42, v42, s48
	v_mul_hi_u32 v16, s43, v10
	v_mul_lo_u32 v43, v10, s39
	s_delay_alu instid0(VALU_DEP_2) | instskip(NEXT) | instid1(VALU_DEP_2)
	v_add_nc_u32_e32 v16, v10, v16
	v_sub_nc_u32_e32 v9, v9, v43
	s_delay_alu instid0(VALU_DEP_2) | instskip(NEXT) | instid1(VALU_DEP_2)
	v_lshrrev_b32_e32 v16, s44, v16
	v_mul_lo_u32 v9, v9, s49
	s_delay_alu instid0(VALU_DEP_2) | instskip(NEXT) | instid1(VALU_DEP_2)
	v_mul_hi_u32 v41, s46, v16
	v_add3_u32 v7, v42, v7, v9
	s_delay_alu instid0(VALU_DEP_2) | instskip(NEXT) | instid1(VALU_DEP_1)
	v_add_nc_u32_e32 v41, v16, v41
	v_lshrrev_b32_e32 v8, s47, v41
	v_mul_lo_u32 v41, v16, s42
	s_delay_alu instid0(VALU_DEP_2) | instskip(NEXT) | instid1(VALU_DEP_2)
	v_mul_lo_u32 v44, v8, s45
	v_sub_nc_u32_e32 v10, v10, v41
	s_delay_alu instid0(VALU_DEP_2) | instskip(NEXT) | instid1(VALU_DEP_2)
	v_sub_nc_u32_e32 v16, v16, v44
	v_mul_lo_u32 v10, v10, s50
	s_delay_alu instid0(VALU_DEP_2) | instskip(NEXT) | instid1(VALU_DEP_1)
	v_mul_lo_u32 v16, v16, s51
	v_add3_u32 v7, v10, v7, v16
	s_cbranch_scc1 .LBB150_24
; %bb.25:                               ;   in Loop: Header=BB150_9 Depth=1
	s_mov_b32 s14, s30
	s_and_not1_b32 vcc_lo, exec_lo, s31
	s_cbranch_vccz .LBB150_28
	s_branch .LBB150_30
.LBB150_26:                             ;   in Loop: Header=BB150_9 Depth=1
                                        ; implicit-def: $vgpr7
	s_branch .LBB150_31
.LBB150_27:                             ;   in Loop: Header=BB150_9 Depth=1
	v_mov_b32_e32 v8, v13
	s_and_not1_b32 vcc_lo, exec_lo, s31
	s_cbranch_vccnz .LBB150_30
.LBB150_28:                             ;   in Loop: Header=BB150_9 Depth=1
	s_lshl_b32 s15, s14, 2
	s_mul_i32 s22, s14, 12
	s_add_u32 s14, s0, s15
	s_addc_u32 s15, s1, 0
	s_add_u32 s22, s18, s22
	s_addc_u32 s23, s19, 0
	s_mov_b32 s34, s28
	.p2align	6
.LBB150_29:                             ;   Parent Loop BB150_9 Depth=1
                                        ; =>  This Inner Loop Header: Depth=2
	s_clause 0x1
	s_load_b64 s[36:37], s[22:23], 0x4
	s_load_b32 s35, s[22:23], 0xc
	s_add_u32 s22, s22, 12
	s_addc_u32 s23, s23, 0
	s_waitcnt lgkmcnt(0)
	v_mul_hi_u32 v9, s37, v8
	s_load_b32 s37, s[14:15], 0x0
	s_add_u32 s14, s14, 4
	s_addc_u32 s15, s15, 0
	s_add_i32 s34, s34, -1
	s_delay_alu instid0(SALU_CYCLE_1) | instskip(NEXT) | instid1(VALU_DEP_1)
	s_cmp_lg_u32 s34, 0
	v_add_nc_u32_e32 v9, v8, v9
	s_delay_alu instid0(VALU_DEP_1) | instskip(NEXT) | instid1(VALU_DEP_1)
	v_lshrrev_b32_e32 v16, s35, v9
	v_mul_lo_u32 v9, v16, s36
	s_delay_alu instid0(VALU_DEP_1) | instskip(SKIP_1) | instid1(VALU_DEP_1)
	v_sub_nc_u32_e32 v8, v8, v9
	s_waitcnt lgkmcnt(0)
	v_mad_u64_u32 v[9:10], null, v8, s37, v[7:8]
	s_delay_alu instid0(VALU_DEP_1)
	v_dual_mov_b32 v8, v16 :: v_dual_mov_b32 v7, v9
	s_cbranch_scc1 .LBB150_29
.LBB150_30:                             ;   in Loop: Header=BB150_9 Depth=1
	s_cbranch_execnz .LBB150_33
.LBB150_31:                             ;   in Loop: Header=BB150_9 Depth=1
	v_mul_hi_u32 v7, v13, s6
	s_and_not1_b32 vcc_lo, exec_lo, s4
	s_delay_alu instid0(VALU_DEP_1) | instskip(NEXT) | instid1(VALU_DEP_1)
	v_add_nc_u32_e32 v7, v7, v13
	v_lshrrev_b32_e32 v8, s7, v7
	s_delay_alu instid0(VALU_DEP_1) | instskip(NEXT) | instid1(VALU_DEP_1)
	v_mul_lo_u32 v7, v8, s5
	v_sub_nc_u32_e32 v7, v13, v7
	s_delay_alu instid0(VALU_DEP_1)
	v_mul_lo_u32 v7, v7, s20
	s_cbranch_vccnz .LBB150_33
; %bb.32:                               ;   in Loop: Header=BB150_9 Depth=1
	v_mul_hi_u32 v9, s9, v8
	s_delay_alu instid0(VALU_DEP_1) | instskip(NEXT) | instid1(VALU_DEP_1)
	v_add_nc_u32_e32 v9, v8, v9
	v_lshrrev_b32_e32 v9, s10, v9
	s_delay_alu instid0(VALU_DEP_1) | instskip(NEXT) | instid1(VALU_DEP_1)
	v_mul_lo_u32 v9, v9, s8
	v_sub_nc_u32_e32 v10, v8, v9
	s_delay_alu instid0(VALU_DEP_1) | instskip(NEXT) | instid1(VALU_DEP_1)
	v_mad_u64_u32 v[8:9], null, v10, s21, v[7:8]
	v_mov_b32_e32 v7, v8
.LBB150_33:                             ;   in Loop: Header=BB150_9 Depth=1
	v_lshrrev_b32_e32 v1, 11, v1
	s_delay_alu instid0(VALU_DEP_1) | instskip(SKIP_1) | instid1(VALU_DEP_2)
	v_cvt_f64_u32_e32 v[8:9], v1
	v_cvt_f64_u32_e32 v[0:1], v0
	v_ldexp_f64 v[8:9], v[8:9], 32
	s_delay_alu instid0(VALU_DEP_1) | instskip(NEXT) | instid1(VALU_DEP_1)
	v_add_f64 v[0:1], v[8:9], v[0:1]
	v_fma_f64 v[0:1], 0x3ca00000, v[0:1], 0x3ca00000
	s_delay_alu instid0(VALU_DEP_1) | instskip(NEXT) | instid1(VALU_DEP_1)
	v_cvt_f32_f64_e32 v0, v[0:1]
	v_cmp_gt_f32_e32 vcc_lo, v36, v0
	v_cndmask_b32_e64 v0, 0, 0x3c00, vcc_lo
	global_store_b16 v7, v0, s[12:13]
.LBB150_34:                             ;   in Loop: Header=BB150_9 Depth=1
	s_or_b32 exec_lo, exec_lo, s33
	v_add_co_u32 v0, vcc_lo, v13, s24
	v_add_co_ci_u32_e32 v1, vcc_lo, 0, v14, vcc_lo
	s_mov_b32 s33, exec_lo
	s_delay_alu instid0(VALU_DEP_1)
	v_cmpx_gt_i64_e64 s[16:17], v[0:1]
	s_cbranch_execz .LBB150_8
; %bb.35:                               ;   in Loop: Header=BB150_9 Depth=1
	s_and_not1_b32 vcc_lo, exec_lo, s11
	s_cbranch_vccnz .LBB150_41
; %bb.36:                               ;   in Loop: Header=BB150_9 Depth=1
	v_mov_b32_e32 v1, 0
	s_and_not1_b32 vcc_lo, exec_lo, s27
	s_cbranch_vccnz .LBB150_45
; %bb.37:                               ;   in Loop: Header=BB150_9 Depth=1
	s_and_not1_b32 vcc_lo, exec_lo, s29
	s_mov_b32 s14, 0
	s_cbranch_vccnz .LBB150_42
; %bb.38:                               ;   in Loop: Header=BB150_9 Depth=1
	v_mov_b32_e32 v1, 0
	v_mov_b32_e32 v7, v0
	s_mov_b32 s34, 0
	s_mov_b64 s[14:15], s[18:19]
	s_mov_b64 s[22:23], s[0:1]
.LBB150_39:                             ;   Parent Loop BB150_9 Depth=1
                                        ; =>  This Inner Loop Header: Depth=2
	s_clause 0x1
	s_load_b256 s[36:43], s[14:15], 0x4
	s_load_b128 s[44:47], s[14:15], 0x24
	s_load_b128 s[48:51], s[22:23], 0x0
	s_add_u32 s14, s14, 48
	s_addc_u32 s15, s15, 0
	s_add_i32 s34, s34, 4
	s_add_u32 s22, s22, 16
	s_addc_u32 s23, s23, 0
	s_cmp_eq_u32 s30, s34
	s_waitcnt lgkmcnt(0)
	v_mul_hi_u32 v8, s37, v7
	s_delay_alu instid0(VALU_DEP_1) | instskip(NEXT) | instid1(VALU_DEP_1)
	v_add_nc_u32_e32 v8, v7, v8
	v_lshrrev_b32_e32 v8, s38, v8
	s_delay_alu instid0(VALU_DEP_1) | instskip(SKIP_1) | instid1(VALU_DEP_2)
	v_mul_hi_u32 v9, s40, v8
	v_mul_lo_u32 v41, v8, s36
	v_add_nc_u32_e32 v9, v8, v9
	s_delay_alu instid0(VALU_DEP_2) | instskip(NEXT) | instid1(VALU_DEP_2)
	v_sub_nc_u32_e32 v41, v7, v41
	v_lshrrev_b32_e32 v9, s41, v9
	s_delay_alu instid0(VALU_DEP_2) | instskip(NEXT) | instid1(VALU_DEP_2)
	v_mul_lo_u32 v41, v41, s48
	v_mul_hi_u32 v10, s43, v9
	v_mul_lo_u32 v42, v9, s39
	s_delay_alu instid0(VALU_DEP_2) | instskip(NEXT) | instid1(VALU_DEP_2)
	v_add_nc_u32_e32 v10, v9, v10
	v_sub_nc_u32_e32 v8, v8, v42
	s_delay_alu instid0(VALU_DEP_2) | instskip(NEXT) | instid1(VALU_DEP_2)
	v_lshrrev_b32_e32 v10, s44, v10
	v_mul_lo_u32 v8, v8, s49
	s_delay_alu instid0(VALU_DEP_2) | instskip(NEXT) | instid1(VALU_DEP_2)
	v_mul_hi_u32 v16, s46, v10
	v_add3_u32 v1, v41, v1, v8
	s_delay_alu instid0(VALU_DEP_2) | instskip(NEXT) | instid1(VALU_DEP_1)
	v_add_nc_u32_e32 v16, v10, v16
	v_lshrrev_b32_e32 v7, s47, v16
	v_mul_lo_u32 v16, v10, s42
	s_delay_alu instid0(VALU_DEP_2) | instskip(NEXT) | instid1(VALU_DEP_2)
	v_mul_lo_u32 v43, v7, s45
	v_sub_nc_u32_e32 v9, v9, v16
	s_delay_alu instid0(VALU_DEP_2) | instskip(NEXT) | instid1(VALU_DEP_2)
	v_sub_nc_u32_e32 v10, v10, v43
	v_mul_lo_u32 v9, v9, s50
	s_delay_alu instid0(VALU_DEP_2) | instskip(NEXT) | instid1(VALU_DEP_1)
	v_mul_lo_u32 v10, v10, s51
	v_add3_u32 v1, v9, v1, v10
	s_cbranch_scc0 .LBB150_39
; %bb.40:                               ;   in Loop: Header=BB150_9 Depth=1
	s_mov_b32 s14, s30
	s_and_not1_b32 vcc_lo, exec_lo, s31
	s_cbranch_vccz .LBB150_43
	s_branch .LBB150_45
.LBB150_41:                             ;   in Loop: Header=BB150_9 Depth=1
                                        ; implicit-def: $vgpr1
	s_branch .LBB150_46
.LBB150_42:                             ;   in Loop: Header=BB150_9 Depth=1
	v_mov_b32_e32 v7, v0
	s_and_not1_b32 vcc_lo, exec_lo, s31
	s_cbranch_vccnz .LBB150_45
.LBB150_43:                             ;   in Loop: Header=BB150_9 Depth=1
	s_lshl_b32 s15, s14, 2
	s_mul_i32 s22, s14, 12
	s_add_u32 s14, s0, s15
	s_addc_u32 s15, s1, 0
	s_add_u32 s22, s18, s22
	s_addc_u32 s23, s19, 0
	s_mov_b32 s34, s28
	.p2align	6
.LBB150_44:                             ;   Parent Loop BB150_9 Depth=1
                                        ; =>  This Inner Loop Header: Depth=2
	s_clause 0x1
	s_load_b64 s[36:37], s[22:23], 0x4
	s_load_b32 s35, s[22:23], 0xc
	s_add_u32 s22, s22, 12
	s_addc_u32 s23, s23, 0
	s_waitcnt lgkmcnt(0)
	v_mul_hi_u32 v8, s37, v7
	s_load_b32 s37, s[14:15], 0x0
	s_add_u32 s14, s14, 4
	s_addc_u32 s15, s15, 0
	s_add_i32 s34, s34, -1
	s_delay_alu instid0(SALU_CYCLE_1) | instskip(NEXT) | instid1(VALU_DEP_1)
	s_cmp_lg_u32 s34, 0
	v_add_nc_u32_e32 v8, v7, v8
	s_delay_alu instid0(VALU_DEP_1) | instskip(NEXT) | instid1(VALU_DEP_1)
	v_lshrrev_b32_e32 v10, s35, v8
	v_mul_lo_u32 v8, v10, s36
	s_delay_alu instid0(VALU_DEP_1) | instskip(SKIP_1) | instid1(VALU_DEP_1)
	v_sub_nc_u32_e32 v7, v7, v8
	s_waitcnt lgkmcnt(0)
	v_mad_u64_u32 v[8:9], null, v7, s37, v[1:2]
	v_mov_b32_e32 v7, v10
	s_delay_alu instid0(VALU_DEP_2)
	v_mov_b32_e32 v1, v8
	s_cbranch_scc1 .LBB150_44
.LBB150_45:                             ;   in Loop: Header=BB150_9 Depth=1
	s_cbranch_execnz .LBB150_7
.LBB150_46:                             ;   in Loop: Header=BB150_9 Depth=1
	v_mul_hi_u32 v1, v0, s6
	s_and_not1_b32 vcc_lo, exec_lo, s4
	s_delay_alu instid0(VALU_DEP_1) | instskip(NEXT) | instid1(VALU_DEP_1)
	v_add_nc_u32_e32 v1, v1, v0
	v_lshrrev_b32_e32 v7, s7, v1
	s_delay_alu instid0(VALU_DEP_1) | instskip(NEXT) | instid1(VALU_DEP_1)
	v_mul_lo_u32 v1, v7, s5
	v_sub_nc_u32_e32 v0, v0, v1
	s_delay_alu instid0(VALU_DEP_1)
	v_mul_lo_u32 v1, v0, s20
	s_cbranch_vccnz .LBB150_7
; %bb.47:                               ;   in Loop: Header=BB150_9 Depth=1
	v_mul_hi_u32 v0, s9, v7
	s_delay_alu instid0(VALU_DEP_1) | instskip(NEXT) | instid1(VALU_DEP_1)
	v_add_nc_u32_e32 v0, v7, v0
	v_lshrrev_b32_e32 v0, s10, v0
	s_delay_alu instid0(VALU_DEP_1) | instskip(NEXT) | instid1(VALU_DEP_1)
	v_mul_lo_u32 v0, v0, s8
	v_sub_nc_u32_e32 v0, v7, v0
	s_delay_alu instid0(VALU_DEP_1) | instskip(NEXT) | instid1(VALU_DEP_1)
	v_mad_u64_u32 v[7:8], null, v0, s21, v[1:2]
	v_mov_b32_e32 v1, v7
	s_branch .LBB150_7
.LBB150_48:
	s_endpgm
.LBB150_49:
                                        ; implicit-def: $sgpr2_sgpr3
	s_branch .LBB150_4
	.section	.rodata,"a",@progbits
	.p2align	6, 0x0
	.amdhsa_kernel _ZN2at6native12_GLOBAL__N_143distribution_elementwise_grid_stride_kernelIfLi4EZNS0_9templates4cuda21uniform_and_transformIN3c104HalfEfPNS_17CUDAGeneratorImplEZZZNS4_16bernoulli_kernelIS9_EEvRNS_18TensorIteratorBaseEdT_ENKUlvE_clEvENKUlvE6_clEvEUlfE_EEvSC_T1_T2_EUlP25hiprandStatePhilox4_32_10E_ZNS1_27distribution_nullary_kernelIS7_f15HIP_vector_typeIdLj2EES9_SL_SG_EEvSC_SI_RKT3_T4_EUlifE0_EEvlNS_15PhiloxCudaStateESH_SI_
		.amdhsa_group_segment_fixed_size 0
		.amdhsa_private_segment_fixed_size 0
		.amdhsa_kernarg_size 584
		.amdhsa_user_sgpr_count 15
		.amdhsa_user_sgpr_dispatch_ptr 0
		.amdhsa_user_sgpr_queue_ptr 0
		.amdhsa_user_sgpr_kernarg_segment_ptr 1
		.amdhsa_user_sgpr_dispatch_id 0
		.amdhsa_user_sgpr_private_segment_size 0
		.amdhsa_wavefront_size32 1
		.amdhsa_uses_dynamic_stack 0
		.amdhsa_enable_private_segment 0
		.amdhsa_system_sgpr_workgroup_id_x 1
		.amdhsa_system_sgpr_workgroup_id_y 0
		.amdhsa_system_sgpr_workgroup_id_z 0
		.amdhsa_system_sgpr_workgroup_info 0
		.amdhsa_system_vgpr_workitem_id 0
		.amdhsa_next_free_vgpr 45
		.amdhsa_next_free_sgpr 52
		.amdhsa_reserve_vcc 1
		.amdhsa_float_round_mode_32 0
		.amdhsa_float_round_mode_16_64 0
		.amdhsa_float_denorm_mode_32 3
		.amdhsa_float_denorm_mode_16_64 3
		.amdhsa_dx10_clamp 1
		.amdhsa_ieee_mode 1
		.amdhsa_fp16_overflow 0
		.amdhsa_workgroup_processor_mode 1
		.amdhsa_memory_ordered 1
		.amdhsa_forward_progress 0
		.amdhsa_shared_vgpr_count 0
		.amdhsa_exception_fp_ieee_invalid_op 0
		.amdhsa_exception_fp_denorm_src 0
		.amdhsa_exception_fp_ieee_div_zero 0
		.amdhsa_exception_fp_ieee_overflow 0
		.amdhsa_exception_fp_ieee_underflow 0
		.amdhsa_exception_fp_ieee_inexact 0
		.amdhsa_exception_int_div_zero 0
	.end_amdhsa_kernel
	.section	.text._ZN2at6native12_GLOBAL__N_143distribution_elementwise_grid_stride_kernelIfLi4EZNS0_9templates4cuda21uniform_and_transformIN3c104HalfEfPNS_17CUDAGeneratorImplEZZZNS4_16bernoulli_kernelIS9_EEvRNS_18TensorIteratorBaseEdT_ENKUlvE_clEvENKUlvE6_clEvEUlfE_EEvSC_T1_T2_EUlP25hiprandStatePhilox4_32_10E_ZNS1_27distribution_nullary_kernelIS7_f15HIP_vector_typeIdLj2EES9_SL_SG_EEvSC_SI_RKT3_T4_EUlifE0_EEvlNS_15PhiloxCudaStateESH_SI_,"axG",@progbits,_ZN2at6native12_GLOBAL__N_143distribution_elementwise_grid_stride_kernelIfLi4EZNS0_9templates4cuda21uniform_and_transformIN3c104HalfEfPNS_17CUDAGeneratorImplEZZZNS4_16bernoulli_kernelIS9_EEvRNS_18TensorIteratorBaseEdT_ENKUlvE_clEvENKUlvE6_clEvEUlfE_EEvSC_T1_T2_EUlP25hiprandStatePhilox4_32_10E_ZNS1_27distribution_nullary_kernelIS7_f15HIP_vector_typeIdLj2EES9_SL_SG_EEvSC_SI_RKT3_T4_EUlifE0_EEvlNS_15PhiloxCudaStateESH_SI_,comdat
.Lfunc_end150:
	.size	_ZN2at6native12_GLOBAL__N_143distribution_elementwise_grid_stride_kernelIfLi4EZNS0_9templates4cuda21uniform_and_transformIN3c104HalfEfPNS_17CUDAGeneratorImplEZZZNS4_16bernoulli_kernelIS9_EEvRNS_18TensorIteratorBaseEdT_ENKUlvE_clEvENKUlvE6_clEvEUlfE_EEvSC_T1_T2_EUlP25hiprandStatePhilox4_32_10E_ZNS1_27distribution_nullary_kernelIS7_f15HIP_vector_typeIdLj2EES9_SL_SG_EEvSC_SI_RKT3_T4_EUlifE0_EEvlNS_15PhiloxCudaStateESH_SI_, .Lfunc_end150-_ZN2at6native12_GLOBAL__N_143distribution_elementwise_grid_stride_kernelIfLi4EZNS0_9templates4cuda21uniform_and_transformIN3c104HalfEfPNS_17CUDAGeneratorImplEZZZNS4_16bernoulli_kernelIS9_EEvRNS_18TensorIteratorBaseEdT_ENKUlvE_clEvENKUlvE6_clEvEUlfE_EEvSC_T1_T2_EUlP25hiprandStatePhilox4_32_10E_ZNS1_27distribution_nullary_kernelIS7_f15HIP_vector_typeIdLj2EES9_SL_SG_EEvSC_SI_RKT3_T4_EUlifE0_EEvlNS_15PhiloxCudaStateESH_SI_
                                        ; -- End function
	.section	.AMDGPU.csdata,"",@progbits
; Kernel info:
; codeLenInByte = 3968
; NumSgprs: 54
; NumVgprs: 45
; ScratchSize: 0
; MemoryBound: 0
; FloatMode: 240
; IeeeMode: 1
; LDSByteSize: 0 bytes/workgroup (compile time only)
; SGPRBlocks: 6
; VGPRBlocks: 5
; NumSGPRsForWavesPerEU: 54
; NumVGPRsForWavesPerEU: 45
; Occupancy: 16
; WaveLimiterHint : 1
; COMPUTE_PGM_RSRC2:SCRATCH_EN: 0
; COMPUTE_PGM_RSRC2:USER_SGPR: 15
; COMPUTE_PGM_RSRC2:TRAP_HANDLER: 0
; COMPUTE_PGM_RSRC2:TGID_X_EN: 1
; COMPUTE_PGM_RSRC2:TGID_Y_EN: 0
; COMPUTE_PGM_RSRC2:TGID_Z_EN: 0
; COMPUTE_PGM_RSRC2:TIDIG_COMP_CNT: 0
	.section	.text._ZN2at6native12_GLOBAL__N_143distribution_elementwise_grid_stride_kernelIfLi4EZNS0_9templates4cuda21uniform_and_transformIN3c104HalfEfPNS_17CUDAGeneratorImplEZZZNS4_16bernoulli_kernelIS9_EEvRNS_18TensorIteratorBaseEdT_ENKUlvE_clEvENKUlvE6_clEvEUlfE_EEvSC_T1_T2_EUlP25hiprandStatePhilox4_32_10E0_ZNS1_27distribution_nullary_kernelIS7_f15HIP_vector_typeIfLj4EES9_SL_SG_EEvSC_SI_RKT3_T4_EUlifE_EEvlNS_15PhiloxCudaStateESH_SI_,"axG",@progbits,_ZN2at6native12_GLOBAL__N_143distribution_elementwise_grid_stride_kernelIfLi4EZNS0_9templates4cuda21uniform_and_transformIN3c104HalfEfPNS_17CUDAGeneratorImplEZZZNS4_16bernoulli_kernelIS9_EEvRNS_18TensorIteratorBaseEdT_ENKUlvE_clEvENKUlvE6_clEvEUlfE_EEvSC_T1_T2_EUlP25hiprandStatePhilox4_32_10E0_ZNS1_27distribution_nullary_kernelIS7_f15HIP_vector_typeIfLj4EES9_SL_SG_EEvSC_SI_RKT3_T4_EUlifE_EEvlNS_15PhiloxCudaStateESH_SI_,comdat
	.globl	_ZN2at6native12_GLOBAL__N_143distribution_elementwise_grid_stride_kernelIfLi4EZNS0_9templates4cuda21uniform_and_transformIN3c104HalfEfPNS_17CUDAGeneratorImplEZZZNS4_16bernoulli_kernelIS9_EEvRNS_18TensorIteratorBaseEdT_ENKUlvE_clEvENKUlvE6_clEvEUlfE_EEvSC_T1_T2_EUlP25hiprandStatePhilox4_32_10E0_ZNS1_27distribution_nullary_kernelIS7_f15HIP_vector_typeIfLj4EES9_SL_SG_EEvSC_SI_RKT3_T4_EUlifE_EEvlNS_15PhiloxCudaStateESH_SI_ ; -- Begin function _ZN2at6native12_GLOBAL__N_143distribution_elementwise_grid_stride_kernelIfLi4EZNS0_9templates4cuda21uniform_and_transformIN3c104HalfEfPNS_17CUDAGeneratorImplEZZZNS4_16bernoulli_kernelIS9_EEvRNS_18TensorIteratorBaseEdT_ENKUlvE_clEvENKUlvE6_clEvEUlfE_EEvSC_T1_T2_EUlP25hiprandStatePhilox4_32_10E0_ZNS1_27distribution_nullary_kernelIS7_f15HIP_vector_typeIfLj4EES9_SL_SG_EEvSC_SI_RKT3_T4_EUlifE_EEvlNS_15PhiloxCudaStateESH_SI_
	.p2align	8
	.type	_ZN2at6native12_GLOBAL__N_143distribution_elementwise_grid_stride_kernelIfLi4EZNS0_9templates4cuda21uniform_and_transformIN3c104HalfEfPNS_17CUDAGeneratorImplEZZZNS4_16bernoulli_kernelIS9_EEvRNS_18TensorIteratorBaseEdT_ENKUlvE_clEvENKUlvE6_clEvEUlfE_EEvSC_T1_T2_EUlP25hiprandStatePhilox4_32_10E0_ZNS1_27distribution_nullary_kernelIS7_f15HIP_vector_typeIfLj4EES9_SL_SG_EEvSC_SI_RKT3_T4_EUlifE_EEvlNS_15PhiloxCudaStateESH_SI_,@function
_ZN2at6native12_GLOBAL__N_143distribution_elementwise_grid_stride_kernelIfLi4EZNS0_9templates4cuda21uniform_and_transformIN3c104HalfEfPNS_17CUDAGeneratorImplEZZZNS4_16bernoulli_kernelIS9_EEvRNS_18TensorIteratorBaseEdT_ENKUlvE_clEvENKUlvE6_clEvEUlfE_EEvSC_T1_T2_EUlP25hiprandStatePhilox4_32_10E0_ZNS1_27distribution_nullary_kernelIS7_f15HIP_vector_typeIfLj4EES9_SL_SG_EEvSC_SI_RKT3_T4_EUlifE_EEvlNS_15PhiloxCudaStateESH_SI_: ; @_ZN2at6native12_GLOBAL__N_143distribution_elementwise_grid_stride_kernelIfLi4EZNS0_9templates4cuda21uniform_and_transformIN3c104HalfEfPNS_17CUDAGeneratorImplEZZZNS4_16bernoulli_kernelIS9_EEvRNS_18TensorIteratorBaseEdT_ENKUlvE_clEvENKUlvE6_clEvEUlfE_EEvSC_T1_T2_EUlP25hiprandStatePhilox4_32_10E0_ZNS1_27distribution_nullary_kernelIS7_f15HIP_vector_typeIfLj4EES9_SL_SG_EEvSC_SI_RKT3_T4_EUlifE_EEvlNS_15PhiloxCudaStateESH_SI_
; %bb.0:
	s_clause 0x2
	s_load_b64 s[8:9], s[0:1], 0x10
	s_load_b128 s[4:7], s[0:1], 0x0
	s_load_b32 s2, s[0:1], 0x20
	s_waitcnt lgkmcnt(0)
	v_dual_mov_b32 v2, s8 :: v_dual_mov_b32 v3, s9
	v_dual_mov_b32 v12, s7 :: v_dual_mov_b32 v11, s6
	s_bitcmp0_b32 s2, 0
	s_mov_b32 s2, 0
	s_cbranch_scc1 .LBB151_2
; %bb.1:
	v_dual_mov_b32 v1, s8 :: v_dual_mov_b32 v2, s9
	v_dual_mov_b32 v4, s6 :: v_dual_mov_b32 v5, s7
	s_load_b64 s[6:7], s[0:1], 0x18
	flat_load_b64 v[2:3], v[1:2]
	flat_load_b64 v[11:12], v[4:5]
	s_waitcnt vmcnt(1) lgkmcnt(0)
	v_add_co_u32 v2, vcc_lo, v2, s6
	v_add_co_ci_u32_e32 v3, vcc_lo, s7, v3, vcc_lo
.LBB151_2:
	s_clause 0x1
	s_load_b32 s3, s[0:1], 0x54
	s_load_b32 s11, s[0:1], 0x48
	s_waitcnt lgkmcnt(0)
	s_and_b32 s10, s3, 0xffff
	s_add_u32 s6, s4, -1
	s_mul_i32 s8, s11, s10
	s_addc_u32 s3, s5, -1
	s_lshl_b32 s9, s8, 2
	s_cmp_lg_u64 s[2:3], 0
	s_cbranch_scc0 .LBB151_27
; %bb.3:
	v_cvt_f32_ubyte0_e32 v1, 0
	v_cvt_f32_u32_e32 v4, s9
	s_sub_u32 s12, 0, s9
	s_subb_u32 s13, 0, 0
	s_delay_alu instid0(VALU_DEP_1) | instskip(NEXT) | instid1(VALU_DEP_1)
	v_fmamk_f32 v1, v1, 0x4f800000, v4
	v_rcp_f32_e32 v1, v1
	s_waitcnt_depctr 0xfff
	v_mul_f32_e32 v1, 0x5f7ffffc, v1
	s_delay_alu instid0(VALU_DEP_1) | instskip(NEXT) | instid1(VALU_DEP_1)
	v_mul_f32_e32 v4, 0x2f800000, v1
	v_trunc_f32_e32 v4, v4
	s_delay_alu instid0(VALU_DEP_1) | instskip(SKIP_1) | instid1(VALU_DEP_2)
	v_fmamk_f32 v1, v4, 0xcf800000, v1
	v_cvt_u32_f32_e32 v4, v4
	v_cvt_u32_f32_e32 v1, v1
	s_delay_alu instid0(VALU_DEP_2) | instskip(NEXT) | instid1(VALU_DEP_2)
	v_readfirstlane_b32 s2, v4
	v_readfirstlane_b32 s7, v1
	s_delay_alu instid0(VALU_DEP_2) | instskip(NEXT) | instid1(VALU_DEP_1)
	s_mul_i32 s14, s12, s2
	s_mul_hi_u32 s17, s12, s7
	s_mul_i32 s16, s13, s7
	s_add_i32 s14, s17, s14
	s_mul_i32 s18, s12, s7
	s_add_i32 s14, s14, s16
	s_mul_hi_u32 s17, s7, s18
	s_mul_hi_u32 s19, s2, s18
	s_mul_i32 s16, s2, s18
	s_mul_hi_u32 s18, s7, s14
	s_mul_i32 s7, s7, s14
	s_mul_hi_u32 s20, s2, s14
	s_add_u32 s7, s17, s7
	s_addc_u32 s17, 0, s18
	s_add_u32 s7, s7, s16
	s_mul_i32 s14, s2, s14
	s_addc_u32 s7, s17, s19
	s_addc_u32 s16, s20, 0
	s_add_u32 s7, s7, s14
	s_addc_u32 s14, 0, s16
	v_add_co_u32 v1, s7, v1, s7
	s_delay_alu instid0(VALU_DEP_1) | instskip(SKIP_1) | instid1(VALU_DEP_1)
	s_cmp_lg_u32 s7, 0
	s_addc_u32 s2, s2, s14
	v_readfirstlane_b32 s7, v1
	s_mul_i32 s14, s12, s2
	s_delay_alu instid0(VALU_DEP_1)
	s_mul_hi_u32 s16, s12, s7
	s_mul_i32 s13, s13, s7
	s_add_i32 s14, s16, s14
	s_mul_i32 s12, s12, s7
	s_add_i32 s14, s14, s13
	s_mul_hi_u32 s16, s2, s12
	s_mul_i32 s17, s2, s12
	s_mul_hi_u32 s12, s7, s12
	s_mul_hi_u32 s18, s7, s14
	s_mul_i32 s7, s7, s14
	s_mul_hi_u32 s13, s2, s14
	s_add_u32 s7, s12, s7
	s_addc_u32 s12, 0, s18
	s_add_u32 s7, s7, s17
	s_mul_i32 s14, s2, s14
	s_addc_u32 s7, s12, s16
	s_addc_u32 s12, s13, 0
	s_add_u32 s7, s7, s14
	s_addc_u32 s12, 0, s12
	v_add_co_u32 v1, s7, v1, s7
	s_delay_alu instid0(VALU_DEP_1) | instskip(SKIP_2) | instid1(VALU_DEP_1)
	s_cmp_lg_u32 s7, 0
	s_addc_u32 s7, s2, s12
	s_ashr_i32 s12, s3, 31
	v_readfirstlane_b32 s14, v1
	s_add_u32 s2, s6, s12
	s_mov_b32 s13, s12
	s_addc_u32 s3, s3, s12
	s_delay_alu instid0(SALU_CYCLE_1) | instskip(NEXT) | instid1(SALU_CYCLE_1)
	s_xor_b64 s[2:3], s[2:3], s[12:13]
	s_mul_i32 s17, s2, s7
	s_mul_hi_u32 s18, s2, s14
	s_mul_hi_u32 s16, s2, s7
	s_mul_hi_u32 s20, s3, s14
	s_mul_i32 s14, s3, s14
	s_add_u32 s17, s18, s17
	s_addc_u32 s16, 0, s16
	s_mul_hi_u32 s19, s3, s7
	s_add_u32 s14, s17, s14
	s_mul_i32 s7, s3, s7
	s_addc_u32 s14, s16, s20
	s_addc_u32 s16, s19, 0
	s_add_u32 s7, s14, s7
	s_addc_u32 s14, 0, s16
	s_mul_i32 s17, s9, s7
	s_add_u32 s16, s7, 1
	v_sub_co_u32 v1, s2, s2, s17
	s_mul_hi_u32 s17, s9, s7
	s_addc_u32 s18, s14, 0
	s_mul_i32 s19, s9, s14
	s_delay_alu instid0(VALU_DEP_1)
	v_sub_co_u32 v4, s20, v1, s9
	s_add_u32 s21, s7, 2
	s_addc_u32 s22, s14, 0
	s_add_i32 s17, s17, s19
	s_cmp_lg_u32 s2, 0
	v_readfirstlane_b32 s2, v4
	s_subb_u32 s3, s3, s17
	s_cmp_lg_u32 s20, 0
	s_subb_u32 s17, s3, 0
	s_delay_alu instid0(VALU_DEP_1) | instskip(SKIP_4) | instid1(SALU_CYCLE_1)
	s_cmp_ge_u32 s2, s9
	s_cselect_b32 s2, -1, 0
	s_cmp_eq_u32 s17, 0
	v_readfirstlane_b32 s17, v1
	s_cselect_b32 s2, s2, -1
	s_cmp_lg_u32 s2, 0
	s_cselect_b32 s2, s21, s16
	s_cselect_b32 s16, s22, s18
	s_cmp_ge_u32 s17, s9
	s_cselect_b32 s17, -1, 0
	s_cmp_eq_u32 s3, 0
	s_cselect_b32 s3, s17, -1
	s_delay_alu instid0(SALU_CYCLE_1) | instskip(SKIP_2) | instid1(SALU_CYCLE_1)
	s_cmp_lg_u32 s3, 0
	s_cselect_b32 s3, s16, s14
	s_cselect_b32 s2, s2, s7
	s_xor_b64 s[2:3], s[2:3], s[12:13]
	s_delay_alu instid0(SALU_CYCLE_1)
	s_sub_u32 s2, s2, s12
	s_subb_u32 s3, s3, s12
	s_cbranch_execnz .LBB151_5
.LBB151_4:
	v_cvt_f32_u32_e32 v1, s9
	s_sub_i32 s3, 0, s9
	s_delay_alu instid0(VALU_DEP_1) | instskip(SKIP_2) | instid1(VALU_DEP_1)
	v_rcp_iflag_f32_e32 v1, v1
	s_waitcnt_depctr 0xfff
	v_mul_f32_e32 v1, 0x4f7ffffe, v1
	v_cvt_u32_f32_e32 v1, v1
	s_delay_alu instid0(VALU_DEP_1) | instskip(NEXT) | instid1(VALU_DEP_1)
	v_readfirstlane_b32 s2, v1
	s_mul_i32 s3, s3, s2
	s_delay_alu instid0(SALU_CYCLE_1) | instskip(NEXT) | instid1(SALU_CYCLE_1)
	s_mul_hi_u32 s3, s2, s3
	s_add_i32 s2, s2, s3
	s_delay_alu instid0(SALU_CYCLE_1) | instskip(NEXT) | instid1(SALU_CYCLE_1)
	s_mul_hi_u32 s2, s6, s2
	s_mul_i32 s3, s2, s9
	s_delay_alu instid0(SALU_CYCLE_1)
	s_sub_i32 s3, s6, s3
	s_add_i32 s6, s2, 1
	s_sub_i32 s7, s3, s9
	s_cmp_ge_u32 s3, s9
	s_cselect_b32 s2, s6, s2
	s_cselect_b32 s3, s7, s3
	s_add_i32 s6, s2, 1
	s_cmp_ge_u32 s3, s9
	s_mov_b32 s3, 0
	s_cselect_b32 s2, s6, s2
.LBB151_5:
	v_mov_b32_e32 v1, 0
	s_add_u32 s2, s2, 1
	s_addc_u32 s3, s3, 0
	s_mul_hi_u32 s6, s8, s2
	s_mul_i32 s3, s8, s3
	v_mad_u64_u32 v[13:14], null, s10, s15, v[0:1]
	s_mul_hi_u32 s7, s11, s10
	s_add_i32 s3, s6, s3
	s_mul_i32 s7, s7, s2
	s_mul_i32 s2, s8, s2
	s_add_i32 s3, s3, s7
	s_mov_b32 s6, exec_lo
	s_lshl_b64 s[2:3], s[2:3], 2
	s_delay_alu instid0(SALU_CYCLE_1)
	v_cmpx_gt_i64_e64 s[2:3], v[13:14]
	s_cbranch_execz .LBB151_26
; %bb.6:
	v_alignbit_b32 v17, v3, v2, 2
	v_mad_u64_u32 v[6:7], null, 0xcd9e8d57, v13, 0
	v_lshrrev_b32_e32 v18, 2, v3
	s_waitcnt vmcnt(0)
	v_dual_mov_b32 v15, v12 :: v_dual_add_nc_u32 v28, 0x8ff34781, v11
	v_mad_u64_u32 v[4:5], null, 0xd2511f53, v17, 0
	v_add_co_u32 v20, null, 0x9e3779b9, v11
	v_xor3_b32 v3, v11, v7, v18
	s_delay_alu instid0(VALU_DEP_4) | instskip(SKIP_2) | instid1(VALU_DEP_4)
	v_add_co_u32 v19, null, 0xbb67ae85, v15
	v_add_co_u32 v21, null, 0x3c6ef372, v11
	v_xor_b32_e32 v1, v5, v12
	v_mad_u64_u32 v[7:8], null, 0xd2511f53, v3, 0
	v_add_co_u32 v22, null, 0x76cf5d0a, v15
	s_delay_alu instid0(VALU_DEP_3) | instskip(SKIP_2) | instid1(VALU_DEP_3)
	v_xor_b32_e32 v1, v1, v14
	v_add_co_u32 v23, null, 0x32370b8f, v15
	v_add_co_u32 v24, null, 0xdaa66d2b, v11
	v_mad_u64_u32 v[9:10], null, 0xcd9e8d57, v1, 0
	v_xor3_b32 v1, v19, v8, v4
	v_add_co_u32 v25, null, 0x78dde6e4, v11
	v_add_co_u32 v26, null, 0xed9eba14, v15
	s_delay_alu instid0(VALU_DEP_3) | instskip(SKIP_3) | instid1(VALU_DEP_3)
	v_mad_u64_u32 v[3:4], null, 0xcd9e8d57, v1, 0
	v_xor3_b32 v8, v20, v10, v6
	v_dual_mov_b32 v38, v13 :: v_dual_and_b32 v27, 3, v2
	v_add_co_u32 v29, null, 0xa9066899, v15
	v_mad_u64_u32 v[5:6], null, 0xd2511f53, v8, 0
	v_xor3_b32 v1, v21, v4, v9
	v_add_co_u32 v30, null, 0x1715609d, v11
	s_clause 0x2
	s_load_b64 s[6:7], s[0:1], 0x30
	s_load_b32 s14, s[0:1], 0x38
	s_load_b64 s[12:13], s[0:1], 0x40
	v_add_co_u32 v33, null, 0xb54cda56, v11
	v_xor3_b32 v4, v22, v6, v7
	v_mad_u64_u32 v[6:7], null, 0xd2511f53, v1, 0
	v_add_co_u32 v35, null, 0x646e171e, v15
	s_delay_alu instid0(VALU_DEP_3) | instskip(SKIP_1) | instid1(VALU_DEP_4)
	v_mad_u64_u32 v[8:9], null, 0xcd9e8d57, v4, 0
	v_add_co_u32 v36, null, 0x1fd5c5a3, v15
	v_xor3_b32 v1, v23, v7, v5
	v_add_co_u32 v32, null, 0x5384540f, v11
	v_add_co_u32 v34, null, 0xf1bbcdc8, v11
	v_xor3_b32 v5, v24, v9, v3
	s_delay_alu instid0(VALU_DEP_4)
	v_mad_u64_u32 v[3:4], null, 0xcd9e8d57, v1, 0
	s_waitcnt lgkmcnt(0)
	v_cvt_f32_f64_e32 v37, s[12:13]
	s_mul_i32 s16, s11, 3
	v_mad_u64_u32 v[9:10], null, 0xd2511f53, v5, 0
	s_add_i32 s18, s15, s11
	s_add_i32 s12, s15, s16
	s_delay_alu instid0(VALU_DEP_3) | instskip(SKIP_2) | instid1(VALU_DEP_3)
	v_xor3_b32 v4, v25, v4, v8
	v_add_co_u32 v39, null, 0xdb3d7428, v15
	s_lshl_b32 s17, s11, 1
	v_xor3_b32 v6, v26, v10, v6
	s_delay_alu instid0(VALU_DEP_3) | instskip(SKIP_1) | instid1(VALU_DEP_3)
	v_mad_u64_u32 v[1:2], null, 0xd2511f53, v4, 0
	v_dual_mov_b32 v44, v14 :: v_dual_add_nc_u32 v31, 0x96a522ad, v12
	v_mad_u64_u32 v[4:5], null, 0xcd9e8d57, v6, 0
	s_mul_i32 s11, s11, s14
	s_mov_b32 s0, 0
	s_delay_alu instid0(VALU_DEP_3) | instskip(SKIP_3) | instid1(VALU_DEP_2)
	v_xor3_b32 v6, v29, v2, v9
	s_mul_i32 s11, s11, s10
	s_lshl_b32 s1, s8, 1
	s_lshl_b32 s11, s11, 2
	v_xor3_b32 v7, v30, v5, v3
	v_mad_u64_u32 v[2:3], null, 0xcd9e8d57, v6, 0
	s_delay_alu instid0(VALU_DEP_2) | instskip(NEXT) | instid1(VALU_DEP_2)
	v_mad_u64_u32 v[5:6], null, 0xd2511f53, v7, 0
	v_xor3_b32 v8, v33, v3, v4
	v_mad_u64_u32 v[3:4], null, s15, s10, v[0:1]
	s_add_i32 s15, s15, s17
	s_delay_alu instid0(VALU_DEP_3) | instskip(NEXT) | instid1(VALU_DEP_3)
	v_xor3_b32 v1, v35, v6, v1
	v_mad_u64_u32 v[6:7], null, 0xd2511f53, v8, 0
	s_delay_alu instid0(VALU_DEP_2) | instskip(NEXT) | instid1(VALU_DEP_4)
	v_mad_u64_u32 v[8:9], null, 0xcd9e8d57, v1, 0
	v_mul_lo_u32 v40, s14, v3
	s_delay_alu instid0(VALU_DEP_3) | instskip(NEXT) | instid1(VALU_DEP_3)
	v_xor3_b32 v1, v36, v7, v5
	v_xor3_b32 v2, v32, v9, v2
	s_delay_alu instid0(VALU_DEP_2) | instskip(SKIP_1) | instid1(VALU_DEP_3)
	v_mad_u64_u32 v[4:5], null, 0xcd9e8d57, v1, 0
	v_mad_u64_u32 v[15:16], null, s18, s10, v[0:1]
	;; [unrolled: 1-line block ×4, first 2 shown]
	s_delay_alu instid0(VALU_DEP_4) | instskip(SKIP_1) | instid1(VALU_DEP_4)
	v_xor3_b32 v1, v34, v5, v8
	s_mov_b32 s12, 0
	v_mul_lo_u32 v43, s14, v15
	s_delay_alu instid0(VALU_DEP_4) | instskip(NEXT) | instid1(VALU_DEP_3)
	v_xor3_b32 v8, v39, v10, v6
	v_mad_u64_u32 v[5:6], null, s15, s10, v[0:1]
	v_mad_u64_u32 v[6:7], null, 0xd2511f53, v1, 0
	s_delay_alu instid0(VALU_DEP_3) | instskip(SKIP_2) | instid1(VALU_DEP_4)
	v_mad_u64_u32 v[1:2], null, 0xcd9e8d57, v8, 0
	v_mul_lo_u32 v41, s14, v41
	s_mul_i32 s10, s8, 3
	v_mul_lo_u32 v42, s14, v5
	s_delay_alu instid0(VALU_DEP_4) | instskip(NEXT) | instid1(VALU_DEP_4)
	v_mov_b32_e32 v3, v6
	v_xor3_b32 v0, v2, v4, v28
	v_xor3_b32 v2, v7, v9, v31
	s_branch .LBB151_8
.LBB151_7:                              ;   in Loop: Header=BB151_8 Depth=1
	s_or_b32 exec_lo, exec_lo, s13
	v_add_co_u32 v13, vcc_lo, v13, s9
	v_add_co_ci_u32_e32 v14, vcc_lo, 0, v14, vcc_lo
	v_mov_b32_e32 v7, v15
	v_dual_mov_b32 v0, v4 :: v_dual_mov_b32 v1, v5
	s_delay_alu instid0(VALU_DEP_3) | instskip(NEXT) | instid1(VALU_DEP_3)
	v_cmp_le_i64_e32 vcc_lo, s[2:3], v[13:14]
	v_dual_mov_b32 v2, v6 :: v_dual_mov_b32 v3, v7
	s_add_i32 s12, s12, s11
	s_waitcnt_vscnt null, 0x0
	s_barrier
	s_or_b32 s0, vcc_lo, s0
	buffer_gl0_inv
	s_and_not1_b32 exec_lo, exec_lo, s0
	s_cbranch_execz .LBB151_26
.LBB151_8:                              ; =>This Inner Loop Header: Depth=1
	v_add_co_u32 v17, vcc_lo, v17, 1
	s_delay_alu instid0(VALU_DEP_1) | instskip(SKIP_2) | instid1(VALU_DEP_1)
	v_cndmask_b32_e64 v4, 0, 1, vcc_lo
	v_add_co_ci_u32_e32 v18, vcc_lo, 0, v18, vcc_lo
	s_mov_b32 s13, exec_lo
	v_cmp_eq_u32_e32 vcc_lo, 0, v18
	s_delay_alu instid0(VALU_DEP_3) | instskip(NEXT) | instid1(VALU_DEP_1)
	v_cndmask_b32_e32 v4, 0, v4, vcc_lo
	v_add_nc_u32_e32 v38, v4, v38
	s_delay_alu instid0(VALU_DEP_1) | instskip(SKIP_2) | instid1(VALU_DEP_2)
	v_cmp_eq_u32_e32 vcc_lo, 0, v38
	v_mad_u64_u32 v[6:7], null, 0xcd9e8d57, v38, 0
	v_cndmask_b32_e32 v4, 0, v4, vcc_lo
	v_xor3_b32 v9, v7, v11, v18
	s_delay_alu instid0(VALU_DEP_2) | instskip(SKIP_1) | instid1(VALU_DEP_3)
	v_add_nc_u32_e32 v44, v4, v44
	v_mad_u64_u32 v[4:5], null, 0xd2511f53, v17, 0
	v_mad_u64_u32 v[7:8], null, 0xd2511f53, v9, 0
	s_delay_alu instid0(VALU_DEP_2) | instskip(NEXT) | instid1(VALU_DEP_2)
	v_xor_b32_e32 v5, v5, v12
	v_xor3_b32 v8, v19, v8, v4
	s_delay_alu instid0(VALU_DEP_2) | instskip(NEXT) | instid1(VALU_DEP_1)
	v_xor_b32_e32 v5, v44, v5
	v_mad_u64_u32 v[9:10], null, 0xcd9e8d57, v5, 0
	s_delay_alu instid0(VALU_DEP_3) | instskip(NEXT) | instid1(VALU_DEP_2)
	v_mad_u64_u32 v[4:5], null, 0xcd9e8d57, v8, 0
	v_xor3_b32 v6, v20, v10, v6
	s_delay_alu instid0(VALU_DEP_2) | instskip(NEXT) | instid1(VALU_DEP_2)
	v_xor3_b32 v8, v21, v5, v9
	v_mad_u64_u32 v[15:16], null, 0xd2511f53, v6, 0
	s_delay_alu instid0(VALU_DEP_2) | instskip(NEXT) | instid1(VALU_DEP_2)
	v_mad_u64_u32 v[5:6], null, 0xd2511f53, v8, 0
	v_xor3_b32 v9, v22, v16, v7
	s_delay_alu instid0(VALU_DEP_2) | instskip(NEXT) | instid1(VALU_DEP_2)
	v_xor3_b32 v6, v23, v6, v15
	v_mad_u64_u32 v[7:8], null, 0xcd9e8d57, v9, 0
	s_delay_alu instid0(VALU_DEP_1) | instskip(NEXT) | instid1(VALU_DEP_3)
	v_xor3_b32 v4, v24, v8, v4
	v_mad_u64_u32 v[8:9], null, 0xcd9e8d57, v6, 0
	s_delay_alu instid0(VALU_DEP_2) | instskip(NEXT) | instid1(VALU_DEP_2)
	v_mad_u64_u32 v[15:16], null, 0xd2511f53, v4, 0
	v_xor3_b32 v6, v25, v9, v7
	s_delay_alu instid0(VALU_DEP_2) | instskip(NEXT) | instid1(VALU_DEP_2)
	v_xor3_b32 v9, v26, v16, v5
	v_mad_u64_u32 v[4:5], null, 0xd2511f53, v6, 0
	s_delay_alu instid0(VALU_DEP_2) | instskip(NEXT) | instid1(VALU_DEP_2)
	v_mad_u64_u32 v[6:7], null, 0xcd9e8d57, v9, 0
	v_xor3_b32 v5, v29, v5, v15
	s_delay_alu instid0(VALU_DEP_2) | instskip(NEXT) | instid1(VALU_DEP_2)
	;; [unrolled: 6-line block ×6, first 2 shown]
	v_xor3_b32 v4, v6, v7, v28
	v_mov_b32_e32 v6, v10
	v_cmpx_lt_i32_e32 1, v27
	s_xor_b32 s13, exec_lo, s13
	s_cbranch_execnz .LBB151_18
; %bb.9:                                ;   in Loop: Header=BB151_8 Depth=1
	s_and_not1_saveexec_b32 s13, s13
	s_cbranch_execnz .LBB151_23
.LBB151_10:                             ;   in Loop: Header=BB151_8 Depth=1
	s_or_b32 exec_lo, exec_lo, s13
	s_delay_alu instid0(SALU_CYCLE_1)
	s_mov_b32 s13, exec_lo
	v_cmpx_gt_i64_e64 s[4:5], v[13:14]
	s_cbranch_execz .LBB151_12
.LBB151_11:                             ;   in Loop: Header=BB151_8 Depth=1
	v_add_nc_u32_e32 v7, s12, v40
	v_cvt_f32_u32_e32 v0, v0
	s_delay_alu instid0(VALU_DEP_2) | instskip(NEXT) | instid1(VALU_DEP_2)
	v_ashrrev_i32_e32 v8, 31, v7
	v_fmaak_f32 v0, 0x2f800000, v0, 0x2f800000
	v_add_co_u32 v7, vcc_lo, s6, v7
	s_delay_alu instid0(VALU_DEP_3) | instskip(NEXT) | instid1(VALU_DEP_3)
	v_add_co_ci_u32_e32 v8, vcc_lo, s7, v8, vcc_lo
	v_cmp_lt_f32_e32 vcc_lo, v0, v37
	v_cndmask_b32_e64 v0, 0, 0x3c00, vcc_lo
	global_store_b16 v[7:8], v0, off
.LBB151_12:                             ;   in Loop: Header=BB151_8 Depth=1
	s_or_b32 exec_lo, exec_lo, s13
	v_add_co_u32 v7, vcc_lo, s8, v13
	v_add_co_ci_u32_e32 v8, vcc_lo, 0, v14, vcc_lo
	s_mov_b32 s13, exec_lo
	s_delay_alu instid0(VALU_DEP_1)
	v_cmpx_gt_i64_e64 s[4:5], v[7:8]
	s_cbranch_execz .LBB151_14
; %bb.13:                               ;   in Loop: Header=BB151_8 Depth=1
	v_add_nc_u32_e32 v0, s12, v43
	v_cvt_f32_u32_e32 v1, v1
	s_delay_alu instid0(VALU_DEP_2) | instskip(NEXT) | instid1(VALU_DEP_2)
	v_ashrrev_i32_e32 v7, 31, v0
	v_fmaak_f32 v8, 0x2f800000, v1, 0x2f800000
	v_add_co_u32 v0, vcc_lo, s6, v0
	s_delay_alu instid0(VALU_DEP_3) | instskip(NEXT) | instid1(VALU_DEP_3)
	v_add_co_ci_u32_e32 v1, vcc_lo, s7, v7, vcc_lo
	v_cmp_lt_f32_e32 vcc_lo, v8, v37
	v_cndmask_b32_e64 v7, 0, 0x3c00, vcc_lo
	global_store_b16 v[0:1], v7, off
.LBB151_14:                             ;   in Loop: Header=BB151_8 Depth=1
	s_or_b32 exec_lo, exec_lo, s13
	v_add_co_u32 v0, vcc_lo, s1, v13
	v_add_co_ci_u32_e32 v1, vcc_lo, 0, v14, vcc_lo
	s_mov_b32 s13, exec_lo
	s_delay_alu instid0(VALU_DEP_1)
	v_cmpx_gt_i64_e64 s[4:5], v[0:1]
	s_cbranch_execz .LBB151_16
; %bb.15:                               ;   in Loop: Header=BB151_8 Depth=1
	v_cvt_f32_u32_e32 v1, v2
	s_delay_alu instid0(VALU_DEP_1) | instskip(NEXT) | instid1(VALU_DEP_1)
	v_dual_fmaak_f32 v7, 0x2f800000, v1, 0x2f800000 :: v_dual_add_nc_u32 v0, s12, v42
	v_ashrrev_i32_e32 v2, 31, v0
	v_add_co_u32 v0, vcc_lo, s6, v0
	s_delay_alu instid0(VALU_DEP_2) | instskip(NEXT) | instid1(VALU_DEP_4)
	v_add_co_ci_u32_e32 v1, vcc_lo, s7, v2, vcc_lo
	v_cmp_lt_f32_e32 vcc_lo, v7, v37
	v_cndmask_b32_e64 v2, 0, 0x3c00, vcc_lo
	global_store_b16 v[0:1], v2, off
.LBB151_16:                             ;   in Loop: Header=BB151_8 Depth=1
	s_or_b32 exec_lo, exec_lo, s13
	v_add_co_u32 v0, vcc_lo, s10, v13
	v_add_co_ci_u32_e32 v1, vcc_lo, 0, v14, vcc_lo
	s_mov_b32 s13, exec_lo
	s_delay_alu instid0(VALU_DEP_1)
	v_cmpx_gt_i64_e64 s[4:5], v[0:1]
	s_cbranch_execz .LBB151_7
; %bb.17:                               ;   in Loop: Header=BB151_8 Depth=1
	v_add_nc_u32_e32 v0, s12, v41
	v_cvt_f32_u32_e32 v1, v3
	s_delay_alu instid0(VALU_DEP_2) | instskip(NEXT) | instid1(VALU_DEP_2)
	v_ashrrev_i32_e32 v2, 31, v0
	v_fmaak_f32 v3, 0x2f800000, v1, 0x2f800000
	v_add_co_u32 v0, vcc_lo, s6, v0
	s_delay_alu instid0(VALU_DEP_3) | instskip(NEXT) | instid1(VALU_DEP_3)
	v_add_co_ci_u32_e32 v1, vcc_lo, s7, v2, vcc_lo
	v_cmp_lt_f32_e32 vcc_lo, v3, v37
	v_cndmask_b32_e64 v2, 0, 0x3c00, vcc_lo
	global_store_b16 v[0:1], v2, off
	s_branch .LBB151_7
.LBB151_18:                             ;   in Loop: Header=BB151_8 Depth=1
	s_mov_b32 s14, exec_lo
	v_cmpx_lt_i32_e32 2, v27
	s_xor_b32 s14, exec_lo, s14
; %bb.19:                               ;   in Loop: Header=BB151_8 Depth=1
	v_dual_mov_b32 v7, v3 :: v_dual_mov_b32 v8, v4
	v_mov_b32_e32 v9, v5
	s_delay_alu instid0(VALU_DEP_2) | instskip(NEXT) | instid1(VALU_DEP_2)
	v_dual_mov_b32 v0, v7 :: v_dual_mov_b32 v1, v8
	v_dual_mov_b32 v2, v9 :: v_dual_mov_b32 v3, v10
; %bb.20:                               ;   in Loop: Header=BB151_8 Depth=1
	s_and_not1_saveexec_b32 s14, s14
; %bb.21:                               ;   in Loop: Header=BB151_8 Depth=1
	s_delay_alu instid0(VALU_DEP_1)
	v_dual_mov_b32 v0, v2 :: v_dual_mov_b32 v1, v3
	v_dual_mov_b32 v2, v4 :: v_dual_mov_b32 v3, v5
; %bb.22:                               ;   in Loop: Header=BB151_8 Depth=1
	s_or_b32 exec_lo, exec_lo, s14
	s_and_not1_saveexec_b32 s13, s13
	s_cbranch_execz .LBB151_10
.LBB151_23:                             ;   in Loop: Header=BB151_8 Depth=1
	s_mov_b32 s14, exec_lo
	v_cmpx_eq_u32_e32 1, v27
; %bb.24:                               ;   in Loop: Header=BB151_8 Depth=1
	v_dual_mov_b32 v0, v1 :: v_dual_mov_b32 v1, v2
	v_dual_mov_b32 v2, v3 :: v_dual_mov_b32 v3, v4
; %bb.25:                               ;   in Loop: Header=BB151_8 Depth=1
	s_or_b32 exec_lo, exec_lo, s14
	s_delay_alu instid0(SALU_CYCLE_1) | instskip(NEXT) | instid1(SALU_CYCLE_1)
	s_or_b32 exec_lo, exec_lo, s13
	s_mov_b32 s13, exec_lo
	v_cmpx_gt_i64_e64 s[4:5], v[13:14]
	s_cbranch_execnz .LBB151_11
	s_branch .LBB151_12
.LBB151_26:
	s_endpgm
.LBB151_27:
                                        ; implicit-def: $sgpr2_sgpr3
	s_branch .LBB151_4
	.section	.rodata,"a",@progbits
	.p2align	6, 0x0
	.amdhsa_kernel _ZN2at6native12_GLOBAL__N_143distribution_elementwise_grid_stride_kernelIfLi4EZNS0_9templates4cuda21uniform_and_transformIN3c104HalfEfPNS_17CUDAGeneratorImplEZZZNS4_16bernoulli_kernelIS9_EEvRNS_18TensorIteratorBaseEdT_ENKUlvE_clEvENKUlvE6_clEvEUlfE_EEvSC_T1_T2_EUlP25hiprandStatePhilox4_32_10E0_ZNS1_27distribution_nullary_kernelIS7_f15HIP_vector_typeIfLj4EES9_SL_SG_EEvSC_SI_RKT3_T4_EUlifE_EEvlNS_15PhiloxCudaStateESH_SI_
		.amdhsa_group_segment_fixed_size 0
		.amdhsa_private_segment_fixed_size 0
		.amdhsa_kernarg_size 328
		.amdhsa_user_sgpr_count 15
		.amdhsa_user_sgpr_dispatch_ptr 0
		.amdhsa_user_sgpr_queue_ptr 0
		.amdhsa_user_sgpr_kernarg_segment_ptr 1
		.amdhsa_user_sgpr_dispatch_id 0
		.amdhsa_user_sgpr_private_segment_size 0
		.amdhsa_wavefront_size32 1
		.amdhsa_uses_dynamic_stack 0
		.amdhsa_enable_private_segment 0
		.amdhsa_system_sgpr_workgroup_id_x 1
		.amdhsa_system_sgpr_workgroup_id_y 0
		.amdhsa_system_sgpr_workgroup_id_z 0
		.amdhsa_system_sgpr_workgroup_info 0
		.amdhsa_system_vgpr_workitem_id 0
		.amdhsa_next_free_vgpr 45
		.amdhsa_next_free_sgpr 23
		.amdhsa_reserve_vcc 1
		.amdhsa_float_round_mode_32 0
		.amdhsa_float_round_mode_16_64 0
		.amdhsa_float_denorm_mode_32 3
		.amdhsa_float_denorm_mode_16_64 3
		.amdhsa_dx10_clamp 1
		.amdhsa_ieee_mode 1
		.amdhsa_fp16_overflow 0
		.amdhsa_workgroup_processor_mode 1
		.amdhsa_memory_ordered 1
		.amdhsa_forward_progress 0
		.amdhsa_shared_vgpr_count 0
		.amdhsa_exception_fp_ieee_invalid_op 0
		.amdhsa_exception_fp_denorm_src 0
		.amdhsa_exception_fp_ieee_div_zero 0
		.amdhsa_exception_fp_ieee_overflow 0
		.amdhsa_exception_fp_ieee_underflow 0
		.amdhsa_exception_fp_ieee_inexact 0
		.amdhsa_exception_int_div_zero 0
	.end_amdhsa_kernel
	.section	.text._ZN2at6native12_GLOBAL__N_143distribution_elementwise_grid_stride_kernelIfLi4EZNS0_9templates4cuda21uniform_and_transformIN3c104HalfEfPNS_17CUDAGeneratorImplEZZZNS4_16bernoulli_kernelIS9_EEvRNS_18TensorIteratorBaseEdT_ENKUlvE_clEvENKUlvE6_clEvEUlfE_EEvSC_T1_T2_EUlP25hiprandStatePhilox4_32_10E0_ZNS1_27distribution_nullary_kernelIS7_f15HIP_vector_typeIfLj4EES9_SL_SG_EEvSC_SI_RKT3_T4_EUlifE_EEvlNS_15PhiloxCudaStateESH_SI_,"axG",@progbits,_ZN2at6native12_GLOBAL__N_143distribution_elementwise_grid_stride_kernelIfLi4EZNS0_9templates4cuda21uniform_and_transformIN3c104HalfEfPNS_17CUDAGeneratorImplEZZZNS4_16bernoulli_kernelIS9_EEvRNS_18TensorIteratorBaseEdT_ENKUlvE_clEvENKUlvE6_clEvEUlfE_EEvSC_T1_T2_EUlP25hiprandStatePhilox4_32_10E0_ZNS1_27distribution_nullary_kernelIS7_f15HIP_vector_typeIfLj4EES9_SL_SG_EEvSC_SI_RKT3_T4_EUlifE_EEvlNS_15PhiloxCudaStateESH_SI_,comdat
.Lfunc_end151:
	.size	_ZN2at6native12_GLOBAL__N_143distribution_elementwise_grid_stride_kernelIfLi4EZNS0_9templates4cuda21uniform_and_transformIN3c104HalfEfPNS_17CUDAGeneratorImplEZZZNS4_16bernoulli_kernelIS9_EEvRNS_18TensorIteratorBaseEdT_ENKUlvE_clEvENKUlvE6_clEvEUlfE_EEvSC_T1_T2_EUlP25hiprandStatePhilox4_32_10E0_ZNS1_27distribution_nullary_kernelIS7_f15HIP_vector_typeIfLj4EES9_SL_SG_EEvSC_SI_RKT3_T4_EUlifE_EEvlNS_15PhiloxCudaStateESH_SI_, .Lfunc_end151-_ZN2at6native12_GLOBAL__N_143distribution_elementwise_grid_stride_kernelIfLi4EZNS0_9templates4cuda21uniform_and_transformIN3c104HalfEfPNS_17CUDAGeneratorImplEZZZNS4_16bernoulli_kernelIS9_EEvRNS_18TensorIteratorBaseEdT_ENKUlvE_clEvENKUlvE6_clEvEUlfE_EEvSC_T1_T2_EUlP25hiprandStatePhilox4_32_10E0_ZNS1_27distribution_nullary_kernelIS7_f15HIP_vector_typeIfLj4EES9_SL_SG_EEvSC_SI_RKT3_T4_EUlifE_EEvlNS_15PhiloxCudaStateESH_SI_
                                        ; -- End function
	.section	.AMDGPU.csdata,"",@progbits
; Kernel info:
; codeLenInByte = 2944
; NumSgprs: 25
; NumVgprs: 45
; ScratchSize: 0
; MemoryBound: 0
; FloatMode: 240
; IeeeMode: 1
; LDSByteSize: 0 bytes/workgroup (compile time only)
; SGPRBlocks: 3
; VGPRBlocks: 5
; NumSGPRsForWavesPerEU: 25
; NumVGPRsForWavesPerEU: 45
; Occupancy: 16
; WaveLimiterHint : 0
; COMPUTE_PGM_RSRC2:SCRATCH_EN: 0
; COMPUTE_PGM_RSRC2:USER_SGPR: 15
; COMPUTE_PGM_RSRC2:TRAP_HANDLER: 0
; COMPUTE_PGM_RSRC2:TGID_X_EN: 1
; COMPUTE_PGM_RSRC2:TGID_Y_EN: 0
; COMPUTE_PGM_RSRC2:TGID_Z_EN: 0
; COMPUTE_PGM_RSRC2:TIDIG_COMP_CNT: 0
	.section	.text._ZN2at6native12_GLOBAL__N_143distribution_elementwise_grid_stride_kernelIfLi4EZNS0_9templates4cuda21uniform_and_transformIN3c104HalfEfPNS_17CUDAGeneratorImplEZZZNS4_16bernoulli_kernelIS9_EEvRNS_18TensorIteratorBaseEdT_ENKUlvE_clEvENKUlvE6_clEvEUlfE_EEvSC_T1_T2_EUlP25hiprandStatePhilox4_32_10E0_ZNS1_27distribution_nullary_kernelIS7_f15HIP_vector_typeIfLj4EES9_SL_SG_EEvSC_SI_RKT3_T4_EUlifE0_EEvlNS_15PhiloxCudaStateESH_SI_,"axG",@progbits,_ZN2at6native12_GLOBAL__N_143distribution_elementwise_grid_stride_kernelIfLi4EZNS0_9templates4cuda21uniform_and_transformIN3c104HalfEfPNS_17CUDAGeneratorImplEZZZNS4_16bernoulli_kernelIS9_EEvRNS_18TensorIteratorBaseEdT_ENKUlvE_clEvENKUlvE6_clEvEUlfE_EEvSC_T1_T2_EUlP25hiprandStatePhilox4_32_10E0_ZNS1_27distribution_nullary_kernelIS7_f15HIP_vector_typeIfLj4EES9_SL_SG_EEvSC_SI_RKT3_T4_EUlifE0_EEvlNS_15PhiloxCudaStateESH_SI_,comdat
	.globl	_ZN2at6native12_GLOBAL__N_143distribution_elementwise_grid_stride_kernelIfLi4EZNS0_9templates4cuda21uniform_and_transformIN3c104HalfEfPNS_17CUDAGeneratorImplEZZZNS4_16bernoulli_kernelIS9_EEvRNS_18TensorIteratorBaseEdT_ENKUlvE_clEvENKUlvE6_clEvEUlfE_EEvSC_T1_T2_EUlP25hiprandStatePhilox4_32_10E0_ZNS1_27distribution_nullary_kernelIS7_f15HIP_vector_typeIfLj4EES9_SL_SG_EEvSC_SI_RKT3_T4_EUlifE0_EEvlNS_15PhiloxCudaStateESH_SI_ ; -- Begin function _ZN2at6native12_GLOBAL__N_143distribution_elementwise_grid_stride_kernelIfLi4EZNS0_9templates4cuda21uniform_and_transformIN3c104HalfEfPNS_17CUDAGeneratorImplEZZZNS4_16bernoulli_kernelIS9_EEvRNS_18TensorIteratorBaseEdT_ENKUlvE_clEvENKUlvE6_clEvEUlfE_EEvSC_T1_T2_EUlP25hiprandStatePhilox4_32_10E0_ZNS1_27distribution_nullary_kernelIS7_f15HIP_vector_typeIfLj4EES9_SL_SG_EEvSC_SI_RKT3_T4_EUlifE0_EEvlNS_15PhiloxCudaStateESH_SI_
	.p2align	8
	.type	_ZN2at6native12_GLOBAL__N_143distribution_elementwise_grid_stride_kernelIfLi4EZNS0_9templates4cuda21uniform_and_transformIN3c104HalfEfPNS_17CUDAGeneratorImplEZZZNS4_16bernoulli_kernelIS9_EEvRNS_18TensorIteratorBaseEdT_ENKUlvE_clEvENKUlvE6_clEvEUlfE_EEvSC_T1_T2_EUlP25hiprandStatePhilox4_32_10E0_ZNS1_27distribution_nullary_kernelIS7_f15HIP_vector_typeIfLj4EES9_SL_SG_EEvSC_SI_RKT3_T4_EUlifE0_EEvlNS_15PhiloxCudaStateESH_SI_,@function
_ZN2at6native12_GLOBAL__N_143distribution_elementwise_grid_stride_kernelIfLi4EZNS0_9templates4cuda21uniform_and_transformIN3c104HalfEfPNS_17CUDAGeneratorImplEZZZNS4_16bernoulli_kernelIS9_EEvRNS_18TensorIteratorBaseEdT_ENKUlvE_clEvENKUlvE6_clEvEUlfE_EEvSC_T1_T2_EUlP25hiprandStatePhilox4_32_10E0_ZNS1_27distribution_nullary_kernelIS7_f15HIP_vector_typeIfLj4EES9_SL_SG_EEvSC_SI_RKT3_T4_EUlifE0_EEvlNS_15PhiloxCudaStateESH_SI_: ; @_ZN2at6native12_GLOBAL__N_143distribution_elementwise_grid_stride_kernelIfLi4EZNS0_9templates4cuda21uniform_and_transformIN3c104HalfEfPNS_17CUDAGeneratorImplEZZZNS4_16bernoulli_kernelIS9_EEvRNS_18TensorIteratorBaseEdT_ENKUlvE_clEvENKUlvE6_clEvEUlfE_EEvSC_T1_T2_EUlP25hiprandStatePhilox4_32_10E0_ZNS1_27distribution_nullary_kernelIS7_f15HIP_vector_typeIfLj4EES9_SL_SG_EEvSC_SI_RKT3_T4_EUlifE0_EEvlNS_15PhiloxCudaStateESH_SI_
; %bb.0:
	s_clause 0x2
	s_load_b64 s[4:5], s[0:1], 0x10
	s_load_b128 s[16:19], s[0:1], 0x0
	s_load_b32 s2, s[0:1], 0x20
	s_waitcnt lgkmcnt(0)
	v_dual_mov_b32 v2, s4 :: v_dual_mov_b32 v3, s5
	v_dual_mov_b32 v11, s18 :: v_dual_mov_b32 v12, s19
	s_bitcmp0_b32 s2, 0
	s_mov_b32 s2, 0
	s_cbranch_scc1 .LBB152_2
; %bb.1:
	v_dual_mov_b32 v1, s4 :: v_dual_mov_b32 v2, s5
	v_dual_mov_b32 v4, s18 :: v_dual_mov_b32 v5, s19
	s_load_b64 s[4:5], s[0:1], 0x18
	flat_load_b64 v[2:3], v[1:2]
	flat_load_b64 v[11:12], v[4:5]
	s_waitcnt vmcnt(1) lgkmcnt(0)
	v_add_co_u32 v2, vcc_lo, v2, s4
	v_add_co_ci_u32_e32 v3, vcc_lo, s5, v3, vcc_lo
.LBB152_2:
	s_clause 0x1
	s_load_b32 s3, s[0:1], 0x154
	s_load_b32 s4, s[0:1], 0x148
	s_waitcnt lgkmcnt(0)
	s_and_b32 s5, s3, 0xffff
	s_add_u32 s6, s16, -1
	s_mul_i32 s24, s4, s5
	s_addc_u32 s3, s17, -1
	s_lshl_b32 s25, s24, 2
	s_cmp_lg_u64 s[2:3], 0
	s_cbranch_scc0 .LBB152_79
; %bb.3:
	v_cvt_f32_ubyte0_e32 v1, 0
	v_cvt_f32_u32_e32 v4, s25
	s_sub_u32 s8, 0, s25
	s_subb_u32 s9, 0, 0
	s_delay_alu instid0(VALU_DEP_1) | instskip(NEXT) | instid1(VALU_DEP_1)
	v_fmamk_f32 v1, v1, 0x4f800000, v4
	v_rcp_f32_e32 v1, v1
	s_waitcnt_depctr 0xfff
	v_mul_f32_e32 v1, 0x5f7ffffc, v1
	s_delay_alu instid0(VALU_DEP_1) | instskip(NEXT) | instid1(VALU_DEP_1)
	v_mul_f32_e32 v4, 0x2f800000, v1
	v_trunc_f32_e32 v4, v4
	s_delay_alu instid0(VALU_DEP_1) | instskip(SKIP_1) | instid1(VALU_DEP_2)
	v_fmamk_f32 v1, v4, 0xcf800000, v1
	v_cvt_u32_f32_e32 v4, v4
	v_cvt_u32_f32_e32 v1, v1
	s_delay_alu instid0(VALU_DEP_2) | instskip(NEXT) | instid1(VALU_DEP_2)
	v_readfirstlane_b32 s2, v4
	v_readfirstlane_b32 s7, v1
	s_delay_alu instid0(VALU_DEP_2) | instskip(NEXT) | instid1(VALU_DEP_1)
	s_mul_i32 s10, s8, s2
	s_mul_hi_u32 s12, s8, s7
	s_mul_i32 s11, s9, s7
	s_add_i32 s10, s12, s10
	s_mul_i32 s13, s8, s7
	s_add_i32 s10, s10, s11
	s_mul_hi_u32 s12, s7, s13
	s_mul_hi_u32 s14, s2, s13
	s_mul_i32 s11, s2, s13
	s_mul_hi_u32 s13, s7, s10
	s_mul_i32 s7, s7, s10
	s_mul_hi_u32 s18, s2, s10
	s_add_u32 s7, s12, s7
	s_addc_u32 s12, 0, s13
	s_add_u32 s7, s7, s11
	s_mul_i32 s10, s2, s10
	s_addc_u32 s7, s12, s14
	s_addc_u32 s11, s18, 0
	s_add_u32 s7, s7, s10
	s_addc_u32 s10, 0, s11
	v_add_co_u32 v1, s7, v1, s7
	s_delay_alu instid0(VALU_DEP_1) | instskip(SKIP_1) | instid1(VALU_DEP_1)
	s_cmp_lg_u32 s7, 0
	s_addc_u32 s2, s2, s10
	v_readfirstlane_b32 s7, v1
	s_mul_i32 s10, s8, s2
	s_delay_alu instid0(VALU_DEP_1)
	s_mul_hi_u32 s11, s8, s7
	s_mul_i32 s9, s9, s7
	s_add_i32 s10, s11, s10
	s_mul_i32 s8, s8, s7
	s_add_i32 s10, s10, s9
	s_mul_hi_u32 s11, s2, s8
	s_mul_i32 s12, s2, s8
	s_mul_hi_u32 s8, s7, s8
	s_mul_hi_u32 s13, s7, s10
	s_mul_i32 s7, s7, s10
	s_mul_hi_u32 s9, s2, s10
	s_add_u32 s7, s8, s7
	s_addc_u32 s8, 0, s13
	s_add_u32 s7, s7, s12
	s_mul_i32 s10, s2, s10
	s_addc_u32 s7, s8, s11
	s_addc_u32 s8, s9, 0
	s_add_u32 s7, s7, s10
	s_addc_u32 s8, 0, s8
	v_add_co_u32 v1, s7, v1, s7
	s_delay_alu instid0(VALU_DEP_1) | instskip(SKIP_2) | instid1(VALU_DEP_1)
	s_cmp_lg_u32 s7, 0
	s_addc_u32 s7, s2, s8
	s_ashr_i32 s8, s3, 31
	v_readfirstlane_b32 s10, v1
	s_add_u32 s2, s6, s8
	s_mov_b32 s9, s8
	s_addc_u32 s3, s3, s8
	s_delay_alu instid0(SALU_CYCLE_1) | instskip(NEXT) | instid1(SALU_CYCLE_1)
	s_xor_b64 s[2:3], s[2:3], s[8:9]
	s_mul_i32 s12, s2, s7
	s_mul_hi_u32 s13, s2, s10
	s_mul_hi_u32 s11, s2, s7
	;; [unrolled: 1-line block ×3, first 2 shown]
	s_mul_i32 s10, s3, s10
	s_add_u32 s12, s13, s12
	s_addc_u32 s11, 0, s11
	s_mul_hi_u32 s14, s3, s7
	s_add_u32 s10, s12, s10
	s_mul_i32 s7, s3, s7
	s_addc_u32 s10, s11, s18
	s_addc_u32 s11, s14, 0
	s_add_u32 s7, s10, s7
	s_addc_u32 s10, 0, s11
	s_mul_i32 s12, s25, s7
	s_add_u32 s11, s7, 1
	v_sub_co_u32 v1, s2, s2, s12
	s_mul_hi_u32 s12, s25, s7
	s_addc_u32 s13, s10, 0
	s_mul_i32 s14, s25, s10
	s_delay_alu instid0(VALU_DEP_1)
	v_sub_co_u32 v4, s18, v1, s25
	s_add_u32 s19, s7, 2
	s_addc_u32 s20, s10, 0
	s_add_i32 s12, s12, s14
	s_cmp_lg_u32 s2, 0
	v_readfirstlane_b32 s2, v4
	s_subb_u32 s3, s3, s12
	s_cmp_lg_u32 s18, 0
	s_subb_u32 s12, s3, 0
	s_delay_alu instid0(VALU_DEP_1) | instskip(SKIP_4) | instid1(SALU_CYCLE_1)
	s_cmp_ge_u32 s2, s25
	s_cselect_b32 s2, -1, 0
	s_cmp_eq_u32 s12, 0
	v_readfirstlane_b32 s12, v1
	s_cselect_b32 s2, s2, -1
	s_cmp_lg_u32 s2, 0
	s_cselect_b32 s2, s19, s11
	s_cselect_b32 s11, s20, s13
	s_cmp_ge_u32 s12, s25
	s_cselect_b32 s12, -1, 0
	s_cmp_eq_u32 s3, 0
	s_cselect_b32 s3, s12, -1
	s_delay_alu instid0(SALU_CYCLE_1) | instskip(SKIP_2) | instid1(SALU_CYCLE_1)
	s_cmp_lg_u32 s3, 0
	s_cselect_b32 s3, s11, s10
	s_cselect_b32 s2, s2, s7
	s_xor_b64 s[2:3], s[2:3], s[8:9]
	s_delay_alu instid0(SALU_CYCLE_1)
	s_sub_u32 s2, s2, s8
	s_subb_u32 s3, s3, s8
	s_cbranch_execnz .LBB152_5
.LBB152_4:
	v_cvt_f32_u32_e32 v1, s25
	s_sub_i32 s3, 0, s25
	s_delay_alu instid0(VALU_DEP_1) | instskip(SKIP_2) | instid1(VALU_DEP_1)
	v_rcp_iflag_f32_e32 v1, v1
	s_waitcnt_depctr 0xfff
	v_mul_f32_e32 v1, 0x4f7ffffe, v1
	v_cvt_u32_f32_e32 v1, v1
	s_delay_alu instid0(VALU_DEP_1) | instskip(NEXT) | instid1(VALU_DEP_1)
	v_readfirstlane_b32 s2, v1
	s_mul_i32 s3, s3, s2
	s_delay_alu instid0(SALU_CYCLE_1) | instskip(NEXT) | instid1(SALU_CYCLE_1)
	s_mul_hi_u32 s3, s2, s3
	s_add_i32 s2, s2, s3
	s_delay_alu instid0(SALU_CYCLE_1) | instskip(NEXT) | instid1(SALU_CYCLE_1)
	s_mul_hi_u32 s2, s6, s2
	s_mul_i32 s3, s2, s25
	s_delay_alu instid0(SALU_CYCLE_1)
	s_sub_i32 s3, s6, s3
	s_add_i32 s6, s2, 1
	s_sub_i32 s7, s3, s25
	s_cmp_ge_u32 s3, s25
	s_cselect_b32 s2, s6, s2
	s_cselect_b32 s3, s7, s3
	s_add_i32 s6, s2, 1
	s_cmp_ge_u32 s3, s25
	s_mov_b32 s3, 0
	s_cselect_b32 s2, s6, s2
.LBB152_5:
	v_mov_b32_e32 v1, 0
	s_add_u32 s2, s2, 1
	s_addc_u32 s3, s3, 0
	s_mul_hi_u32 s6, s24, s2
	s_mul_i32 s3, s24, s3
	v_mad_u64_u32 v[13:14], null, s5, s15, v[0:1]
	s_mul_hi_u32 s4, s4, s5
	s_add_i32 s3, s6, s3
	s_mul_i32 s4, s4, s2
	s_mul_i32 s2, s24, s2
	s_add_i32 s3, s3, s4
	s_mov_b32 s4, exec_lo
	s_lshl_b64 s[2:3], s[2:3], 2
	s_delay_alu instid0(SALU_CYCLE_1)
	v_cmpx_gt_i64_e64 s[2:3], v[13:14]
	s_cbranch_execz .LBB152_78
; %bb.6:
	v_alignbit_b32 v17, v3, v2, 2
	v_mad_u64_u32 v[4:5], null, 0xcd9e8d57, v13, 0
	v_lshrrev_b32_e32 v18, 2, v3
	s_waitcnt vmcnt(0)
	v_dual_mov_b32 v9, v12 :: v_dual_add_nc_u32 v28, 0x8ff34781, v11
	v_mad_u64_u32 v[0:1], null, 0xd2511f53, v17, 0
	v_add_co_u32 v20, null, 0x9e3779b9, v11
	v_xor3_b32 v3, v11, v5, v18
	s_delay_alu instid0(VALU_DEP_4) | instskip(SKIP_2) | instid1(VALU_DEP_4)
	v_add_co_u32 v19, null, 0xbb67ae85, v9
	v_add_co_u32 v21, null, 0x3c6ef372, v11
	v_xor_b32_e32 v1, v1, v12
	v_mad_u64_u32 v[5:6], null, 0xd2511f53, v3, 0
	v_add_co_u32 v22, null, 0x76cf5d0a, v9
	s_delay_alu instid0(VALU_DEP_3) | instskip(SKIP_2) | instid1(VALU_DEP_3)
	v_xor_b32_e32 v1, v1, v14
	v_add_co_u32 v23, null, 0x32370b8f, v9
	v_add_co_u32 v24, null, 0xdaa66d2b, v11
	v_mad_u64_u32 v[7:8], null, 0xcd9e8d57, v1, 0
	v_xor3_b32 v3, v19, v6, v0
	v_dual_mov_b32 v36, v13 :: v_dual_and_b32 v25, 3, v2
	v_add_co_u32 v26, null, 0x78dde6e4, v11
	s_delay_alu instid0(VALU_DEP_3) | instskip(SKIP_3) | instid1(VALU_DEP_3)
	v_mad_u64_u32 v[0:1], null, 0xcd9e8d57, v3, 0
	v_xor3_b32 v6, v20, v8, v4
	v_add_co_u32 v27, null, 0xed9eba14, v9
	v_add_co_u32 v31, null, 0xa9066899, v9
	v_mad_u64_u32 v[3:4], null, 0xd2511f53, v6, 0
	v_xor3_b32 v1, v21, v1, v7
	v_add_co_u32 v32, null, 0x1715609d, v11
	s_clause 0x1
	s_load_b64 s[20:21], s[0:1], 0xf4
	s_load_b128 s[12:15], s[0:1], 0x138
	v_add_co_u32 v33, null, 0xb54cda56, v11
	s_delay_alu instid0(VALU_DEP_4) | instskip(SKIP_2) | instid1(VALU_DEP_3)
	v_xor3_b32 v8, v22, v4, v5
	v_mad_u64_u32 v[4:5], null, 0xd2511f53, v1, 0
	v_add_co_u32 v34, null, 0x646e171e, v9
	v_mad_u64_u32 v[6:7], null, 0xcd9e8d57, v8, 0
	s_load_b256 s[4:11], s[0:1], 0x30
	v_add_co_u32 v30, null, 0x5384540f, v11
	s_delay_alu instid0(VALU_DEP_4) | instskip(SKIP_1) | instid1(VALU_DEP_4)
	v_xor3_b32 v3, v23, v5, v3
	v_add_co_u32 v37, null, 0x1fd5c5a3, v9
	v_xor3_b32 v5, v24, v7, v0
	v_add_co_u32 v35, null, 0xf1bbcdc8, v11
	s_delay_alu instid0(VALU_DEP_4) | instskip(NEXT) | instid1(VALU_DEP_3)
	v_mad_u64_u32 v[0:1], null, 0xcd9e8d57, v3, 0
	v_mad_u64_u32 v[2:3], null, 0xd2511f53, v5, 0
	s_waitcnt lgkmcnt(0)
	v_cvt_f32_f64_e32 v38, s[14:15]
	v_add_co_u32 v39, null, 0xdb3d7428, v9
	s_add_u32 s18, s0, 48
	s_delay_alu instid0(VALU_DEP_4) | instskip(SKIP_1) | instid1(VALU_DEP_4)
	v_xor3_b32 v1, v26, v1, v6
	s_addc_u32 s19, s1, 0
	v_xor3_b32 v7, v27, v3, v4
	s_add_i32 s22, s4, -1
	v_dual_mov_b32 v40, v14 :: v_dual_add_nc_u32 v29, 0x96a522ad, v12
	v_mad_u64_u32 v[3:4], null, 0xd2511f53, v1, 0
	s_delay_alu instid0(VALU_DEP_3) | instskip(SKIP_4) | instid1(VALU_DEP_2)
	v_mad_u64_u32 v[5:6], null, 0xcd9e8d57, v7, 0
	s_cmp_gt_u32 s22, 1
	s_mov_b32 s26, 0
	s_cselect_b32 s11, -1, 0
	s_cmp_lg_u32 s4, 0
	v_xor3_b32 v2, v31, v4, v2
	s_cselect_b32 s27, -1, 0
	s_delay_alu instid0(VALU_DEP_2) | instskip(SKIP_3) | instid1(VALU_DEP_2)
	v_xor3_b32 v4, v32, v6, v0
	s_add_u32 s0, s0, 0xf4
	s_addc_u32 s1, s1, 0
	v_mad_u64_u32 v[0:1], null, 0xcd9e8d57, v2, 0
	v_mad_u64_u32 v[6:7], null, 0xd2511f53, v4, 0
	s_min_u32 s14, s22, 15
	s_cmp_gt_u32 s4, 1
	s_mul_i32 s33, s24, 3
	s_cselect_b32 s4, -1, 0
	s_delay_alu instid0(VALU_DEP_2) | instskip(SKIP_1) | instid1(VALU_DEP_2)
	v_xor3_b32 v4, v33, v1, v5
	s_add_i32 s14, s14, 1
	v_xor3_b32 v5, v34, v7, v3
	s_lshl_b32 s28, s24, 1
	s_and_b32 s29, s14, 3
	v_mad_u64_u32 v[1:2], null, 0xd2511f53, v4, 0
	s_delay_alu instid0(VALU_DEP_2) | instskip(SKIP_3) | instid1(VALU_DEP_2)
	v_mad_u64_u32 v[3:4], null, 0xcd9e8d57, v5, 0
	s_cmp_lg_u32 s22, 2
	s_cselect_b32 s30, -1, 0
	s_and_b32 s31, s14, 28
	v_xor3_b32 v2, v37, v2, v6
	s_cmp_lg_u32 s29, 0
	s_delay_alu instid0(VALU_DEP_2) | instskip(SKIP_1) | instid1(VALU_DEP_2)
	v_xor3_b32 v0, v30, v4, v0
	s_cselect_b32 s34, -1, 0
	v_mad_u64_u32 v[4:5], null, 0xcd9e8d57, v2, 0
	s_delay_alu instid0(VALU_DEP_2) | instskip(NEXT) | instid1(VALU_DEP_2)
	v_mad_u64_u32 v[6:7], null, 0xd2511f53, v0, 0
	v_xor3_b32 v0, v35, v5, v3
	s_delay_alu instid0(VALU_DEP_2) | instskip(NEXT) | instid1(VALU_DEP_2)
	v_xor3_b32 v3, v39, v7, v1
	v_mad_u64_u32 v[7:8], null, 0xd2511f53, v0, 0
	s_delay_alu instid0(VALU_DEP_2) | instskip(NEXT) | instid1(VALU_DEP_2)
	v_mad_u64_u32 v[1:2], null, 0xcd9e8d57, v3, 0
	v_mov_b32_e32 v3, v7
	s_delay_alu instid0(VALU_DEP_2) | instskip(NEXT) | instid1(VALU_DEP_4)
	v_xor3_b32 v0, v2, v4, v28
	v_xor3_b32 v2, v8, v6, v29
	s_branch .LBB152_9
.LBB152_7:                              ;   in Loop: Header=BB152_9 Depth=1
	v_cvt_f32_u32_e32 v0, v3
	s_delay_alu instid0(VALU_DEP_1) | instskip(NEXT) | instid1(VALU_DEP_1)
	v_fmaak_f32 v0, 0x2f800000, v0, 0x2f800000
	v_cmp_lt_f32_e32 vcc_lo, v0, v38
	v_cndmask_b32_e64 v0, 0, 0x3c00, vcc_lo
	global_store_b16 v1, v0, s[12:13]
.LBB152_8:                              ;   in Loop: Header=BB152_9 Depth=1
	s_or_b32 exec_lo, exec_lo, s35
	v_add_co_u32 v13, vcc_lo, v13, s25
	v_add_co_ci_u32_e32 v14, vcc_lo, 0, v14, vcc_lo
	v_mov_b32_e32 v7, v15
	v_dual_mov_b32 v0, v4 :: v_dual_mov_b32 v1, v5
	s_delay_alu instid0(VALU_DEP_3) | instskip(NEXT) | instid1(VALU_DEP_3)
	v_cmp_le_i64_e32 vcc_lo, s[2:3], v[13:14]
	v_dual_mov_b32 v2, v6 :: v_dual_mov_b32 v3, v7
	s_waitcnt_vscnt null, 0x0
	s_barrier
	buffer_gl0_inv
	s_or_b32 s26, vcc_lo, s26
	s_delay_alu instid0(SALU_CYCLE_1)
	s_and_not1_b32 exec_lo, exec_lo, s26
	s_cbranch_execz .LBB152_78
.LBB152_9:                              ; =>This Loop Header: Depth=1
                                        ;     Child Loop BB152_24 Depth 2
                                        ;     Child Loop BB152_29 Depth 2
	;; [unrolled: 1-line block ×8, first 2 shown]
	v_add_co_u32 v17, vcc_lo, v17, 1
	s_delay_alu instid0(VALU_DEP_1) | instskip(SKIP_2) | instid1(VALU_DEP_1)
	v_cndmask_b32_e64 v4, 0, 1, vcc_lo
	v_add_co_ci_u32_e32 v18, vcc_lo, 0, v18, vcc_lo
	s_mov_b32 s14, exec_lo
	v_cmp_eq_u32_e32 vcc_lo, 0, v18
	s_delay_alu instid0(VALU_DEP_3) | instskip(NEXT) | instid1(VALU_DEP_1)
	v_cndmask_b32_e32 v4, 0, v4, vcc_lo
	v_add_nc_u32_e32 v36, v4, v36
	s_delay_alu instid0(VALU_DEP_1) | instskip(SKIP_2) | instid1(VALU_DEP_2)
	v_cmp_eq_u32_e32 vcc_lo, 0, v36
	v_mad_u64_u32 v[6:7], null, 0xcd9e8d57, v36, 0
	v_cndmask_b32_e32 v4, 0, v4, vcc_lo
	v_xor3_b32 v9, v7, v11, v18
	s_delay_alu instid0(VALU_DEP_2) | instskip(SKIP_1) | instid1(VALU_DEP_3)
	v_add_nc_u32_e32 v40, v4, v40
	v_mad_u64_u32 v[4:5], null, 0xd2511f53, v17, 0
	v_mad_u64_u32 v[7:8], null, 0xd2511f53, v9, 0
	s_delay_alu instid0(VALU_DEP_2) | instskip(NEXT) | instid1(VALU_DEP_2)
	v_xor_b32_e32 v5, v5, v12
	v_xor3_b32 v8, v19, v8, v4
	s_delay_alu instid0(VALU_DEP_2) | instskip(NEXT) | instid1(VALU_DEP_1)
	v_xor_b32_e32 v5, v40, v5
	v_mad_u64_u32 v[9:10], null, 0xcd9e8d57, v5, 0
	s_delay_alu instid0(VALU_DEP_3) | instskip(NEXT) | instid1(VALU_DEP_2)
	v_mad_u64_u32 v[4:5], null, 0xcd9e8d57, v8, 0
	v_xor3_b32 v6, v20, v10, v6
	s_delay_alu instid0(VALU_DEP_2) | instskip(NEXT) | instid1(VALU_DEP_2)
	v_xor3_b32 v8, v21, v5, v9
	v_mad_u64_u32 v[15:16], null, 0xd2511f53, v6, 0
	s_delay_alu instid0(VALU_DEP_2) | instskip(NEXT) | instid1(VALU_DEP_2)
	v_mad_u64_u32 v[5:6], null, 0xd2511f53, v8, 0
	v_xor3_b32 v9, v22, v16, v7
	s_delay_alu instid0(VALU_DEP_2) | instskip(NEXT) | instid1(VALU_DEP_2)
	v_xor3_b32 v6, v23, v6, v15
	v_mad_u64_u32 v[7:8], null, 0xcd9e8d57, v9, 0
	s_delay_alu instid0(VALU_DEP_1) | instskip(NEXT) | instid1(VALU_DEP_3)
	v_xor3_b32 v4, v24, v8, v4
	v_mad_u64_u32 v[8:9], null, 0xcd9e8d57, v6, 0
	s_delay_alu instid0(VALU_DEP_2) | instskip(NEXT) | instid1(VALU_DEP_2)
	v_mad_u64_u32 v[15:16], null, 0xd2511f53, v4, 0
	v_xor3_b32 v6, v26, v9, v7
	s_delay_alu instid0(VALU_DEP_2) | instskip(NEXT) | instid1(VALU_DEP_2)
	v_xor3_b32 v9, v27, v16, v5
	v_mad_u64_u32 v[4:5], null, 0xd2511f53, v6, 0
	s_delay_alu instid0(VALU_DEP_2) | instskip(NEXT) | instid1(VALU_DEP_2)
	v_mad_u64_u32 v[6:7], null, 0xcd9e8d57, v9, 0
	v_xor3_b32 v5, v31, v5, v15
	s_delay_alu instid0(VALU_DEP_2) | instskip(NEXT) | instid1(VALU_DEP_2)
	v_xor3_b32 v15, v32, v7, v8
	v_mad_u64_u32 v[7:8], null, 0xcd9e8d57, v5, 0
	s_delay_alu instid0(VALU_DEP_2) | instskip(NEXT) | instid1(VALU_DEP_2)
	v_mad_u64_u32 v[9:10], null, 0xd2511f53, v15, 0
	v_xor3_b32 v6, v33, v8, v6
	s_delay_alu instid0(VALU_DEP_2) | instskip(NEXT) | instid1(VALU_DEP_2)
	v_xor3_b32 v8, v34, v10, v4
	v_mad_u64_u32 v[4:5], null, 0xd2511f53, v6, 0
	s_delay_alu instid0(VALU_DEP_2) | instskip(NEXT) | instid1(VALU_DEP_2)
	v_mad_u64_u32 v[15:16], null, 0xcd9e8d57, v8, 0
	v_xor3_b32 v5, v37, v5, v9
	s_delay_alu instid0(VALU_DEP_2) | instskip(NEXT) | instid1(VALU_DEP_2)
	v_xor3_b32 v6, v30, v16, v7
	v_mad_u64_u32 v[7:8], null, 0xcd9e8d57, v5, 0
	s_delay_alu instid0(VALU_DEP_2) | instskip(NEXT) | instid1(VALU_DEP_2)
	v_mad_u64_u32 v[9:10], null, 0xd2511f53, v6, 0
	v_xor3_b32 v5, v35, v8, v15
	s_delay_alu instid0(VALU_DEP_2) | instskip(NEXT) | instid1(VALU_DEP_2)
	v_xor3_b32 v4, v39, v10, v4
	v_mad_u64_u32 v[15:16], null, 0xd2511f53, v5, 0
	s_delay_alu instid0(VALU_DEP_2) | instskip(NEXT) | instid1(VALU_DEP_2)
	v_mad_u64_u32 v[5:6], null, 0xcd9e8d57, v4, 0
	v_xor3_b32 v10, v16, v9, v29
	s_delay_alu instid0(VALU_DEP_2) | instskip(NEXT) | instid1(VALU_DEP_2)
	v_xor3_b32 v4, v6, v7, v28
	v_mov_b32_e32 v6, v10
	v_cmpx_lt_i32_e32 1, v25
	s_xor_b32 s14, exec_lo, s14
	s_cbranch_execnz .LBB152_12
; %bb.10:                               ;   in Loop: Header=BB152_9 Depth=1
	s_and_not1_saveexec_b32 s14, s14
	s_cbranch_execnz .LBB152_17
.LBB152_11:                             ;   in Loop: Header=BB152_9 Depth=1
	s_or_b32 exec_lo, exec_lo, s14
	s_delay_alu instid0(SALU_CYCLE_1)
	s_mov_b32 s35, exec_lo
	v_cmpx_gt_i64_e64 s[16:17], v[13:14]
	s_cbranch_execnz .LBB152_20
	s_branch .LBB152_34
.LBB152_12:                             ;   in Loop: Header=BB152_9 Depth=1
	s_mov_b32 s15, exec_lo
	v_cmpx_lt_i32_e32 2, v25
	s_xor_b32 s15, exec_lo, s15
; %bb.13:                               ;   in Loop: Header=BB152_9 Depth=1
	v_dual_mov_b32 v7, v3 :: v_dual_mov_b32 v8, v4
	v_mov_b32_e32 v9, v5
	s_delay_alu instid0(VALU_DEP_2) | instskip(NEXT) | instid1(VALU_DEP_2)
	v_dual_mov_b32 v0, v7 :: v_dual_mov_b32 v1, v8
	v_dual_mov_b32 v2, v9 :: v_dual_mov_b32 v3, v10
; %bb.14:                               ;   in Loop: Header=BB152_9 Depth=1
	s_and_not1_saveexec_b32 s15, s15
; %bb.15:                               ;   in Loop: Header=BB152_9 Depth=1
	s_delay_alu instid0(VALU_DEP_1)
	v_dual_mov_b32 v0, v2 :: v_dual_mov_b32 v1, v3
	v_dual_mov_b32 v2, v4 :: v_dual_mov_b32 v3, v5
; %bb.16:                               ;   in Loop: Header=BB152_9 Depth=1
	s_or_b32 exec_lo, exec_lo, s15
	s_and_not1_saveexec_b32 s14, s14
	s_cbranch_execz .LBB152_11
.LBB152_17:                             ;   in Loop: Header=BB152_9 Depth=1
	s_mov_b32 s15, exec_lo
	v_cmpx_eq_u32_e32 1, v25
; %bb.18:                               ;   in Loop: Header=BB152_9 Depth=1
	v_dual_mov_b32 v0, v1 :: v_dual_mov_b32 v1, v2
	v_dual_mov_b32 v2, v3 :: v_dual_mov_b32 v3, v4
; %bb.19:                               ;   in Loop: Header=BB152_9 Depth=1
	s_or_b32 exec_lo, exec_lo, s15
	s_delay_alu instid0(SALU_CYCLE_1) | instskip(NEXT) | instid1(SALU_CYCLE_1)
	s_or_b32 exec_lo, exec_lo, s14
	s_mov_b32 s35, exec_lo
	v_cmpx_gt_i64_e64 s[16:17], v[13:14]
	s_cbranch_execz .LBB152_34
.LBB152_20:                             ;   in Loop: Header=BB152_9 Depth=1
	s_and_not1_b32 vcc_lo, exec_lo, s11
	s_cbranch_vccnz .LBB152_26
; %bb.21:                               ;   in Loop: Header=BB152_9 Depth=1
	v_mov_b32_e32 v7, 0
	s_and_not1_b32 vcc_lo, exec_lo, s27
	s_cbranch_vccnz .LBB152_30
; %bb.22:                               ;   in Loop: Header=BB152_9 Depth=1
	s_and_not1_b32 vcc_lo, exec_lo, s30
	s_mov_b32 s14, 0
	s_cbranch_vccnz .LBB152_27
; %bb.23:                               ;   in Loop: Header=BB152_9 Depth=1
	v_dual_mov_b32 v7, 0 :: v_dual_mov_b32 v8, v13
	s_mov_b32 s36, 0
	s_mov_b64 s[14:15], s[18:19]
	s_mov_b64 s[22:23], s[0:1]
.LBB152_24:                             ;   Parent Loop BB152_9 Depth=1
                                        ; =>  This Inner Loop Header: Depth=2
	s_clause 0x1
	s_load_b256 s[40:47], s[14:15], 0x4
	s_load_b128 s[48:51], s[14:15], 0x24
	s_load_b128 s[52:55], s[22:23], 0x0
	s_add_u32 s14, s14, 48
	s_addc_u32 s15, s15, 0
	s_add_i32 s36, s36, 4
	s_add_u32 s22, s22, 16
	s_addc_u32 s23, s23, 0
	s_cmp_lg_u32 s31, s36
	s_waitcnt lgkmcnt(0)
	v_mul_hi_u32 v9, s41, v8
	s_delay_alu instid0(VALU_DEP_1) | instskip(NEXT) | instid1(VALU_DEP_1)
	v_add_nc_u32_e32 v9, v8, v9
	v_lshrrev_b32_e32 v9, s42, v9
	s_delay_alu instid0(VALU_DEP_1) | instskip(SKIP_1) | instid1(VALU_DEP_2)
	v_mul_hi_u32 v10, s44, v9
	v_mul_lo_u32 v42, v9, s40
	v_add_nc_u32_e32 v10, v9, v10
	s_delay_alu instid0(VALU_DEP_2) | instskip(NEXT) | instid1(VALU_DEP_2)
	v_sub_nc_u32_e32 v42, v8, v42
	v_lshrrev_b32_e32 v10, s45, v10
	s_delay_alu instid0(VALU_DEP_2) | instskip(NEXT) | instid1(VALU_DEP_2)
	v_mul_lo_u32 v42, v42, s52
	v_mul_hi_u32 v16, s47, v10
	v_mul_lo_u32 v43, v10, s43
	s_delay_alu instid0(VALU_DEP_2) | instskip(NEXT) | instid1(VALU_DEP_2)
	v_add_nc_u32_e32 v16, v10, v16
	v_sub_nc_u32_e32 v9, v9, v43
	s_delay_alu instid0(VALU_DEP_2) | instskip(NEXT) | instid1(VALU_DEP_2)
	v_lshrrev_b32_e32 v16, s48, v16
	v_mul_lo_u32 v9, v9, s53
	s_delay_alu instid0(VALU_DEP_2) | instskip(NEXT) | instid1(VALU_DEP_2)
	v_mul_hi_u32 v41, s50, v16
	v_add3_u32 v7, v42, v7, v9
	s_delay_alu instid0(VALU_DEP_2) | instskip(NEXT) | instid1(VALU_DEP_1)
	v_add_nc_u32_e32 v41, v16, v41
	v_lshrrev_b32_e32 v8, s51, v41
	v_mul_lo_u32 v41, v16, s46
	s_delay_alu instid0(VALU_DEP_2) | instskip(NEXT) | instid1(VALU_DEP_2)
	v_mul_lo_u32 v44, v8, s49
	v_sub_nc_u32_e32 v10, v10, v41
	s_delay_alu instid0(VALU_DEP_2) | instskip(NEXT) | instid1(VALU_DEP_2)
	v_sub_nc_u32_e32 v16, v16, v44
	v_mul_lo_u32 v10, v10, s54
	s_delay_alu instid0(VALU_DEP_2) | instskip(NEXT) | instid1(VALU_DEP_1)
	v_mul_lo_u32 v16, v16, s55
	v_add3_u32 v7, v10, v7, v16
	s_cbranch_scc1 .LBB152_24
; %bb.25:                               ;   in Loop: Header=BB152_9 Depth=1
	s_mov_b32 s14, s31
	s_and_not1_b32 vcc_lo, exec_lo, s34
	s_cbranch_vccz .LBB152_28
	s_branch .LBB152_30
.LBB152_26:                             ;   in Loop: Header=BB152_9 Depth=1
                                        ; implicit-def: $vgpr7
	s_branch .LBB152_31
.LBB152_27:                             ;   in Loop: Header=BB152_9 Depth=1
	v_mov_b32_e32 v8, v13
	s_and_not1_b32 vcc_lo, exec_lo, s34
	s_cbranch_vccnz .LBB152_30
.LBB152_28:                             ;   in Loop: Header=BB152_9 Depth=1
	s_lshl_b32 s15, s14, 2
	s_mul_i32 s22, s14, 12
	s_add_u32 s14, s0, s15
	s_addc_u32 s15, s1, 0
	s_add_u32 s22, s18, s22
	s_addc_u32 s23, s19, 0
	s_mov_b32 s36, s29
	.p2align	6
.LBB152_29:                             ;   Parent Loop BB152_9 Depth=1
                                        ; =>  This Inner Loop Header: Depth=2
	s_clause 0x1
	s_load_b64 s[38:39], s[22:23], 0x4
	s_load_b32 s37, s[22:23], 0xc
	s_add_u32 s22, s22, 12
	s_addc_u32 s23, s23, 0
	s_waitcnt lgkmcnt(0)
	v_mul_hi_u32 v9, s39, v8
	s_load_b32 s39, s[14:15], 0x0
	s_add_u32 s14, s14, 4
	s_addc_u32 s15, s15, 0
	s_add_i32 s36, s36, -1
	s_delay_alu instid0(SALU_CYCLE_1) | instskip(NEXT) | instid1(VALU_DEP_1)
	s_cmp_lg_u32 s36, 0
	v_add_nc_u32_e32 v9, v8, v9
	s_delay_alu instid0(VALU_DEP_1) | instskip(NEXT) | instid1(VALU_DEP_1)
	v_lshrrev_b32_e32 v16, s37, v9
	v_mul_lo_u32 v9, v16, s38
	s_delay_alu instid0(VALU_DEP_1) | instskip(SKIP_1) | instid1(VALU_DEP_1)
	v_sub_nc_u32_e32 v8, v8, v9
	s_waitcnt lgkmcnt(0)
	v_mad_u64_u32 v[9:10], null, v8, s39, v[7:8]
	s_delay_alu instid0(VALU_DEP_1)
	v_dual_mov_b32 v8, v16 :: v_dual_mov_b32 v7, v9
	s_cbranch_scc1 .LBB152_29
.LBB152_30:                             ;   in Loop: Header=BB152_9 Depth=1
	s_cbranch_execnz .LBB152_33
.LBB152_31:                             ;   in Loop: Header=BB152_9 Depth=1
	v_mul_hi_u32 v7, v13, s6
	s_and_not1_b32 vcc_lo, exec_lo, s4
	s_delay_alu instid0(VALU_DEP_1) | instskip(NEXT) | instid1(VALU_DEP_1)
	v_add_nc_u32_e32 v7, v7, v13
	v_lshrrev_b32_e32 v8, s7, v7
	s_delay_alu instid0(VALU_DEP_1) | instskip(NEXT) | instid1(VALU_DEP_1)
	v_mul_lo_u32 v7, v8, s5
	v_sub_nc_u32_e32 v7, v13, v7
	s_delay_alu instid0(VALU_DEP_1)
	v_mul_lo_u32 v7, v7, s20
	s_cbranch_vccnz .LBB152_33
; %bb.32:                               ;   in Loop: Header=BB152_9 Depth=1
	v_mul_hi_u32 v9, s9, v8
	s_delay_alu instid0(VALU_DEP_1) | instskip(NEXT) | instid1(VALU_DEP_1)
	v_add_nc_u32_e32 v9, v8, v9
	v_lshrrev_b32_e32 v9, s10, v9
	s_delay_alu instid0(VALU_DEP_1) | instskip(NEXT) | instid1(VALU_DEP_1)
	v_mul_lo_u32 v9, v9, s8
	v_sub_nc_u32_e32 v10, v8, v9
	s_delay_alu instid0(VALU_DEP_1) | instskip(NEXT) | instid1(VALU_DEP_1)
	v_mad_u64_u32 v[8:9], null, v10, s21, v[7:8]
	v_mov_b32_e32 v7, v8
.LBB152_33:                             ;   in Loop: Header=BB152_9 Depth=1
	v_cvt_f32_u32_e32 v0, v0
	s_delay_alu instid0(VALU_DEP_1) | instskip(NEXT) | instid1(VALU_DEP_1)
	v_fmaak_f32 v0, 0x2f800000, v0, 0x2f800000
	v_cmp_lt_f32_e32 vcc_lo, v0, v38
	v_cndmask_b32_e64 v0, 0, 0x3c00, vcc_lo
	global_store_b16 v7, v0, s[12:13]
.LBB152_34:                             ;   in Loop: Header=BB152_9 Depth=1
	s_or_b32 exec_lo, exec_lo, s35
	v_add_co_u32 v7, vcc_lo, v13, s24
	v_add_co_ci_u32_e32 v8, vcc_lo, 0, v14, vcc_lo
	s_mov_b32 s35, exec_lo
	s_delay_alu instid0(VALU_DEP_1)
	v_cmpx_gt_i64_e64 s[16:17], v[7:8]
	s_cbranch_execz .LBB152_49
; %bb.35:                               ;   in Loop: Header=BB152_9 Depth=1
	s_and_not1_b32 vcc_lo, exec_lo, s11
	s_cbranch_vccnz .LBB152_41
; %bb.36:                               ;   in Loop: Header=BB152_9 Depth=1
	v_mov_b32_e32 v0, 0
	s_and_not1_b32 vcc_lo, exec_lo, s27
	s_cbranch_vccnz .LBB152_45
; %bb.37:                               ;   in Loop: Header=BB152_9 Depth=1
	s_and_not1_b32 vcc_lo, exec_lo, s30
	s_mov_b32 s14, 0
	s_cbranch_vccnz .LBB152_42
; %bb.38:                               ;   in Loop: Header=BB152_9 Depth=1
	v_mov_b32_e32 v0, 0
	v_mov_b32_e32 v8, v7
	s_mov_b32 s36, 0
	s_mov_b64 s[14:15], s[18:19]
	s_mov_b64 s[22:23], s[0:1]
.LBB152_39:                             ;   Parent Loop BB152_9 Depth=1
                                        ; =>  This Inner Loop Header: Depth=2
	s_clause 0x1
	s_load_b256 s[40:47], s[14:15], 0x4
	s_load_b128 s[48:51], s[14:15], 0x24
	s_load_b128 s[52:55], s[22:23], 0x0
	s_add_u32 s14, s14, 48
	s_addc_u32 s15, s15, 0
	s_add_i32 s36, s36, 4
	s_add_u32 s22, s22, 16
	s_addc_u32 s23, s23, 0
	s_cmp_eq_u32 s31, s36
	s_waitcnt lgkmcnt(0)
	v_mul_hi_u32 v9, s41, v8
	s_delay_alu instid0(VALU_DEP_1) | instskip(NEXT) | instid1(VALU_DEP_1)
	v_add_nc_u32_e32 v9, v8, v9
	v_lshrrev_b32_e32 v9, s42, v9
	s_delay_alu instid0(VALU_DEP_1) | instskip(SKIP_1) | instid1(VALU_DEP_2)
	v_mul_hi_u32 v10, s44, v9
	v_mul_lo_u32 v42, v9, s40
	v_add_nc_u32_e32 v10, v9, v10
	s_delay_alu instid0(VALU_DEP_2) | instskip(NEXT) | instid1(VALU_DEP_2)
	v_sub_nc_u32_e32 v42, v8, v42
	v_lshrrev_b32_e32 v10, s45, v10
	s_delay_alu instid0(VALU_DEP_2) | instskip(NEXT) | instid1(VALU_DEP_2)
	v_mul_lo_u32 v42, v42, s52
	v_mul_hi_u32 v16, s47, v10
	v_mul_lo_u32 v43, v10, s43
	s_delay_alu instid0(VALU_DEP_2) | instskip(NEXT) | instid1(VALU_DEP_2)
	v_add_nc_u32_e32 v16, v10, v16
	v_sub_nc_u32_e32 v9, v9, v43
	s_delay_alu instid0(VALU_DEP_2) | instskip(NEXT) | instid1(VALU_DEP_2)
	v_lshrrev_b32_e32 v16, s48, v16
	v_mul_lo_u32 v9, v9, s53
	s_delay_alu instid0(VALU_DEP_2) | instskip(NEXT) | instid1(VALU_DEP_2)
	v_mul_hi_u32 v41, s50, v16
	v_add3_u32 v0, v42, v0, v9
	s_delay_alu instid0(VALU_DEP_2) | instskip(NEXT) | instid1(VALU_DEP_1)
	v_add_nc_u32_e32 v41, v16, v41
	v_lshrrev_b32_e32 v8, s51, v41
	v_mul_lo_u32 v41, v16, s46
	s_delay_alu instid0(VALU_DEP_2) | instskip(NEXT) | instid1(VALU_DEP_2)
	v_mul_lo_u32 v44, v8, s49
	v_sub_nc_u32_e32 v10, v10, v41
	s_delay_alu instid0(VALU_DEP_2) | instskip(NEXT) | instid1(VALU_DEP_2)
	v_sub_nc_u32_e32 v16, v16, v44
	v_mul_lo_u32 v10, v10, s54
	s_delay_alu instid0(VALU_DEP_2) | instskip(NEXT) | instid1(VALU_DEP_1)
	v_mul_lo_u32 v16, v16, s55
	v_add3_u32 v0, v10, v0, v16
	s_cbranch_scc0 .LBB152_39
; %bb.40:                               ;   in Loop: Header=BB152_9 Depth=1
	s_mov_b32 s14, s31
	s_and_not1_b32 vcc_lo, exec_lo, s34
	s_cbranch_vccz .LBB152_43
	s_branch .LBB152_45
.LBB152_41:                             ;   in Loop: Header=BB152_9 Depth=1
                                        ; implicit-def: $vgpr0
	s_branch .LBB152_46
.LBB152_42:                             ;   in Loop: Header=BB152_9 Depth=1
	v_mov_b32_e32 v8, v7
	s_and_not1_b32 vcc_lo, exec_lo, s34
	s_cbranch_vccnz .LBB152_45
.LBB152_43:                             ;   in Loop: Header=BB152_9 Depth=1
	s_lshl_b32 s15, s14, 2
	s_mul_i32 s22, s14, 12
	s_add_u32 s14, s0, s15
	s_addc_u32 s15, s1, 0
	s_add_u32 s22, s18, s22
	s_addc_u32 s23, s19, 0
	s_mov_b32 s36, s29
	.p2align	6
.LBB152_44:                             ;   Parent Loop BB152_9 Depth=1
                                        ; =>  This Inner Loop Header: Depth=2
	s_clause 0x1
	s_load_b64 s[38:39], s[22:23], 0x4
	s_load_b32 s37, s[22:23], 0xc
	s_add_u32 s22, s22, 12
	s_addc_u32 s23, s23, 0
	s_waitcnt lgkmcnt(0)
	v_mul_hi_u32 v9, s39, v8
	s_load_b32 s39, s[14:15], 0x0
	s_add_u32 s14, s14, 4
	s_addc_u32 s15, s15, 0
	s_add_i32 s36, s36, -1
	s_delay_alu instid0(SALU_CYCLE_1) | instskip(NEXT) | instid1(VALU_DEP_1)
	s_cmp_lg_u32 s36, 0
	v_add_nc_u32_e32 v9, v8, v9
	s_delay_alu instid0(VALU_DEP_1) | instskip(NEXT) | instid1(VALU_DEP_1)
	v_lshrrev_b32_e32 v16, s37, v9
	v_mul_lo_u32 v9, v16, s38
	s_delay_alu instid0(VALU_DEP_1) | instskip(SKIP_1) | instid1(VALU_DEP_1)
	v_sub_nc_u32_e32 v8, v8, v9
	s_waitcnt lgkmcnt(0)
	v_mad_u64_u32 v[9:10], null, v8, s39, v[0:1]
	v_mov_b32_e32 v8, v16
	s_delay_alu instid0(VALU_DEP_2)
	v_mov_b32_e32 v0, v9
	s_cbranch_scc1 .LBB152_44
.LBB152_45:                             ;   in Loop: Header=BB152_9 Depth=1
	s_cbranch_execnz .LBB152_48
.LBB152_46:                             ;   in Loop: Header=BB152_9 Depth=1
	v_mul_hi_u32 v0, v7, s6
	s_and_not1_b32 vcc_lo, exec_lo, s4
	s_delay_alu instid0(VALU_DEP_1) | instskip(NEXT) | instid1(VALU_DEP_1)
	v_add_nc_u32_e32 v0, v0, v7
	v_lshrrev_b32_e32 v8, s7, v0
	s_delay_alu instid0(VALU_DEP_1) | instskip(NEXT) | instid1(VALU_DEP_1)
	v_mul_lo_u32 v0, v8, s5
	v_sub_nc_u32_e32 v0, v7, v0
	s_delay_alu instid0(VALU_DEP_1)
	v_mul_lo_u32 v0, v0, s20
	s_cbranch_vccnz .LBB152_48
; %bb.47:                               ;   in Loop: Header=BB152_9 Depth=1
	v_mul_hi_u32 v7, s9, v8
	s_delay_alu instid0(VALU_DEP_1) | instskip(NEXT) | instid1(VALU_DEP_1)
	v_add_nc_u32_e32 v7, v8, v7
	v_lshrrev_b32_e32 v7, s10, v7
	s_delay_alu instid0(VALU_DEP_1) | instskip(NEXT) | instid1(VALU_DEP_1)
	v_mul_lo_u32 v7, v7, s8
	v_sub_nc_u32_e32 v9, v8, v7
	s_delay_alu instid0(VALU_DEP_1) | instskip(NEXT) | instid1(VALU_DEP_1)
	v_mad_u64_u32 v[7:8], null, v9, s21, v[0:1]
	v_mov_b32_e32 v0, v7
.LBB152_48:                             ;   in Loop: Header=BB152_9 Depth=1
	v_cvt_f32_u32_e32 v1, v1
	s_delay_alu instid0(VALU_DEP_1) | instskip(NEXT) | instid1(VALU_DEP_1)
	v_fmaak_f32 v1, 0x2f800000, v1, 0x2f800000
	v_cmp_lt_f32_e32 vcc_lo, v1, v38
	v_cndmask_b32_e64 v1, 0, 0x3c00, vcc_lo
	global_store_b16 v0, v1, s[12:13]
.LBB152_49:                             ;   in Loop: Header=BB152_9 Depth=1
	s_or_b32 exec_lo, exec_lo, s35
	v_add_co_u32 v0, vcc_lo, v13, s28
	v_add_co_ci_u32_e32 v1, vcc_lo, 0, v14, vcc_lo
	s_mov_b32 s35, exec_lo
	s_delay_alu instid0(VALU_DEP_1)
	v_cmpx_gt_i64_e64 s[16:17], v[0:1]
	s_cbranch_execz .LBB152_64
; %bb.50:                               ;   in Loop: Header=BB152_9 Depth=1
	s_and_not1_b32 vcc_lo, exec_lo, s11
	s_cbranch_vccnz .LBB152_56
; %bb.51:                               ;   in Loop: Header=BB152_9 Depth=1
	v_mov_b32_e32 v1, 0
	s_and_not1_b32 vcc_lo, exec_lo, s27
	s_cbranch_vccnz .LBB152_60
; %bb.52:                               ;   in Loop: Header=BB152_9 Depth=1
	s_and_not1_b32 vcc_lo, exec_lo, s30
	s_mov_b32 s14, 0
	s_cbranch_vccnz .LBB152_57
; %bb.53:                               ;   in Loop: Header=BB152_9 Depth=1
	v_mov_b32_e32 v1, 0
	v_mov_b32_e32 v7, v0
	s_mov_b32 s36, 0
	s_mov_b64 s[14:15], s[18:19]
	s_mov_b64 s[22:23], s[0:1]
.LBB152_54:                             ;   Parent Loop BB152_9 Depth=1
                                        ; =>  This Inner Loop Header: Depth=2
	s_clause 0x1
	s_load_b256 s[40:47], s[14:15], 0x4
	s_load_b128 s[48:51], s[14:15], 0x24
	s_load_b128 s[52:55], s[22:23], 0x0
	s_add_u32 s14, s14, 48
	s_addc_u32 s15, s15, 0
	s_add_i32 s36, s36, 4
	s_add_u32 s22, s22, 16
	s_addc_u32 s23, s23, 0
	s_cmp_eq_u32 s31, s36
	s_waitcnt lgkmcnt(0)
	v_mul_hi_u32 v8, s41, v7
	s_delay_alu instid0(VALU_DEP_1) | instskip(NEXT) | instid1(VALU_DEP_1)
	v_add_nc_u32_e32 v8, v7, v8
	v_lshrrev_b32_e32 v8, s42, v8
	s_delay_alu instid0(VALU_DEP_1) | instskip(SKIP_1) | instid1(VALU_DEP_2)
	v_mul_hi_u32 v9, s44, v8
	v_mul_lo_u32 v41, v8, s40
	v_add_nc_u32_e32 v9, v8, v9
	s_delay_alu instid0(VALU_DEP_2) | instskip(NEXT) | instid1(VALU_DEP_2)
	v_sub_nc_u32_e32 v41, v7, v41
	v_lshrrev_b32_e32 v9, s45, v9
	s_delay_alu instid0(VALU_DEP_2) | instskip(NEXT) | instid1(VALU_DEP_2)
	v_mul_lo_u32 v41, v41, s52
	v_mul_hi_u32 v10, s47, v9
	v_mul_lo_u32 v42, v9, s43
	s_delay_alu instid0(VALU_DEP_2) | instskip(NEXT) | instid1(VALU_DEP_2)
	v_add_nc_u32_e32 v10, v9, v10
	v_sub_nc_u32_e32 v8, v8, v42
	s_delay_alu instid0(VALU_DEP_2) | instskip(NEXT) | instid1(VALU_DEP_2)
	v_lshrrev_b32_e32 v10, s48, v10
	v_mul_lo_u32 v8, v8, s53
	s_delay_alu instid0(VALU_DEP_2) | instskip(NEXT) | instid1(VALU_DEP_2)
	v_mul_hi_u32 v16, s50, v10
	v_add3_u32 v1, v41, v1, v8
	s_delay_alu instid0(VALU_DEP_2) | instskip(NEXT) | instid1(VALU_DEP_1)
	v_add_nc_u32_e32 v16, v10, v16
	v_lshrrev_b32_e32 v7, s51, v16
	v_mul_lo_u32 v16, v10, s46
	s_delay_alu instid0(VALU_DEP_2) | instskip(NEXT) | instid1(VALU_DEP_2)
	v_mul_lo_u32 v43, v7, s49
	v_sub_nc_u32_e32 v9, v9, v16
	s_delay_alu instid0(VALU_DEP_2) | instskip(NEXT) | instid1(VALU_DEP_2)
	v_sub_nc_u32_e32 v10, v10, v43
	v_mul_lo_u32 v9, v9, s54
	s_delay_alu instid0(VALU_DEP_2) | instskip(NEXT) | instid1(VALU_DEP_1)
	v_mul_lo_u32 v10, v10, s55
	v_add3_u32 v1, v9, v1, v10
	s_cbranch_scc0 .LBB152_54
; %bb.55:                               ;   in Loop: Header=BB152_9 Depth=1
	s_mov_b32 s14, s31
	s_and_not1_b32 vcc_lo, exec_lo, s34
	s_cbranch_vccz .LBB152_58
	s_branch .LBB152_60
.LBB152_56:                             ;   in Loop: Header=BB152_9 Depth=1
                                        ; implicit-def: $vgpr1
	s_branch .LBB152_61
.LBB152_57:                             ;   in Loop: Header=BB152_9 Depth=1
	v_mov_b32_e32 v7, v0
	s_and_not1_b32 vcc_lo, exec_lo, s34
	s_cbranch_vccnz .LBB152_60
.LBB152_58:                             ;   in Loop: Header=BB152_9 Depth=1
	s_lshl_b32 s15, s14, 2
	s_mul_i32 s22, s14, 12
	s_add_u32 s14, s0, s15
	s_addc_u32 s15, s1, 0
	s_add_u32 s22, s18, s22
	s_addc_u32 s23, s19, 0
	s_mov_b32 s36, s29
	.p2align	6
.LBB152_59:                             ;   Parent Loop BB152_9 Depth=1
                                        ; =>  This Inner Loop Header: Depth=2
	s_clause 0x1
	s_load_b64 s[38:39], s[22:23], 0x4
	s_load_b32 s37, s[22:23], 0xc
	s_add_u32 s22, s22, 12
	s_addc_u32 s23, s23, 0
	s_waitcnt lgkmcnt(0)
	v_mul_hi_u32 v8, s39, v7
	s_load_b32 s39, s[14:15], 0x0
	s_add_u32 s14, s14, 4
	s_addc_u32 s15, s15, 0
	s_add_i32 s36, s36, -1
	s_delay_alu instid0(SALU_CYCLE_1) | instskip(NEXT) | instid1(VALU_DEP_1)
	s_cmp_lg_u32 s36, 0
	v_add_nc_u32_e32 v8, v7, v8
	s_delay_alu instid0(VALU_DEP_1) | instskip(NEXT) | instid1(VALU_DEP_1)
	v_lshrrev_b32_e32 v10, s37, v8
	v_mul_lo_u32 v8, v10, s38
	s_delay_alu instid0(VALU_DEP_1) | instskip(SKIP_1) | instid1(VALU_DEP_1)
	v_sub_nc_u32_e32 v7, v7, v8
	s_waitcnt lgkmcnt(0)
	v_mad_u64_u32 v[8:9], null, v7, s39, v[1:2]
	v_mov_b32_e32 v7, v10
	s_delay_alu instid0(VALU_DEP_2)
	v_mov_b32_e32 v1, v8
	s_cbranch_scc1 .LBB152_59
.LBB152_60:                             ;   in Loop: Header=BB152_9 Depth=1
	s_cbranch_execnz .LBB152_63
.LBB152_61:                             ;   in Loop: Header=BB152_9 Depth=1
	v_mul_hi_u32 v1, v0, s6
	s_and_not1_b32 vcc_lo, exec_lo, s4
	s_delay_alu instid0(VALU_DEP_1) | instskip(NEXT) | instid1(VALU_DEP_1)
	v_add_nc_u32_e32 v1, v1, v0
	v_lshrrev_b32_e32 v7, s7, v1
	s_delay_alu instid0(VALU_DEP_1) | instskip(NEXT) | instid1(VALU_DEP_1)
	v_mul_lo_u32 v1, v7, s5
	v_sub_nc_u32_e32 v0, v0, v1
	s_delay_alu instid0(VALU_DEP_1)
	v_mul_lo_u32 v1, v0, s20
	s_cbranch_vccnz .LBB152_63
; %bb.62:                               ;   in Loop: Header=BB152_9 Depth=1
	v_mul_hi_u32 v0, s9, v7
	s_delay_alu instid0(VALU_DEP_1) | instskip(NEXT) | instid1(VALU_DEP_1)
	v_add_nc_u32_e32 v0, v7, v0
	v_lshrrev_b32_e32 v0, s10, v0
	s_delay_alu instid0(VALU_DEP_1) | instskip(NEXT) | instid1(VALU_DEP_1)
	v_mul_lo_u32 v0, v0, s8
	v_sub_nc_u32_e32 v0, v7, v0
	s_delay_alu instid0(VALU_DEP_1) | instskip(NEXT) | instid1(VALU_DEP_1)
	v_mad_u64_u32 v[7:8], null, v0, s21, v[1:2]
	v_mov_b32_e32 v1, v7
.LBB152_63:                             ;   in Loop: Header=BB152_9 Depth=1
	v_cvt_f32_u32_e32 v0, v2
	s_delay_alu instid0(VALU_DEP_1) | instskip(NEXT) | instid1(VALU_DEP_1)
	v_fmaak_f32 v0, 0x2f800000, v0, 0x2f800000
	v_cmp_lt_f32_e32 vcc_lo, v0, v38
	v_cndmask_b32_e64 v0, 0, 0x3c00, vcc_lo
	global_store_b16 v1, v0, s[12:13]
.LBB152_64:                             ;   in Loop: Header=BB152_9 Depth=1
	s_or_b32 exec_lo, exec_lo, s35
	v_add_co_u32 v0, vcc_lo, v13, s33
	v_add_co_ci_u32_e32 v1, vcc_lo, 0, v14, vcc_lo
	s_mov_b32 s35, exec_lo
	s_delay_alu instid0(VALU_DEP_1)
	v_cmpx_gt_i64_e64 s[16:17], v[0:1]
	s_cbranch_execz .LBB152_8
; %bb.65:                               ;   in Loop: Header=BB152_9 Depth=1
	s_and_not1_b32 vcc_lo, exec_lo, s11
	s_cbranch_vccnz .LBB152_71
; %bb.66:                               ;   in Loop: Header=BB152_9 Depth=1
	v_mov_b32_e32 v1, 0
	s_and_not1_b32 vcc_lo, exec_lo, s27
	s_cbranch_vccnz .LBB152_75
; %bb.67:                               ;   in Loop: Header=BB152_9 Depth=1
	s_and_not1_b32 vcc_lo, exec_lo, s30
	s_mov_b32 s14, 0
	s_cbranch_vccnz .LBB152_72
; %bb.68:                               ;   in Loop: Header=BB152_9 Depth=1
	v_dual_mov_b32 v1, 0 :: v_dual_mov_b32 v2, v0
	s_mov_b32 s36, 0
	s_mov_b64 s[14:15], s[18:19]
	s_mov_b64 s[22:23], s[0:1]
.LBB152_69:                             ;   Parent Loop BB152_9 Depth=1
                                        ; =>  This Inner Loop Header: Depth=2
	s_clause 0x1
	s_load_b256 s[40:47], s[14:15], 0x4
	s_load_b128 s[48:51], s[14:15], 0x24
	s_load_b128 s[52:55], s[22:23], 0x0
	s_add_u32 s14, s14, 48
	s_addc_u32 s15, s15, 0
	s_add_i32 s36, s36, 4
	s_add_u32 s22, s22, 16
	s_addc_u32 s23, s23, 0
	s_cmp_eq_u32 s31, s36
	s_waitcnt lgkmcnt(0)
	v_mul_hi_u32 v7, s41, v2
	s_delay_alu instid0(VALU_DEP_1) | instskip(NEXT) | instid1(VALU_DEP_1)
	v_add_nc_u32_e32 v7, v2, v7
	v_lshrrev_b32_e32 v7, s42, v7
	s_delay_alu instid0(VALU_DEP_1) | instskip(SKIP_1) | instid1(VALU_DEP_2)
	v_mul_hi_u32 v8, s44, v7
	v_mul_lo_u32 v16, v7, s40
	v_add_nc_u32_e32 v8, v7, v8
	s_delay_alu instid0(VALU_DEP_2) | instskip(NEXT) | instid1(VALU_DEP_2)
	v_sub_nc_u32_e32 v16, v2, v16
	v_lshrrev_b32_e32 v8, s45, v8
	s_delay_alu instid0(VALU_DEP_2) | instskip(NEXT) | instid1(VALU_DEP_2)
	v_mul_lo_u32 v16, v16, s52
	v_mul_hi_u32 v9, s47, v8
	v_mul_lo_u32 v41, v8, s43
	s_delay_alu instid0(VALU_DEP_2) | instskip(NEXT) | instid1(VALU_DEP_2)
	v_add_nc_u32_e32 v9, v8, v9
	v_sub_nc_u32_e32 v7, v7, v41
	s_delay_alu instid0(VALU_DEP_2) | instskip(NEXT) | instid1(VALU_DEP_2)
	v_lshrrev_b32_e32 v9, s48, v9
	v_mul_lo_u32 v7, v7, s53
	s_delay_alu instid0(VALU_DEP_2) | instskip(NEXT) | instid1(VALU_DEP_2)
	v_mul_hi_u32 v10, s50, v9
	v_add3_u32 v1, v16, v1, v7
	s_delay_alu instid0(VALU_DEP_2) | instskip(NEXT) | instid1(VALU_DEP_1)
	v_add_nc_u32_e32 v10, v9, v10
	v_lshrrev_b32_e32 v2, s51, v10
	v_mul_lo_u32 v10, v9, s46
	s_delay_alu instid0(VALU_DEP_2) | instskip(NEXT) | instid1(VALU_DEP_2)
	v_mul_lo_u32 v42, v2, s49
	v_sub_nc_u32_e32 v8, v8, v10
	s_delay_alu instid0(VALU_DEP_2) | instskip(NEXT) | instid1(VALU_DEP_2)
	v_sub_nc_u32_e32 v9, v9, v42
	v_mul_lo_u32 v8, v8, s54
	s_delay_alu instid0(VALU_DEP_2) | instskip(NEXT) | instid1(VALU_DEP_1)
	v_mul_lo_u32 v9, v9, s55
	v_add3_u32 v1, v8, v1, v9
	s_cbranch_scc0 .LBB152_69
; %bb.70:                               ;   in Loop: Header=BB152_9 Depth=1
	s_mov_b32 s14, s31
	s_and_not1_b32 vcc_lo, exec_lo, s34
	s_cbranch_vccz .LBB152_73
	s_branch .LBB152_75
.LBB152_71:                             ;   in Loop: Header=BB152_9 Depth=1
                                        ; implicit-def: $vgpr1
	s_branch .LBB152_76
.LBB152_72:                             ;   in Loop: Header=BB152_9 Depth=1
	v_mov_b32_e32 v2, v0
	s_and_not1_b32 vcc_lo, exec_lo, s34
	s_cbranch_vccnz .LBB152_75
.LBB152_73:                             ;   in Loop: Header=BB152_9 Depth=1
	s_lshl_b32 s15, s14, 2
	s_mul_i32 s22, s14, 12
	s_add_u32 s14, s0, s15
	s_addc_u32 s15, s1, 0
	s_add_u32 s22, s18, s22
	s_addc_u32 s23, s19, 0
	s_mov_b32 s36, s29
	.p2align	6
.LBB152_74:                             ;   Parent Loop BB152_9 Depth=1
                                        ; =>  This Inner Loop Header: Depth=2
	s_clause 0x1
	s_load_b64 s[38:39], s[22:23], 0x4
	s_load_b32 s37, s[22:23], 0xc
	s_add_u32 s22, s22, 12
	s_addc_u32 s23, s23, 0
	s_waitcnt lgkmcnt(0)
	v_mul_hi_u32 v7, s39, v2
	s_load_b32 s39, s[14:15], 0x0
	s_add_u32 s14, s14, 4
	s_addc_u32 s15, s15, 0
	s_add_i32 s36, s36, -1
	s_delay_alu instid0(SALU_CYCLE_1) | instskip(NEXT) | instid1(VALU_DEP_1)
	s_cmp_lg_u32 s36, 0
	v_add_nc_u32_e32 v7, v2, v7
	s_delay_alu instid0(VALU_DEP_1) | instskip(NEXT) | instid1(VALU_DEP_1)
	v_lshrrev_b32_e32 v9, s37, v7
	v_mul_lo_u32 v7, v9, s38
	s_delay_alu instid0(VALU_DEP_1) | instskip(SKIP_1) | instid1(VALU_DEP_1)
	v_sub_nc_u32_e32 v2, v2, v7
	s_waitcnt lgkmcnt(0)
	v_mad_u64_u32 v[7:8], null, v2, s39, v[1:2]
	s_delay_alu instid0(VALU_DEP_1)
	v_dual_mov_b32 v2, v9 :: v_dual_mov_b32 v1, v7
	s_cbranch_scc1 .LBB152_74
.LBB152_75:                             ;   in Loop: Header=BB152_9 Depth=1
	s_cbranch_execnz .LBB152_7
.LBB152_76:                             ;   in Loop: Header=BB152_9 Depth=1
	v_mul_hi_u32 v1, v0, s6
	s_and_not1_b32 vcc_lo, exec_lo, s4
	s_delay_alu instid0(VALU_DEP_1) | instskip(NEXT) | instid1(VALU_DEP_1)
	v_add_nc_u32_e32 v1, v1, v0
	v_lshrrev_b32_e32 v2, s7, v1
	s_delay_alu instid0(VALU_DEP_1) | instskip(NEXT) | instid1(VALU_DEP_1)
	v_mul_lo_u32 v1, v2, s5
	v_sub_nc_u32_e32 v0, v0, v1
	s_delay_alu instid0(VALU_DEP_1)
	v_mul_lo_u32 v1, v0, s20
	s_cbranch_vccnz .LBB152_7
; %bb.77:                               ;   in Loop: Header=BB152_9 Depth=1
	v_mul_hi_u32 v0, s9, v2
	s_delay_alu instid0(VALU_DEP_1) | instskip(NEXT) | instid1(VALU_DEP_1)
	v_add_nc_u32_e32 v0, v2, v0
	v_lshrrev_b32_e32 v0, s10, v0
	s_delay_alu instid0(VALU_DEP_1) | instskip(NEXT) | instid1(VALU_DEP_1)
	v_mul_lo_u32 v0, v0, s8
	v_sub_nc_u32_e32 v0, v2, v0
	s_delay_alu instid0(VALU_DEP_1) | instskip(NEXT) | instid1(VALU_DEP_1)
	v_mad_u64_u32 v[7:8], null, v0, s21, v[1:2]
	v_mov_b32_e32 v1, v7
	s_branch .LBB152_7
.LBB152_78:
	s_endpgm
.LBB152_79:
                                        ; implicit-def: $sgpr2_sgpr3
	s_branch .LBB152_4
	.section	.rodata,"a",@progbits
	.p2align	6, 0x0
	.amdhsa_kernel _ZN2at6native12_GLOBAL__N_143distribution_elementwise_grid_stride_kernelIfLi4EZNS0_9templates4cuda21uniform_and_transformIN3c104HalfEfPNS_17CUDAGeneratorImplEZZZNS4_16bernoulli_kernelIS9_EEvRNS_18TensorIteratorBaseEdT_ENKUlvE_clEvENKUlvE6_clEvEUlfE_EEvSC_T1_T2_EUlP25hiprandStatePhilox4_32_10E0_ZNS1_27distribution_nullary_kernelIS7_f15HIP_vector_typeIfLj4EES9_SL_SG_EEvSC_SI_RKT3_T4_EUlifE0_EEvlNS_15PhiloxCudaStateESH_SI_
		.amdhsa_group_segment_fixed_size 0
		.amdhsa_private_segment_fixed_size 0
		.amdhsa_kernarg_size 584
		.amdhsa_user_sgpr_count 15
		.amdhsa_user_sgpr_dispatch_ptr 0
		.amdhsa_user_sgpr_queue_ptr 0
		.amdhsa_user_sgpr_kernarg_segment_ptr 1
		.amdhsa_user_sgpr_dispatch_id 0
		.amdhsa_user_sgpr_private_segment_size 0
		.amdhsa_wavefront_size32 1
		.amdhsa_uses_dynamic_stack 0
		.amdhsa_enable_private_segment 0
		.amdhsa_system_sgpr_workgroup_id_x 1
		.amdhsa_system_sgpr_workgroup_id_y 0
		.amdhsa_system_sgpr_workgroup_id_z 0
		.amdhsa_system_sgpr_workgroup_info 0
		.amdhsa_system_vgpr_workitem_id 0
		.amdhsa_next_free_vgpr 45
		.amdhsa_next_free_sgpr 56
		.amdhsa_reserve_vcc 1
		.amdhsa_float_round_mode_32 0
		.amdhsa_float_round_mode_16_64 0
		.amdhsa_float_denorm_mode_32 3
		.amdhsa_float_denorm_mode_16_64 3
		.amdhsa_dx10_clamp 1
		.amdhsa_ieee_mode 1
		.amdhsa_fp16_overflow 0
		.amdhsa_workgroup_processor_mode 1
		.amdhsa_memory_ordered 1
		.amdhsa_forward_progress 0
		.amdhsa_shared_vgpr_count 0
		.amdhsa_exception_fp_ieee_invalid_op 0
		.amdhsa_exception_fp_denorm_src 0
		.amdhsa_exception_fp_ieee_div_zero 0
		.amdhsa_exception_fp_ieee_overflow 0
		.amdhsa_exception_fp_ieee_underflow 0
		.amdhsa_exception_fp_ieee_inexact 0
		.amdhsa_exception_int_div_zero 0
	.end_amdhsa_kernel
	.section	.text._ZN2at6native12_GLOBAL__N_143distribution_elementwise_grid_stride_kernelIfLi4EZNS0_9templates4cuda21uniform_and_transformIN3c104HalfEfPNS_17CUDAGeneratorImplEZZZNS4_16bernoulli_kernelIS9_EEvRNS_18TensorIteratorBaseEdT_ENKUlvE_clEvENKUlvE6_clEvEUlfE_EEvSC_T1_T2_EUlP25hiprandStatePhilox4_32_10E0_ZNS1_27distribution_nullary_kernelIS7_f15HIP_vector_typeIfLj4EES9_SL_SG_EEvSC_SI_RKT3_T4_EUlifE0_EEvlNS_15PhiloxCudaStateESH_SI_,"axG",@progbits,_ZN2at6native12_GLOBAL__N_143distribution_elementwise_grid_stride_kernelIfLi4EZNS0_9templates4cuda21uniform_and_transformIN3c104HalfEfPNS_17CUDAGeneratorImplEZZZNS4_16bernoulli_kernelIS9_EEvRNS_18TensorIteratorBaseEdT_ENKUlvE_clEvENKUlvE6_clEvEUlfE_EEvSC_T1_T2_EUlP25hiprandStatePhilox4_32_10E0_ZNS1_27distribution_nullary_kernelIS7_f15HIP_vector_typeIfLj4EES9_SL_SG_EEvSC_SI_RKT3_T4_EUlifE0_EEvlNS_15PhiloxCudaStateESH_SI_,comdat
.Lfunc_end152:
	.size	_ZN2at6native12_GLOBAL__N_143distribution_elementwise_grid_stride_kernelIfLi4EZNS0_9templates4cuda21uniform_and_transformIN3c104HalfEfPNS_17CUDAGeneratorImplEZZZNS4_16bernoulli_kernelIS9_EEvRNS_18TensorIteratorBaseEdT_ENKUlvE_clEvENKUlvE6_clEvEUlfE_EEvSC_T1_T2_EUlP25hiprandStatePhilox4_32_10E0_ZNS1_27distribution_nullary_kernelIS7_f15HIP_vector_typeIfLj4EES9_SL_SG_EEvSC_SI_RKT3_T4_EUlifE0_EEvlNS_15PhiloxCudaStateESH_SI_, .Lfunc_end152-_ZN2at6native12_GLOBAL__N_143distribution_elementwise_grid_stride_kernelIfLi4EZNS0_9templates4cuda21uniform_and_transformIN3c104HalfEfPNS_17CUDAGeneratorImplEZZZNS4_16bernoulli_kernelIS9_EEvRNS_18TensorIteratorBaseEdT_ENKUlvE_clEvENKUlvE6_clEvEUlfE_EEvSC_T1_T2_EUlP25hiprandStatePhilox4_32_10E0_ZNS1_27distribution_nullary_kernelIS7_f15HIP_vector_typeIfLj4EES9_SL_SG_EEvSC_SI_RKT3_T4_EUlifE0_EEvlNS_15PhiloxCudaStateESH_SI_
                                        ; -- End function
	.section	.AMDGPU.csdata,"",@progbits
; Kernel info:
; codeLenInByte = 5272
; NumSgprs: 58
; NumVgprs: 45
; ScratchSize: 0
; MemoryBound: 0
; FloatMode: 240
; IeeeMode: 1
; LDSByteSize: 0 bytes/workgroup (compile time only)
; SGPRBlocks: 7
; VGPRBlocks: 5
; NumSGPRsForWavesPerEU: 58
; NumVGPRsForWavesPerEU: 45
; Occupancy: 16
; WaveLimiterHint : 1
; COMPUTE_PGM_RSRC2:SCRATCH_EN: 0
; COMPUTE_PGM_RSRC2:USER_SGPR: 15
; COMPUTE_PGM_RSRC2:TRAP_HANDLER: 0
; COMPUTE_PGM_RSRC2:TGID_X_EN: 1
; COMPUTE_PGM_RSRC2:TGID_Y_EN: 0
; COMPUTE_PGM_RSRC2:TGID_Z_EN: 0
; COMPUTE_PGM_RSRC2:TIDIG_COMP_CNT: 0
	.section	.text._ZN2at6native12_GLOBAL__N_143distribution_elementwise_grid_stride_kernelIfLi4EZNS0_9templates4cuda21uniform_and_transformIN3c108BFloat16EfPNS_17CUDAGeneratorImplEZZZNS4_16bernoulli_kernelIS9_EEvRNS_18TensorIteratorBaseEdT_ENKUlvE_clEvENKUlvE7_clEvEUlfE_EEvSC_T1_T2_EUlP25hiprandStatePhilox4_32_10E_ZNS1_27distribution_nullary_kernelIS7_f15HIP_vector_typeIdLj2EES9_SL_SG_EEvSC_SI_RKT3_T4_EUlifE_EEvlNS_15PhiloxCudaStateESH_SI_,"axG",@progbits,_ZN2at6native12_GLOBAL__N_143distribution_elementwise_grid_stride_kernelIfLi4EZNS0_9templates4cuda21uniform_and_transformIN3c108BFloat16EfPNS_17CUDAGeneratorImplEZZZNS4_16bernoulli_kernelIS9_EEvRNS_18TensorIteratorBaseEdT_ENKUlvE_clEvENKUlvE7_clEvEUlfE_EEvSC_T1_T2_EUlP25hiprandStatePhilox4_32_10E_ZNS1_27distribution_nullary_kernelIS7_f15HIP_vector_typeIdLj2EES9_SL_SG_EEvSC_SI_RKT3_T4_EUlifE_EEvlNS_15PhiloxCudaStateESH_SI_,comdat
	.globl	_ZN2at6native12_GLOBAL__N_143distribution_elementwise_grid_stride_kernelIfLi4EZNS0_9templates4cuda21uniform_and_transformIN3c108BFloat16EfPNS_17CUDAGeneratorImplEZZZNS4_16bernoulli_kernelIS9_EEvRNS_18TensorIteratorBaseEdT_ENKUlvE_clEvENKUlvE7_clEvEUlfE_EEvSC_T1_T2_EUlP25hiprandStatePhilox4_32_10E_ZNS1_27distribution_nullary_kernelIS7_f15HIP_vector_typeIdLj2EES9_SL_SG_EEvSC_SI_RKT3_T4_EUlifE_EEvlNS_15PhiloxCudaStateESH_SI_ ; -- Begin function _ZN2at6native12_GLOBAL__N_143distribution_elementwise_grid_stride_kernelIfLi4EZNS0_9templates4cuda21uniform_and_transformIN3c108BFloat16EfPNS_17CUDAGeneratorImplEZZZNS4_16bernoulli_kernelIS9_EEvRNS_18TensorIteratorBaseEdT_ENKUlvE_clEvENKUlvE7_clEvEUlfE_EEvSC_T1_T2_EUlP25hiprandStatePhilox4_32_10E_ZNS1_27distribution_nullary_kernelIS7_f15HIP_vector_typeIdLj2EES9_SL_SG_EEvSC_SI_RKT3_T4_EUlifE_EEvlNS_15PhiloxCudaStateESH_SI_
	.p2align	8
	.type	_ZN2at6native12_GLOBAL__N_143distribution_elementwise_grid_stride_kernelIfLi4EZNS0_9templates4cuda21uniform_and_transformIN3c108BFloat16EfPNS_17CUDAGeneratorImplEZZZNS4_16bernoulli_kernelIS9_EEvRNS_18TensorIteratorBaseEdT_ENKUlvE_clEvENKUlvE7_clEvEUlfE_EEvSC_T1_T2_EUlP25hiprandStatePhilox4_32_10E_ZNS1_27distribution_nullary_kernelIS7_f15HIP_vector_typeIdLj2EES9_SL_SG_EEvSC_SI_RKT3_T4_EUlifE_EEvlNS_15PhiloxCudaStateESH_SI_,@function
_ZN2at6native12_GLOBAL__N_143distribution_elementwise_grid_stride_kernelIfLi4EZNS0_9templates4cuda21uniform_and_transformIN3c108BFloat16EfPNS_17CUDAGeneratorImplEZZZNS4_16bernoulli_kernelIS9_EEvRNS_18TensorIteratorBaseEdT_ENKUlvE_clEvENKUlvE7_clEvEUlfE_EEvSC_T1_T2_EUlP25hiprandStatePhilox4_32_10E_ZNS1_27distribution_nullary_kernelIS7_f15HIP_vector_typeIdLj2EES9_SL_SG_EEvSC_SI_RKT3_T4_EUlifE_EEvlNS_15PhiloxCudaStateESH_SI_: ; @_ZN2at6native12_GLOBAL__N_143distribution_elementwise_grid_stride_kernelIfLi4EZNS0_9templates4cuda21uniform_and_transformIN3c108BFloat16EfPNS_17CUDAGeneratorImplEZZZNS4_16bernoulli_kernelIS9_EEvRNS_18TensorIteratorBaseEdT_ENKUlvE_clEvENKUlvE7_clEvEUlfE_EEvSC_T1_T2_EUlP25hiprandStatePhilox4_32_10E_ZNS1_27distribution_nullary_kernelIS7_f15HIP_vector_typeIdLj2EES9_SL_SG_EEvSC_SI_RKT3_T4_EUlifE_EEvlNS_15PhiloxCudaStateESH_SI_
; %bb.0:
	s_clause 0x2
	s_load_b64 s[8:9], s[0:1], 0x10
	s_load_b128 s[4:7], s[0:1], 0x0
	s_load_b32 s2, s[0:1], 0x20
	s_waitcnt lgkmcnt(0)
	v_dual_mov_b32 v2, s8 :: v_dual_mov_b32 v3, s9
	v_dual_mov_b32 v12, s7 :: v_dual_mov_b32 v11, s6
	s_bitcmp0_b32 s2, 0
	s_mov_b32 s2, 0
	s_cbranch_scc1 .LBB153_2
; %bb.1:
	v_dual_mov_b32 v1, s8 :: v_dual_mov_b32 v2, s9
	v_dual_mov_b32 v4, s6 :: v_dual_mov_b32 v5, s7
	s_load_b64 s[6:7], s[0:1], 0x18
	flat_load_b64 v[2:3], v[1:2]
	flat_load_b64 v[11:12], v[4:5]
	s_waitcnt vmcnt(1) lgkmcnt(0)
	v_add_co_u32 v2, vcc_lo, v2, s6
	v_add_co_ci_u32_e32 v3, vcc_lo, s7, v3, vcc_lo
.LBB153_2:
	s_clause 0x1
	s_load_b32 s3, s[0:1], 0x54
	s_load_b32 s11, s[0:1], 0x48
	s_waitcnt lgkmcnt(0)
	s_and_b32 s10, s3, 0xffff
	s_add_u32 s6, s4, -1
	s_mul_i32 s8, s11, s10
	s_addc_u32 s3, s5, -1
	s_lshl_b32 s9, s8, 2
	s_cmp_lg_u64 s[2:3], 0
	s_cbranch_scc0 .LBB153_23
; %bb.3:
	v_cvt_f32_ubyte0_e32 v1, 0
	v_cvt_f32_u32_e32 v4, s9
	s_sub_u32 s12, 0, s9
	s_subb_u32 s13, 0, 0
	s_delay_alu instid0(VALU_DEP_1) | instskip(NEXT) | instid1(VALU_DEP_1)
	v_fmamk_f32 v1, v1, 0x4f800000, v4
	v_rcp_f32_e32 v1, v1
	s_waitcnt_depctr 0xfff
	v_mul_f32_e32 v1, 0x5f7ffffc, v1
	s_delay_alu instid0(VALU_DEP_1) | instskip(NEXT) | instid1(VALU_DEP_1)
	v_mul_f32_e32 v4, 0x2f800000, v1
	v_trunc_f32_e32 v4, v4
	s_delay_alu instid0(VALU_DEP_1) | instskip(SKIP_1) | instid1(VALU_DEP_2)
	v_fmamk_f32 v1, v4, 0xcf800000, v1
	v_cvt_u32_f32_e32 v4, v4
	v_cvt_u32_f32_e32 v1, v1
	s_delay_alu instid0(VALU_DEP_2) | instskip(NEXT) | instid1(VALU_DEP_2)
	v_readfirstlane_b32 s2, v4
	v_readfirstlane_b32 s7, v1
	s_delay_alu instid0(VALU_DEP_2) | instskip(NEXT) | instid1(VALU_DEP_1)
	s_mul_i32 s14, s12, s2
	s_mul_hi_u32 s17, s12, s7
	s_mul_i32 s16, s13, s7
	s_add_i32 s14, s17, s14
	s_mul_i32 s18, s12, s7
	s_add_i32 s14, s14, s16
	s_mul_hi_u32 s17, s7, s18
	s_mul_hi_u32 s19, s2, s18
	s_mul_i32 s16, s2, s18
	s_mul_hi_u32 s18, s7, s14
	s_mul_i32 s7, s7, s14
	s_mul_hi_u32 s20, s2, s14
	s_add_u32 s7, s17, s7
	s_addc_u32 s17, 0, s18
	s_add_u32 s7, s7, s16
	s_mul_i32 s14, s2, s14
	s_addc_u32 s7, s17, s19
	s_addc_u32 s16, s20, 0
	s_add_u32 s7, s7, s14
	s_addc_u32 s14, 0, s16
	v_add_co_u32 v1, s7, v1, s7
	s_delay_alu instid0(VALU_DEP_1) | instskip(SKIP_1) | instid1(VALU_DEP_1)
	s_cmp_lg_u32 s7, 0
	s_addc_u32 s2, s2, s14
	v_readfirstlane_b32 s7, v1
	s_mul_i32 s14, s12, s2
	s_delay_alu instid0(VALU_DEP_1)
	s_mul_hi_u32 s16, s12, s7
	s_mul_i32 s13, s13, s7
	s_add_i32 s14, s16, s14
	s_mul_i32 s12, s12, s7
	s_add_i32 s14, s14, s13
	s_mul_hi_u32 s16, s2, s12
	s_mul_i32 s17, s2, s12
	s_mul_hi_u32 s12, s7, s12
	s_mul_hi_u32 s18, s7, s14
	s_mul_i32 s7, s7, s14
	s_mul_hi_u32 s13, s2, s14
	s_add_u32 s7, s12, s7
	s_addc_u32 s12, 0, s18
	s_add_u32 s7, s7, s17
	s_mul_i32 s14, s2, s14
	s_addc_u32 s7, s12, s16
	s_addc_u32 s12, s13, 0
	s_add_u32 s7, s7, s14
	s_addc_u32 s12, 0, s12
	v_add_co_u32 v1, s7, v1, s7
	s_delay_alu instid0(VALU_DEP_1) | instskip(SKIP_2) | instid1(VALU_DEP_1)
	s_cmp_lg_u32 s7, 0
	s_addc_u32 s7, s2, s12
	s_ashr_i32 s12, s3, 31
	v_readfirstlane_b32 s14, v1
	s_add_u32 s2, s6, s12
	s_mov_b32 s13, s12
	s_addc_u32 s3, s3, s12
	s_delay_alu instid0(SALU_CYCLE_1) | instskip(NEXT) | instid1(SALU_CYCLE_1)
	s_xor_b64 s[2:3], s[2:3], s[12:13]
	s_mul_i32 s17, s2, s7
	s_mul_hi_u32 s18, s2, s14
	s_mul_hi_u32 s16, s2, s7
	;; [unrolled: 1-line block ×3, first 2 shown]
	s_mul_i32 s14, s3, s14
	s_add_u32 s17, s18, s17
	s_addc_u32 s16, 0, s16
	s_mul_hi_u32 s19, s3, s7
	s_add_u32 s14, s17, s14
	s_mul_i32 s7, s3, s7
	s_addc_u32 s14, s16, s20
	s_addc_u32 s16, s19, 0
	s_add_u32 s7, s14, s7
	s_addc_u32 s14, 0, s16
	s_mul_i32 s17, s9, s7
	s_add_u32 s16, s7, 1
	v_sub_co_u32 v1, s2, s2, s17
	s_mul_hi_u32 s17, s9, s7
	s_addc_u32 s18, s14, 0
	s_mul_i32 s19, s9, s14
	s_delay_alu instid0(VALU_DEP_1)
	v_sub_co_u32 v4, s20, v1, s9
	s_add_u32 s21, s7, 2
	s_addc_u32 s22, s14, 0
	s_add_i32 s17, s17, s19
	s_cmp_lg_u32 s2, 0
	v_readfirstlane_b32 s2, v4
	s_subb_u32 s3, s3, s17
	s_cmp_lg_u32 s20, 0
	s_subb_u32 s17, s3, 0
	s_delay_alu instid0(VALU_DEP_1) | instskip(SKIP_4) | instid1(SALU_CYCLE_1)
	s_cmp_ge_u32 s2, s9
	s_cselect_b32 s2, -1, 0
	s_cmp_eq_u32 s17, 0
	v_readfirstlane_b32 s17, v1
	s_cselect_b32 s2, s2, -1
	s_cmp_lg_u32 s2, 0
	s_cselect_b32 s2, s21, s16
	s_cselect_b32 s16, s22, s18
	s_cmp_ge_u32 s17, s9
	s_cselect_b32 s17, -1, 0
	s_cmp_eq_u32 s3, 0
	s_cselect_b32 s3, s17, -1
	s_delay_alu instid0(SALU_CYCLE_1) | instskip(SKIP_2) | instid1(SALU_CYCLE_1)
	s_cmp_lg_u32 s3, 0
	s_cselect_b32 s3, s16, s14
	s_cselect_b32 s2, s2, s7
	s_xor_b64 s[2:3], s[2:3], s[12:13]
	s_delay_alu instid0(SALU_CYCLE_1)
	s_sub_u32 s2, s2, s12
	s_subb_u32 s3, s3, s12
	s_cbranch_execnz .LBB153_5
.LBB153_4:
	v_cvt_f32_u32_e32 v1, s9
	s_sub_i32 s3, 0, s9
	s_delay_alu instid0(VALU_DEP_1) | instskip(SKIP_2) | instid1(VALU_DEP_1)
	v_rcp_iflag_f32_e32 v1, v1
	s_waitcnt_depctr 0xfff
	v_mul_f32_e32 v1, 0x4f7ffffe, v1
	v_cvt_u32_f32_e32 v1, v1
	s_delay_alu instid0(VALU_DEP_1) | instskip(NEXT) | instid1(VALU_DEP_1)
	v_readfirstlane_b32 s2, v1
	s_mul_i32 s3, s3, s2
	s_delay_alu instid0(SALU_CYCLE_1) | instskip(NEXT) | instid1(SALU_CYCLE_1)
	s_mul_hi_u32 s3, s2, s3
	s_add_i32 s2, s2, s3
	s_delay_alu instid0(SALU_CYCLE_1) | instskip(NEXT) | instid1(SALU_CYCLE_1)
	s_mul_hi_u32 s2, s6, s2
	s_mul_i32 s3, s2, s9
	s_delay_alu instid0(SALU_CYCLE_1)
	s_sub_i32 s3, s6, s3
	s_add_i32 s6, s2, 1
	s_sub_i32 s7, s3, s9
	s_cmp_ge_u32 s3, s9
	s_cselect_b32 s2, s6, s2
	s_cselect_b32 s3, s7, s3
	s_add_i32 s6, s2, 1
	s_cmp_ge_u32 s3, s9
	s_mov_b32 s3, 0
	s_cselect_b32 s2, s6, s2
.LBB153_5:
	v_mov_b32_e32 v1, 0
	s_add_u32 s2, s2, 1
	s_addc_u32 s3, s3, 0
	s_mul_hi_u32 s6, s8, s2
	s_mul_i32 s3, s8, s3
	v_mad_u64_u32 v[13:14], null, s10, s15, v[0:1]
	s_mul_hi_u32 s7, s11, s10
	s_add_i32 s3, s6, s3
	s_mul_i32 s7, s7, s2
	s_mul_i32 s2, s8, s2
	s_add_i32 s3, s3, s7
	s_mov_b32 s6, exec_lo
	s_lshl_b64 s[2:3], s[2:3], 2
	s_delay_alu instid0(SALU_CYCLE_1)
	v_cmpx_gt_i64_e64 s[2:3], v[13:14]
	s_cbranch_execz .LBB153_22
; %bb.6:
	v_alignbit_b32 v17, v3, v2, 2
	v_mad_u64_u32 v[6:7], null, 0xcd9e8d57, v13, 0
	v_lshrrev_b32_e32 v18, 2, v3
	s_waitcnt vmcnt(0)
	v_dual_mov_b32 v15, v12 :: v_dual_and_b32 v34, 3, v2
	v_mad_u64_u32 v[4:5], null, 0xd2511f53, v17, 0
	v_add_co_u32 v20, null, 0x9e3779b9, v11
	v_xor3_b32 v3, v11, v7, v18
	s_delay_alu instid0(VALU_DEP_4) | instskip(SKIP_2) | instid1(VALU_DEP_4)
	v_add_co_u32 v19, null, 0xbb67ae85, v15
	v_add_co_u32 v21, null, 0x3c6ef372, v11
	v_xor_b32_e32 v1, v5, v12
	v_mad_u64_u32 v[7:8], null, 0xd2511f53, v3, 0
	v_add_co_u32 v22, null, 0x76cf5d0a, v15
	s_delay_alu instid0(VALU_DEP_3) | instskip(SKIP_2) | instid1(VALU_DEP_3)
	v_xor_b32_e32 v1, v1, v14
	v_add_co_u32 v23, null, 0x32370b8f, v15
	v_add_co_u32 v24, null, 0xdaa66d2b, v11
	v_mad_u64_u32 v[9:10], null, 0xcd9e8d57, v1, 0
	v_xor3_b32 v1, v19, v8, v4
	v_add_co_u32 v25, null, 0x78dde6e4, v11
	v_add_co_u32 v26, null, 0xed9eba14, v15
	s_delay_alu instid0(VALU_DEP_3) | instskip(SKIP_3) | instid1(VALU_DEP_3)
	v_mad_u64_u32 v[3:4], null, 0xcd9e8d57, v1, 0
	v_xor3_b32 v8, v20, v10, v6
	v_add_co_u32 v27, null, 0xa9066899, v15
	v_add_co_u32 v28, null, 0x1715609d, v11
	v_mad_u64_u32 v[5:6], null, 0xd2511f53, v8, 0
	v_xor3_b32 v1, v21, v4, v9
	s_load_b64 s[12:13], s[0:1], 0x40
	v_add_co_u32 v29, null, 0xb54cda56, v11
	v_add_co_u32 v30, null, 0x646e171e, v15
	s_delay_alu instid0(VALU_DEP_4) | instskip(SKIP_2) | instid1(VALU_DEP_3)
	v_xor3_b32 v4, v22, v6, v7
	v_mad_u64_u32 v[6:7], null, 0xd2511f53, v1, 0
	v_add_co_u32 v31, null, 0x1fd5c5a3, v15
	v_mad_u64_u32 v[8:9], null, 0xcd9e8d57, v4, 0
	v_add_co_u32 v32, null, 0x5384540f, v11
	s_delay_alu instid0(VALU_DEP_4) | instskip(SKIP_4) | instid1(VALU_DEP_4)
	v_xor3_b32 v1, v23, v7, v5
	s_clause 0x1
	s_load_b64 s[6:7], s[0:1], 0x30
	s_load_b32 s0, s[0:1], 0x38
	v_add_co_u32 v36, null, 0xf1bbcdc8, v11
	v_xor3_b32 v5, v24, v9, v3
	v_mad_u64_u32 v[3:4], null, 0xcd9e8d57, v1, 0
	s_waitcnt lgkmcnt(0)
	v_cvt_f32_f64_e32 v33, s[12:13]
	v_add_co_u32 v37, null, 0xdb3d7428, v15
	v_mad_u64_u32 v[9:10], null, 0xd2511f53, v5, 0
	v_dual_mov_b32 v42, v14 :: v_dual_add_nc_u32 v35, 0x8ff34781, v11
	v_xor3_b32 v1, v25, v4, v8
	v_dual_mov_b32 v39, v13 :: v_dual_add_nc_u32 v38, 0x96a522ad, v12
	s_delay_alu instid0(VALU_DEP_4) | instskip(NEXT) | instid1(VALU_DEP_3)
	v_xor3_b32 v8, v26, v10, v6
	v_mad_u64_u32 v[4:5], null, 0xd2511f53, v1, 0
	s_mul_i32 s1, s11, s0
	s_delay_alu instid0(VALU_DEP_2) | instskip(SKIP_1) | instid1(VALU_DEP_2)
	v_mad_u64_u32 v[6:7], null, 0xcd9e8d57, v8, 0
	s_mul_i32 s1, s1, s10
	v_xor3_b32 v1, v27, v5, v9
	s_lshl_b32 s1, s1, 2
	s_delay_alu instid0(VALU_DEP_2) | instskip(NEXT) | instid1(VALU_DEP_2)
	v_xor3_b32 v3, v28, v7, v3
	v_mad_u64_u32 v[7:8], null, 0xcd9e8d57, v1, 0
	s_delay_alu instid0(VALU_DEP_2) | instskip(NEXT) | instid1(VALU_DEP_2)
	v_mad_u64_u32 v[9:10], null, 0xd2511f53, v3, 0
	v_xor3_b32 v1, v29, v8, v6
	s_delay_alu instid0(VALU_DEP_2) | instskip(NEXT) | instid1(VALU_DEP_2)
	v_xor3_b32 v8, v30, v10, v4
	v_mad_u64_u32 v[3:4], null, 0xd2511f53, v1, 0
	s_delay_alu instid0(VALU_DEP_2) | instskip(NEXT) | instid1(VALU_DEP_2)
	v_mad_u64_u32 v[5:6], null, 0xcd9e8d57, v8, 0
	v_xor3_b32 v1, v31, v4, v9
	s_delay_alu instid0(VALU_DEP_2) | instskip(NEXT) | instid1(VALU_DEP_2)
	v_xor3_b32 v2, v32, v6, v7
	v_mad_u64_u32 v[6:7], null, 0xcd9e8d57, v1, 0
	v_mad_u64_u32 v[15:16], null, s15, s10, v[0:1]
	s_delay_alu instid0(VALU_DEP_3) | instskip(SKIP_1) | instid1(VALU_DEP_3)
	v_mad_u64_u32 v[8:9], null, 0xd2511f53, v2, 0
	s_add_i32 s15, s15, s11
	v_xor3_b32 v1, v36, v7, v5
	s_delay_alu instid0(VALU_DEP_3) | instskip(NEXT) | instid1(VALU_DEP_3)
	v_mul_lo_u32 v40, s0, v15
	v_xor3_b32 v7, v37, v9, v3
	s_delay_alu instid0(VALU_DEP_3) | instskip(SKIP_1) | instid1(VALU_DEP_3)
	v_mad_u64_u32 v[3:4], null, s15, s10, v[0:1]
	v_mad_u64_u32 v[4:5], null, 0xd2511f53, v1, 0
	;; [unrolled: 1-line block ×3, first 2 shown]
	s_mov_b32 s10, 0
	s_delay_alu instid0(VALU_DEP_3) | instskip(SKIP_1) | instid1(VALU_DEP_3)
	v_mul_lo_u32 v41, s0, v3
	s_mov_b32 s0, 0
	v_mov_b32_e32 v3, v4
	s_delay_alu instid0(VALU_DEP_3)
	v_xor3_b32 v0, v2, v6, v35
	v_xor3_b32 v2, v5, v8, v38
	s_branch .LBB153_8
.LBB153_7:                              ;   in Loop: Header=BB153_8 Depth=1
	s_or_b32 exec_lo, exec_lo, s11
	v_add_co_u32 v13, vcc_lo, v13, s9
	v_add_co_ci_u32_e32 v14, vcc_lo, 0, v14, vcc_lo
	v_mov_b32_e32 v7, v15
	v_dual_mov_b32 v0, v4 :: v_dual_mov_b32 v1, v5
	s_delay_alu instid0(VALU_DEP_3) | instskip(NEXT) | instid1(VALU_DEP_3)
	v_cmp_le_i64_e32 vcc_lo, s[2:3], v[13:14]
	v_dual_mov_b32 v2, v6 :: v_dual_mov_b32 v3, v7
	s_add_i32 s10, s10, s1
	s_waitcnt_vscnt null, 0x0
	s_barrier
	s_or_b32 s0, vcc_lo, s0
	buffer_gl0_inv
	s_and_not1_b32 exec_lo, exec_lo, s0
	s_cbranch_execz .LBB153_22
.LBB153_8:                              ; =>This Inner Loop Header: Depth=1
	v_add_co_u32 v17, vcc_lo, v17, 1
	s_delay_alu instid0(VALU_DEP_1) | instskip(SKIP_2) | instid1(VALU_DEP_1)
	v_cndmask_b32_e64 v4, 0, 1, vcc_lo
	v_add_co_ci_u32_e32 v18, vcc_lo, 0, v18, vcc_lo
	s_mov_b32 s11, exec_lo
	v_cmp_eq_u32_e32 vcc_lo, 0, v18
	s_delay_alu instid0(VALU_DEP_3) | instskip(NEXT) | instid1(VALU_DEP_1)
	v_cndmask_b32_e32 v4, 0, v4, vcc_lo
	v_add_nc_u32_e32 v39, v4, v39
	s_delay_alu instid0(VALU_DEP_1) | instskip(SKIP_2) | instid1(VALU_DEP_2)
	v_cmp_eq_u32_e32 vcc_lo, 0, v39
	v_cndmask_b32_e32 v4, 0, v4, vcc_lo
	v_mad_u64_u32 v[6:7], null, 0xcd9e8d57, v39, 0
	v_add_nc_u32_e32 v42, v4, v42
	v_mad_u64_u32 v[4:5], null, 0xd2511f53, v17, 0
	s_delay_alu instid0(VALU_DEP_3) | instskip(NEXT) | instid1(VALU_DEP_2)
	v_xor3_b32 v9, v7, v11, v18
	v_xor_b32_e32 v5, v5, v12
	s_delay_alu instid0(VALU_DEP_2) | instskip(NEXT) | instid1(VALU_DEP_2)
	v_mad_u64_u32 v[7:8], null, 0xd2511f53, v9, 0
	v_xor_b32_e32 v5, v42, v5
	s_delay_alu instid0(VALU_DEP_2) | instskip(NEXT) | instid1(VALU_DEP_2)
	v_xor3_b32 v8, v19, v8, v4
	v_mad_u64_u32 v[9:10], null, 0xcd9e8d57, v5, 0
	s_delay_alu instid0(VALU_DEP_2) | instskip(NEXT) | instid1(VALU_DEP_2)
	v_mad_u64_u32 v[4:5], null, 0xcd9e8d57, v8, 0
	v_xor3_b32 v6, v20, v10, v6
	s_delay_alu instid0(VALU_DEP_2) | instskip(NEXT) | instid1(VALU_DEP_2)
	v_xor3_b32 v8, v21, v5, v9
	v_mad_u64_u32 v[15:16], null, 0xd2511f53, v6, 0
	s_delay_alu instid0(VALU_DEP_2) | instskip(NEXT) | instid1(VALU_DEP_2)
	v_mad_u64_u32 v[5:6], null, 0xd2511f53, v8, 0
	v_xor3_b32 v9, v22, v16, v7
	s_delay_alu instid0(VALU_DEP_2) | instskip(NEXT) | instid1(VALU_DEP_2)
	v_xor3_b32 v6, v23, v6, v15
	v_mad_u64_u32 v[7:8], null, 0xcd9e8d57, v9, 0
	s_delay_alu instid0(VALU_DEP_1) | instskip(NEXT) | instid1(VALU_DEP_3)
	v_xor3_b32 v4, v24, v8, v4
	v_mad_u64_u32 v[8:9], null, 0xcd9e8d57, v6, 0
	s_delay_alu instid0(VALU_DEP_2) | instskip(NEXT) | instid1(VALU_DEP_2)
	v_mad_u64_u32 v[15:16], null, 0xd2511f53, v4, 0
	v_xor3_b32 v6, v25, v9, v7
	s_delay_alu instid0(VALU_DEP_2) | instskip(NEXT) | instid1(VALU_DEP_2)
	v_xor3_b32 v9, v26, v16, v5
	v_mad_u64_u32 v[4:5], null, 0xd2511f53, v6, 0
	s_delay_alu instid0(VALU_DEP_2) | instskip(NEXT) | instid1(VALU_DEP_2)
	v_mad_u64_u32 v[6:7], null, 0xcd9e8d57, v9, 0
	v_xor3_b32 v5, v27, v5, v15
	s_delay_alu instid0(VALU_DEP_2) | instskip(NEXT) | instid1(VALU_DEP_2)
	v_xor3_b32 v15, v28, v7, v8
	v_mad_u64_u32 v[7:8], null, 0xcd9e8d57, v5, 0
	s_delay_alu instid0(VALU_DEP_2) | instskip(NEXT) | instid1(VALU_DEP_2)
	v_mad_u64_u32 v[9:10], null, 0xd2511f53, v15, 0
	v_xor3_b32 v6, v29, v8, v6
	s_delay_alu instid0(VALU_DEP_2) | instskip(NEXT) | instid1(VALU_DEP_2)
	v_xor3_b32 v8, v30, v10, v4
	v_mad_u64_u32 v[4:5], null, 0xd2511f53, v6, 0
	s_delay_alu instid0(VALU_DEP_2) | instskip(NEXT) | instid1(VALU_DEP_2)
	v_mad_u64_u32 v[15:16], null, 0xcd9e8d57, v8, 0
	v_xor3_b32 v5, v31, v5, v9
	s_delay_alu instid0(VALU_DEP_2) | instskip(NEXT) | instid1(VALU_DEP_2)
	v_xor3_b32 v6, v32, v16, v7
	v_mad_u64_u32 v[7:8], null, 0xcd9e8d57, v5, 0
	s_delay_alu instid0(VALU_DEP_2) | instskip(NEXT) | instid1(VALU_DEP_2)
	v_mad_u64_u32 v[9:10], null, 0xd2511f53, v6, 0
	v_xor3_b32 v5, v36, v8, v15
	s_delay_alu instid0(VALU_DEP_2) | instskip(NEXT) | instid1(VALU_DEP_2)
	v_xor3_b32 v4, v37, v10, v4
	v_mad_u64_u32 v[15:16], null, 0xd2511f53, v5, 0
	s_delay_alu instid0(VALU_DEP_2) | instskip(NEXT) | instid1(VALU_DEP_2)
	v_mad_u64_u32 v[5:6], null, 0xcd9e8d57, v4, 0
	v_xor3_b32 v10, v16, v9, v38
	s_delay_alu instid0(VALU_DEP_2) | instskip(NEXT) | instid1(VALU_DEP_2)
	v_xor3_b32 v4, v6, v7, v35
	v_mov_b32_e32 v6, v10
	v_cmpx_lt_i32_e32 1, v34
	s_xor_b32 s11, exec_lo, s11
	s_cbranch_execnz .LBB153_14
; %bb.9:                                ;   in Loop: Header=BB153_8 Depth=1
	s_and_not1_saveexec_b32 s11, s11
	s_cbranch_execnz .LBB153_19
.LBB153_10:                             ;   in Loop: Header=BB153_8 Depth=1
	s_or_b32 exec_lo, exec_lo, s11
	s_delay_alu instid0(SALU_CYCLE_1)
	s_mov_b32 s11, exec_lo
	v_cmpx_gt_i64_e64 s[4:5], v[13:14]
	s_cbranch_execz .LBB153_12
.LBB153_11:                             ;   in Loop: Header=BB153_8 Depth=1
	v_lshrrev_b32_e32 v1, 11, v1
	s_delay_alu instid0(VALU_DEP_1) | instskip(SKIP_1) | instid1(VALU_DEP_2)
	v_cvt_f64_u32_e32 v[7:8], v1
	v_cvt_f64_u32_e32 v[0:1], v0
	v_ldexp_f64 v[7:8], v[7:8], 32
	s_delay_alu instid0(VALU_DEP_1) | instskip(NEXT) | instid1(VALU_DEP_1)
	v_add_f64 v[0:1], v[7:8], v[0:1]
	v_fma_f64 v[0:1], 0x3ca00000, v[0:1], 0x3ca00000
	s_delay_alu instid0(VALU_DEP_1) | instskip(SKIP_1) | instid1(VALU_DEP_1)
	v_cvt_f32_f64_e32 v7, v[0:1]
	v_add_nc_u32_e32 v0, s10, v40
	v_ashrrev_i32_e32 v1, 31, v0
	v_add_co_u32 v0, vcc_lo, s6, v0
	s_delay_alu instid0(VALU_DEP_2)
	v_add_co_ci_u32_e32 v1, vcc_lo, s7, v1, vcc_lo
	v_cmp_gt_f32_e32 vcc_lo, v33, v7
	v_cndmask_b32_e64 v7, 0, 1.0, vcc_lo
	global_store_d16_hi_b16 v[0:1], v7, off
.LBB153_12:                             ;   in Loop: Header=BB153_8 Depth=1
	s_or_b32 exec_lo, exec_lo, s11
	v_add_co_u32 v0, vcc_lo, s8, v13
	v_add_co_ci_u32_e32 v1, vcc_lo, 0, v14, vcc_lo
	s_mov_b32 s11, exec_lo
	s_delay_alu instid0(VALU_DEP_1)
	v_cmpx_gt_i64_e64 s[4:5], v[0:1]
	s_cbranch_execz .LBB153_7
; %bb.13:                               ;   in Loop: Header=BB153_8 Depth=1
	v_lshrrev_b32_e32 v0, 11, v3
	v_cvt_f64_u32_e32 v[2:3], v2
	s_delay_alu instid0(VALU_DEP_2) | instskip(NEXT) | instid1(VALU_DEP_1)
	v_cvt_f64_u32_e32 v[0:1], v0
	v_ldexp_f64 v[0:1], v[0:1], 32
	s_delay_alu instid0(VALU_DEP_1) | instskip(NEXT) | instid1(VALU_DEP_1)
	v_add_f64 v[0:1], v[0:1], v[2:3]
	v_fma_f64 v[0:1], 0x3ca00000, v[0:1], 0x3ca00000
	s_delay_alu instid0(VALU_DEP_1) | instskip(SKIP_1) | instid1(VALU_DEP_1)
	v_cvt_f32_f64_e32 v2, v[0:1]
	v_add_nc_u32_e32 v0, s10, v41
	v_ashrrev_i32_e32 v1, 31, v0
	v_add_co_u32 v0, vcc_lo, s6, v0
	s_delay_alu instid0(VALU_DEP_2)
	v_add_co_ci_u32_e32 v1, vcc_lo, s7, v1, vcc_lo
	v_cmp_gt_f32_e32 vcc_lo, v33, v2
	v_cndmask_b32_e64 v2, 0, 1.0, vcc_lo
	global_store_d16_hi_b16 v[0:1], v2, off
	s_branch .LBB153_7
.LBB153_14:                             ;   in Loop: Header=BB153_8 Depth=1
	s_mov_b32 s12, exec_lo
	v_cmpx_lt_i32_e32 2, v34
	s_xor_b32 s12, exec_lo, s12
; %bb.15:                               ;   in Loop: Header=BB153_8 Depth=1
	v_dual_mov_b32 v7, v3 :: v_dual_mov_b32 v8, v4
	v_mov_b32_e32 v9, v5
	s_delay_alu instid0(VALU_DEP_2) | instskip(NEXT) | instid1(VALU_DEP_2)
	v_dual_mov_b32 v0, v7 :: v_dual_mov_b32 v1, v8
	v_dual_mov_b32 v2, v9 :: v_dual_mov_b32 v3, v10
; %bb.16:                               ;   in Loop: Header=BB153_8 Depth=1
	s_and_not1_saveexec_b32 s12, s12
; %bb.17:                               ;   in Loop: Header=BB153_8 Depth=1
	s_delay_alu instid0(VALU_DEP_1)
	v_dual_mov_b32 v0, v2 :: v_dual_mov_b32 v1, v3
	v_dual_mov_b32 v2, v4 :: v_dual_mov_b32 v3, v5
; %bb.18:                               ;   in Loop: Header=BB153_8 Depth=1
	s_or_b32 exec_lo, exec_lo, s12
	s_and_not1_saveexec_b32 s11, s11
	s_cbranch_execz .LBB153_10
.LBB153_19:                             ;   in Loop: Header=BB153_8 Depth=1
	s_mov_b32 s12, exec_lo
	v_cmpx_eq_u32_e32 1, v34
; %bb.20:                               ;   in Loop: Header=BB153_8 Depth=1
	v_dual_mov_b32 v0, v1 :: v_dual_mov_b32 v1, v2
	v_dual_mov_b32 v2, v3 :: v_dual_mov_b32 v3, v4
; %bb.21:                               ;   in Loop: Header=BB153_8 Depth=1
	s_or_b32 exec_lo, exec_lo, s12
	s_delay_alu instid0(SALU_CYCLE_1) | instskip(NEXT) | instid1(SALU_CYCLE_1)
	s_or_b32 exec_lo, exec_lo, s11
	s_mov_b32 s11, exec_lo
	v_cmpx_gt_i64_e64 s[4:5], v[13:14]
	s_cbranch_execnz .LBB153_11
	s_branch .LBB153_12
.LBB153_22:
	s_endpgm
.LBB153_23:
                                        ; implicit-def: $sgpr2_sgpr3
	s_branch .LBB153_4
	.section	.rodata,"a",@progbits
	.p2align	6, 0x0
	.amdhsa_kernel _ZN2at6native12_GLOBAL__N_143distribution_elementwise_grid_stride_kernelIfLi4EZNS0_9templates4cuda21uniform_and_transformIN3c108BFloat16EfPNS_17CUDAGeneratorImplEZZZNS4_16bernoulli_kernelIS9_EEvRNS_18TensorIteratorBaseEdT_ENKUlvE_clEvENKUlvE7_clEvEUlfE_EEvSC_T1_T2_EUlP25hiprandStatePhilox4_32_10E_ZNS1_27distribution_nullary_kernelIS7_f15HIP_vector_typeIdLj2EES9_SL_SG_EEvSC_SI_RKT3_T4_EUlifE_EEvlNS_15PhiloxCudaStateESH_SI_
		.amdhsa_group_segment_fixed_size 0
		.amdhsa_private_segment_fixed_size 0
		.amdhsa_kernarg_size 328
		.amdhsa_user_sgpr_count 15
		.amdhsa_user_sgpr_dispatch_ptr 0
		.amdhsa_user_sgpr_queue_ptr 0
		.amdhsa_user_sgpr_kernarg_segment_ptr 1
		.amdhsa_user_sgpr_dispatch_id 0
		.amdhsa_user_sgpr_private_segment_size 0
		.amdhsa_wavefront_size32 1
		.amdhsa_uses_dynamic_stack 0
		.amdhsa_enable_private_segment 0
		.amdhsa_system_sgpr_workgroup_id_x 1
		.amdhsa_system_sgpr_workgroup_id_y 0
		.amdhsa_system_sgpr_workgroup_id_z 0
		.amdhsa_system_sgpr_workgroup_info 0
		.amdhsa_system_vgpr_workitem_id 0
		.amdhsa_next_free_vgpr 43
		.amdhsa_next_free_sgpr 23
		.amdhsa_reserve_vcc 1
		.amdhsa_float_round_mode_32 0
		.amdhsa_float_round_mode_16_64 0
		.amdhsa_float_denorm_mode_32 3
		.amdhsa_float_denorm_mode_16_64 3
		.amdhsa_dx10_clamp 1
		.amdhsa_ieee_mode 1
		.amdhsa_fp16_overflow 0
		.amdhsa_workgroup_processor_mode 1
		.amdhsa_memory_ordered 1
		.amdhsa_forward_progress 0
		.amdhsa_shared_vgpr_count 0
		.amdhsa_exception_fp_ieee_invalid_op 0
		.amdhsa_exception_fp_denorm_src 0
		.amdhsa_exception_fp_ieee_div_zero 0
		.amdhsa_exception_fp_ieee_overflow 0
		.amdhsa_exception_fp_ieee_underflow 0
		.amdhsa_exception_fp_ieee_inexact 0
		.amdhsa_exception_int_div_zero 0
	.end_amdhsa_kernel
	.section	.text._ZN2at6native12_GLOBAL__N_143distribution_elementwise_grid_stride_kernelIfLi4EZNS0_9templates4cuda21uniform_and_transformIN3c108BFloat16EfPNS_17CUDAGeneratorImplEZZZNS4_16bernoulli_kernelIS9_EEvRNS_18TensorIteratorBaseEdT_ENKUlvE_clEvENKUlvE7_clEvEUlfE_EEvSC_T1_T2_EUlP25hiprandStatePhilox4_32_10E_ZNS1_27distribution_nullary_kernelIS7_f15HIP_vector_typeIdLj2EES9_SL_SG_EEvSC_SI_RKT3_T4_EUlifE_EEvlNS_15PhiloxCudaStateESH_SI_,"axG",@progbits,_ZN2at6native12_GLOBAL__N_143distribution_elementwise_grid_stride_kernelIfLi4EZNS0_9templates4cuda21uniform_and_transformIN3c108BFloat16EfPNS_17CUDAGeneratorImplEZZZNS4_16bernoulli_kernelIS9_EEvRNS_18TensorIteratorBaseEdT_ENKUlvE_clEvENKUlvE7_clEvEUlfE_EEvSC_T1_T2_EUlP25hiprandStatePhilox4_32_10E_ZNS1_27distribution_nullary_kernelIS7_f15HIP_vector_typeIdLj2EES9_SL_SG_EEvSC_SI_RKT3_T4_EUlifE_EEvlNS_15PhiloxCudaStateESH_SI_,comdat
.Lfunc_end153:
	.size	_ZN2at6native12_GLOBAL__N_143distribution_elementwise_grid_stride_kernelIfLi4EZNS0_9templates4cuda21uniform_and_transformIN3c108BFloat16EfPNS_17CUDAGeneratorImplEZZZNS4_16bernoulli_kernelIS9_EEvRNS_18TensorIteratorBaseEdT_ENKUlvE_clEvENKUlvE7_clEvEUlfE_EEvSC_T1_T2_EUlP25hiprandStatePhilox4_32_10E_ZNS1_27distribution_nullary_kernelIS7_f15HIP_vector_typeIdLj2EES9_SL_SG_EEvSC_SI_RKT3_T4_EUlifE_EEvlNS_15PhiloxCudaStateESH_SI_, .Lfunc_end153-_ZN2at6native12_GLOBAL__N_143distribution_elementwise_grid_stride_kernelIfLi4EZNS0_9templates4cuda21uniform_and_transformIN3c108BFloat16EfPNS_17CUDAGeneratorImplEZZZNS4_16bernoulli_kernelIS9_EEvRNS_18TensorIteratorBaseEdT_ENKUlvE_clEvENKUlvE7_clEvEUlfE_EEvSC_T1_T2_EUlP25hiprandStatePhilox4_32_10E_ZNS1_27distribution_nullary_kernelIS7_f15HIP_vector_typeIdLj2EES9_SL_SG_EEvSC_SI_RKT3_T4_EUlifE_EEvlNS_15PhiloxCudaStateESH_SI_
                                        ; -- End function
	.section	.AMDGPU.csdata,"",@progbits
; Kernel info:
; codeLenInByte = 2760
; NumSgprs: 25
; NumVgprs: 43
; ScratchSize: 0
; MemoryBound: 0
; FloatMode: 240
; IeeeMode: 1
; LDSByteSize: 0 bytes/workgroup (compile time only)
; SGPRBlocks: 3
; VGPRBlocks: 5
; NumSGPRsForWavesPerEU: 25
; NumVGPRsForWavesPerEU: 43
; Occupancy: 16
; WaveLimiterHint : 0
; COMPUTE_PGM_RSRC2:SCRATCH_EN: 0
; COMPUTE_PGM_RSRC2:USER_SGPR: 15
; COMPUTE_PGM_RSRC2:TRAP_HANDLER: 0
; COMPUTE_PGM_RSRC2:TGID_X_EN: 1
; COMPUTE_PGM_RSRC2:TGID_Y_EN: 0
; COMPUTE_PGM_RSRC2:TGID_Z_EN: 0
; COMPUTE_PGM_RSRC2:TIDIG_COMP_CNT: 0
	.section	.text._ZN2at6native12_GLOBAL__N_143distribution_elementwise_grid_stride_kernelIfLi4EZNS0_9templates4cuda21uniform_and_transformIN3c108BFloat16EfPNS_17CUDAGeneratorImplEZZZNS4_16bernoulli_kernelIS9_EEvRNS_18TensorIteratorBaseEdT_ENKUlvE_clEvENKUlvE7_clEvEUlfE_EEvSC_T1_T2_EUlP25hiprandStatePhilox4_32_10E_ZNS1_27distribution_nullary_kernelIS7_f15HIP_vector_typeIdLj2EES9_SL_SG_EEvSC_SI_RKT3_T4_EUlifE0_EEvlNS_15PhiloxCudaStateESH_SI_,"axG",@progbits,_ZN2at6native12_GLOBAL__N_143distribution_elementwise_grid_stride_kernelIfLi4EZNS0_9templates4cuda21uniform_and_transformIN3c108BFloat16EfPNS_17CUDAGeneratorImplEZZZNS4_16bernoulli_kernelIS9_EEvRNS_18TensorIteratorBaseEdT_ENKUlvE_clEvENKUlvE7_clEvEUlfE_EEvSC_T1_T2_EUlP25hiprandStatePhilox4_32_10E_ZNS1_27distribution_nullary_kernelIS7_f15HIP_vector_typeIdLj2EES9_SL_SG_EEvSC_SI_RKT3_T4_EUlifE0_EEvlNS_15PhiloxCudaStateESH_SI_,comdat
	.globl	_ZN2at6native12_GLOBAL__N_143distribution_elementwise_grid_stride_kernelIfLi4EZNS0_9templates4cuda21uniform_and_transformIN3c108BFloat16EfPNS_17CUDAGeneratorImplEZZZNS4_16bernoulli_kernelIS9_EEvRNS_18TensorIteratorBaseEdT_ENKUlvE_clEvENKUlvE7_clEvEUlfE_EEvSC_T1_T2_EUlP25hiprandStatePhilox4_32_10E_ZNS1_27distribution_nullary_kernelIS7_f15HIP_vector_typeIdLj2EES9_SL_SG_EEvSC_SI_RKT3_T4_EUlifE0_EEvlNS_15PhiloxCudaStateESH_SI_ ; -- Begin function _ZN2at6native12_GLOBAL__N_143distribution_elementwise_grid_stride_kernelIfLi4EZNS0_9templates4cuda21uniform_and_transformIN3c108BFloat16EfPNS_17CUDAGeneratorImplEZZZNS4_16bernoulli_kernelIS9_EEvRNS_18TensorIteratorBaseEdT_ENKUlvE_clEvENKUlvE7_clEvEUlfE_EEvSC_T1_T2_EUlP25hiprandStatePhilox4_32_10E_ZNS1_27distribution_nullary_kernelIS7_f15HIP_vector_typeIdLj2EES9_SL_SG_EEvSC_SI_RKT3_T4_EUlifE0_EEvlNS_15PhiloxCudaStateESH_SI_
	.p2align	8
	.type	_ZN2at6native12_GLOBAL__N_143distribution_elementwise_grid_stride_kernelIfLi4EZNS0_9templates4cuda21uniform_and_transformIN3c108BFloat16EfPNS_17CUDAGeneratorImplEZZZNS4_16bernoulli_kernelIS9_EEvRNS_18TensorIteratorBaseEdT_ENKUlvE_clEvENKUlvE7_clEvEUlfE_EEvSC_T1_T2_EUlP25hiprandStatePhilox4_32_10E_ZNS1_27distribution_nullary_kernelIS7_f15HIP_vector_typeIdLj2EES9_SL_SG_EEvSC_SI_RKT3_T4_EUlifE0_EEvlNS_15PhiloxCudaStateESH_SI_,@function
_ZN2at6native12_GLOBAL__N_143distribution_elementwise_grid_stride_kernelIfLi4EZNS0_9templates4cuda21uniform_and_transformIN3c108BFloat16EfPNS_17CUDAGeneratorImplEZZZNS4_16bernoulli_kernelIS9_EEvRNS_18TensorIteratorBaseEdT_ENKUlvE_clEvENKUlvE7_clEvEUlfE_EEvSC_T1_T2_EUlP25hiprandStatePhilox4_32_10E_ZNS1_27distribution_nullary_kernelIS7_f15HIP_vector_typeIdLj2EES9_SL_SG_EEvSC_SI_RKT3_T4_EUlifE0_EEvlNS_15PhiloxCudaStateESH_SI_: ; @_ZN2at6native12_GLOBAL__N_143distribution_elementwise_grid_stride_kernelIfLi4EZNS0_9templates4cuda21uniform_and_transformIN3c108BFloat16EfPNS_17CUDAGeneratorImplEZZZNS4_16bernoulli_kernelIS9_EEvRNS_18TensorIteratorBaseEdT_ENKUlvE_clEvENKUlvE7_clEvEUlfE_EEvSC_T1_T2_EUlP25hiprandStatePhilox4_32_10E_ZNS1_27distribution_nullary_kernelIS7_f15HIP_vector_typeIdLj2EES9_SL_SG_EEvSC_SI_RKT3_T4_EUlifE0_EEvlNS_15PhiloxCudaStateESH_SI_
; %bb.0:
	s_clause 0x2
	s_load_b64 s[4:5], s[0:1], 0x10
	s_load_b128 s[16:19], s[0:1], 0x0
	s_load_b32 s2, s[0:1], 0x20
	s_waitcnt lgkmcnt(0)
	v_dual_mov_b32 v2, s4 :: v_dual_mov_b32 v3, s5
	v_dual_mov_b32 v11, s18 :: v_dual_mov_b32 v12, s19
	s_bitcmp0_b32 s2, 0
	s_mov_b32 s2, 0
	s_cbranch_scc1 .LBB154_2
; %bb.1:
	v_dual_mov_b32 v1, s4 :: v_dual_mov_b32 v2, s5
	v_dual_mov_b32 v4, s18 :: v_dual_mov_b32 v5, s19
	s_load_b64 s[4:5], s[0:1], 0x18
	flat_load_b64 v[2:3], v[1:2]
	flat_load_b64 v[11:12], v[4:5]
	s_waitcnt vmcnt(1) lgkmcnt(0)
	v_add_co_u32 v2, vcc_lo, v2, s4
	v_add_co_ci_u32_e32 v3, vcc_lo, s5, v3, vcc_lo
.LBB154_2:
	s_clause 0x1
	s_load_b32 s3, s[0:1], 0x154
	s_load_b32 s4, s[0:1], 0x148
	s_waitcnt lgkmcnt(0)
	s_and_b32 s5, s3, 0xffff
	s_add_u32 s6, s16, -1
	s_mul_i32 s24, s4, s5
	s_addc_u32 s3, s17, -1
	s_lshl_b32 s25, s24, 2
	s_cmp_lg_u64 s[2:3], 0
	s_cbranch_scc0 .LBB154_49
; %bb.3:
	v_cvt_f32_ubyte0_e32 v1, 0
	v_cvt_f32_u32_e32 v4, s25
	s_sub_u32 s8, 0, s25
	s_subb_u32 s9, 0, 0
	s_delay_alu instid0(VALU_DEP_1) | instskip(NEXT) | instid1(VALU_DEP_1)
	v_fmamk_f32 v1, v1, 0x4f800000, v4
	v_rcp_f32_e32 v1, v1
	s_waitcnt_depctr 0xfff
	v_mul_f32_e32 v1, 0x5f7ffffc, v1
	s_delay_alu instid0(VALU_DEP_1) | instskip(NEXT) | instid1(VALU_DEP_1)
	v_mul_f32_e32 v4, 0x2f800000, v1
	v_trunc_f32_e32 v4, v4
	s_delay_alu instid0(VALU_DEP_1) | instskip(SKIP_1) | instid1(VALU_DEP_2)
	v_fmamk_f32 v1, v4, 0xcf800000, v1
	v_cvt_u32_f32_e32 v4, v4
	v_cvt_u32_f32_e32 v1, v1
	s_delay_alu instid0(VALU_DEP_2) | instskip(NEXT) | instid1(VALU_DEP_2)
	v_readfirstlane_b32 s2, v4
	v_readfirstlane_b32 s7, v1
	s_delay_alu instid0(VALU_DEP_2) | instskip(NEXT) | instid1(VALU_DEP_1)
	s_mul_i32 s10, s8, s2
	s_mul_hi_u32 s12, s8, s7
	s_mul_i32 s11, s9, s7
	s_add_i32 s10, s12, s10
	s_mul_i32 s13, s8, s7
	s_add_i32 s10, s10, s11
	s_mul_hi_u32 s12, s7, s13
	s_mul_hi_u32 s14, s2, s13
	s_mul_i32 s11, s2, s13
	s_mul_hi_u32 s13, s7, s10
	s_mul_i32 s7, s7, s10
	s_mul_hi_u32 s18, s2, s10
	s_add_u32 s7, s12, s7
	s_addc_u32 s12, 0, s13
	s_add_u32 s7, s7, s11
	s_mul_i32 s10, s2, s10
	s_addc_u32 s7, s12, s14
	s_addc_u32 s11, s18, 0
	s_add_u32 s7, s7, s10
	s_addc_u32 s10, 0, s11
	v_add_co_u32 v1, s7, v1, s7
	s_delay_alu instid0(VALU_DEP_1) | instskip(SKIP_1) | instid1(VALU_DEP_1)
	s_cmp_lg_u32 s7, 0
	s_addc_u32 s2, s2, s10
	v_readfirstlane_b32 s7, v1
	s_mul_i32 s10, s8, s2
	s_delay_alu instid0(VALU_DEP_1)
	s_mul_hi_u32 s11, s8, s7
	s_mul_i32 s9, s9, s7
	s_add_i32 s10, s11, s10
	s_mul_i32 s8, s8, s7
	s_add_i32 s10, s10, s9
	s_mul_hi_u32 s11, s2, s8
	s_mul_i32 s12, s2, s8
	s_mul_hi_u32 s8, s7, s8
	s_mul_hi_u32 s13, s7, s10
	s_mul_i32 s7, s7, s10
	s_mul_hi_u32 s9, s2, s10
	s_add_u32 s7, s8, s7
	s_addc_u32 s8, 0, s13
	s_add_u32 s7, s7, s12
	s_mul_i32 s10, s2, s10
	s_addc_u32 s7, s8, s11
	s_addc_u32 s8, s9, 0
	s_add_u32 s7, s7, s10
	s_addc_u32 s8, 0, s8
	v_add_co_u32 v1, s7, v1, s7
	s_delay_alu instid0(VALU_DEP_1) | instskip(SKIP_2) | instid1(VALU_DEP_1)
	s_cmp_lg_u32 s7, 0
	s_addc_u32 s7, s2, s8
	s_ashr_i32 s8, s3, 31
	v_readfirstlane_b32 s10, v1
	s_add_u32 s2, s6, s8
	s_mov_b32 s9, s8
	s_addc_u32 s3, s3, s8
	s_delay_alu instid0(SALU_CYCLE_1) | instskip(NEXT) | instid1(SALU_CYCLE_1)
	s_xor_b64 s[2:3], s[2:3], s[8:9]
	s_mul_i32 s12, s2, s7
	s_mul_hi_u32 s13, s2, s10
	s_mul_hi_u32 s11, s2, s7
	;; [unrolled: 1-line block ×3, first 2 shown]
	s_mul_i32 s10, s3, s10
	s_add_u32 s12, s13, s12
	s_addc_u32 s11, 0, s11
	s_mul_hi_u32 s14, s3, s7
	s_add_u32 s10, s12, s10
	s_mul_i32 s7, s3, s7
	s_addc_u32 s10, s11, s18
	s_addc_u32 s11, s14, 0
	s_add_u32 s7, s10, s7
	s_addc_u32 s10, 0, s11
	s_mul_i32 s12, s25, s7
	s_add_u32 s11, s7, 1
	v_sub_co_u32 v1, s2, s2, s12
	s_mul_hi_u32 s12, s25, s7
	s_addc_u32 s13, s10, 0
	s_mul_i32 s14, s25, s10
	s_delay_alu instid0(VALU_DEP_1)
	v_sub_co_u32 v4, s18, v1, s25
	s_add_u32 s19, s7, 2
	s_addc_u32 s20, s10, 0
	s_add_i32 s12, s12, s14
	s_cmp_lg_u32 s2, 0
	v_readfirstlane_b32 s2, v4
	s_subb_u32 s3, s3, s12
	s_cmp_lg_u32 s18, 0
	s_subb_u32 s12, s3, 0
	s_delay_alu instid0(VALU_DEP_1) | instskip(SKIP_4) | instid1(SALU_CYCLE_1)
	s_cmp_ge_u32 s2, s25
	s_cselect_b32 s2, -1, 0
	s_cmp_eq_u32 s12, 0
	v_readfirstlane_b32 s12, v1
	s_cselect_b32 s2, s2, -1
	s_cmp_lg_u32 s2, 0
	s_cselect_b32 s2, s19, s11
	s_cselect_b32 s11, s20, s13
	s_cmp_ge_u32 s12, s25
	s_cselect_b32 s12, -1, 0
	s_cmp_eq_u32 s3, 0
	s_cselect_b32 s3, s12, -1
	s_delay_alu instid0(SALU_CYCLE_1) | instskip(SKIP_2) | instid1(SALU_CYCLE_1)
	s_cmp_lg_u32 s3, 0
	s_cselect_b32 s3, s11, s10
	s_cselect_b32 s2, s2, s7
	s_xor_b64 s[2:3], s[2:3], s[8:9]
	s_delay_alu instid0(SALU_CYCLE_1)
	s_sub_u32 s2, s2, s8
	s_subb_u32 s3, s3, s8
	s_cbranch_execnz .LBB154_5
.LBB154_4:
	v_cvt_f32_u32_e32 v1, s25
	s_sub_i32 s3, 0, s25
	s_delay_alu instid0(VALU_DEP_1) | instskip(SKIP_2) | instid1(VALU_DEP_1)
	v_rcp_iflag_f32_e32 v1, v1
	s_waitcnt_depctr 0xfff
	v_mul_f32_e32 v1, 0x4f7ffffe, v1
	v_cvt_u32_f32_e32 v1, v1
	s_delay_alu instid0(VALU_DEP_1) | instskip(NEXT) | instid1(VALU_DEP_1)
	v_readfirstlane_b32 s2, v1
	s_mul_i32 s3, s3, s2
	s_delay_alu instid0(SALU_CYCLE_1) | instskip(NEXT) | instid1(SALU_CYCLE_1)
	s_mul_hi_u32 s3, s2, s3
	s_add_i32 s2, s2, s3
	s_delay_alu instid0(SALU_CYCLE_1) | instskip(NEXT) | instid1(SALU_CYCLE_1)
	s_mul_hi_u32 s2, s6, s2
	s_mul_i32 s3, s2, s25
	s_delay_alu instid0(SALU_CYCLE_1)
	s_sub_i32 s3, s6, s3
	s_add_i32 s6, s2, 1
	s_sub_i32 s7, s3, s25
	s_cmp_ge_u32 s3, s25
	s_cselect_b32 s2, s6, s2
	s_cselect_b32 s3, s7, s3
	s_add_i32 s6, s2, 1
	s_cmp_ge_u32 s3, s25
	s_mov_b32 s3, 0
	s_cselect_b32 s2, s6, s2
.LBB154_5:
	v_mov_b32_e32 v1, 0
	s_add_u32 s2, s2, 1
	s_addc_u32 s3, s3, 0
	s_mul_hi_u32 s6, s24, s2
	s_mul_i32 s3, s24, s3
	v_mad_u64_u32 v[13:14], null, s5, s15, v[0:1]
	s_mul_hi_u32 s4, s4, s5
	s_add_i32 s3, s6, s3
	s_mul_i32 s4, s4, s2
	s_mul_i32 s2, s24, s2
	s_add_i32 s3, s3, s4
	s_mov_b32 s4, exec_lo
	s_lshl_b64 s[2:3], s[2:3], 2
	s_delay_alu instid0(SALU_CYCLE_1)
	v_cmpx_gt_i64_e64 s[2:3], v[13:14]
	s_cbranch_execz .LBB154_48
; %bb.6:
	v_alignbit_b32 v17, v3, v2, 2
	v_mad_u64_u32 v[4:5], null, 0xcd9e8d57, v13, 0
	v_lshrrev_b32_e32 v18, 2, v3
	s_waitcnt vmcnt(0)
	v_dual_mov_b32 v9, v12 :: v_dual_add_nc_u32 v28, 0x8ff34781, v11
	v_mad_u64_u32 v[0:1], null, 0xd2511f53, v17, 0
	v_add_co_u32 v20, null, 0x9e3779b9, v11
	v_xor3_b32 v3, v11, v5, v18
	s_delay_alu instid0(VALU_DEP_4) | instskip(SKIP_2) | instid1(VALU_DEP_4)
	v_add_co_u32 v19, null, 0xbb67ae85, v9
	v_add_co_u32 v21, null, 0x3c6ef372, v11
	v_xor_b32_e32 v1, v1, v12
	v_mad_u64_u32 v[5:6], null, 0xd2511f53, v3, 0
	v_add_co_u32 v22, null, 0x76cf5d0a, v9
	s_delay_alu instid0(VALU_DEP_3) | instskip(SKIP_2) | instid1(VALU_DEP_3)
	v_xor_b32_e32 v1, v1, v14
	v_add_co_u32 v23, null, 0x32370b8f, v9
	v_add_co_u32 v24, null, 0xdaa66d2b, v11
	v_mad_u64_u32 v[7:8], null, 0xcd9e8d57, v1, 0
	v_xor3_b32 v3, v19, v6, v0
	v_add_co_u32 v25, null, 0x78dde6e4, v11
	v_add_co_u32 v26, null, 0xed9eba14, v9
	s_delay_alu instid0(VALU_DEP_3) | instskip(SKIP_3) | instid1(VALU_DEP_3)
	v_mad_u64_u32 v[0:1], null, 0xcd9e8d57, v3, 0
	v_xor3_b32 v6, v20, v8, v4
	v_dual_mov_b32 v40, v14 :: v_dual_and_b32 v27, 3, v2
	v_add_co_u32 v29, null, 0xa9066899, v9
	v_mad_u64_u32 v[3:4], null, 0xd2511f53, v6, 0
	v_xor3_b32 v1, v21, v1, v7
	v_add_co_u32 v30, null, 0x1715609d, v11
	s_clause 0x1
	s_load_b64 s[20:21], s[0:1], 0xf4
	s_load_b128 s[12:15], s[0:1], 0x138
	v_add_co_u32 v32, null, 0xb54cda56, v11
	s_delay_alu instid0(VALU_DEP_4) | instskip(SKIP_2) | instid1(VALU_DEP_3)
	v_xor3_b32 v8, v22, v4, v5
	v_mad_u64_u32 v[4:5], null, 0xd2511f53, v1, 0
	v_add_co_u32 v33, null, 0x646e171e, v9
	v_mad_u64_u32 v[6:7], null, 0xcd9e8d57, v8, 0
	s_load_b256 s[4:11], s[0:1], 0x30
	v_add_co_u32 v31, null, 0x5384540f, v11
	s_delay_alu instid0(VALU_DEP_4) | instskip(SKIP_1) | instid1(VALU_DEP_4)
	v_xor3_b32 v3, v23, v5, v3
	v_add_co_u32 v35, null, 0x1fd5c5a3, v9
	v_xor3_b32 v5, v24, v7, v0
	v_add_co_u32 v34, null, 0xf1bbcdc8, v11
	s_delay_alu instid0(VALU_DEP_4) | instskip(NEXT) | instid1(VALU_DEP_3)
	v_mad_u64_u32 v[0:1], null, 0xcd9e8d57, v3, 0
	v_mad_u64_u32 v[7:8], null, 0xd2511f53, v5, 0
	s_waitcnt lgkmcnt(0)
	v_cvt_f32_f64_e32 v36, s[14:15]
	v_add_co_u32 v37, null, 0xdb3d7428, v9
	s_add_u32 s18, s0, 48
	s_delay_alu instid0(VALU_DEP_4) | instskip(SKIP_1) | instid1(VALU_DEP_4)
	v_xor3_b32 v3, v25, v1, v6
	s_addc_u32 s19, s1, 0
	v_xor3_b32 v5, v26, v8, v4
	s_add_i32 s22, s4, -1
	v_dual_mov_b32 v39, v13 :: v_dual_add_nc_u32 v38, 0x96a522ad, v12
	v_mad_u64_u32 v[1:2], null, 0xd2511f53, v3, 0
	s_delay_alu instid0(VALU_DEP_3) | instskip(SKIP_4) | instid1(VALU_DEP_2)
	v_mad_u64_u32 v[3:4], null, 0xcd9e8d57, v5, 0
	s_cmp_gt_u32 s22, 1
	s_mov_b32 s26, 0
	s_cselect_b32 s11, -1, 0
	s_cmp_lg_u32 s4, 0
	v_xor3_b32 v2, v29, v2, v7
	s_cselect_b32 s27, -1, 0
	s_delay_alu instid0(VALU_DEP_2) | instskip(SKIP_3) | instid1(VALU_DEP_2)
	v_xor3_b32 v0, v30, v4, v0
	s_add_u32 s0, s0, 0xf4
	s_addc_u32 s1, s1, 0
	v_mad_u64_u32 v[4:5], null, 0xcd9e8d57, v2, 0
	v_mad_u64_u32 v[6:7], null, 0xd2511f53, v0, 0
	s_min_u32 s14, s22, 15
	s_cmp_gt_u32 s4, 1
	s_cselect_b32 s4, -1, 0
	s_delay_alu instid0(VALU_DEP_2) | instskip(SKIP_1) | instid1(VALU_DEP_2)
	v_xor3_b32 v2, v32, v5, v3
	s_add_i32 s14, s14, 1
	v_xor3_b32 v5, v33, v7, v1
	s_and_b32 s28, s14, 3
	s_cmp_lg_u32 s22, 2
	v_mad_u64_u32 v[0:1], null, 0xd2511f53, v2, 0
	s_delay_alu instid0(VALU_DEP_2) | instskip(SKIP_3) | instid1(VALU_DEP_2)
	v_mad_u64_u32 v[2:3], null, 0xcd9e8d57, v5, 0
	s_cselect_b32 s29, -1, 0
	s_and_b32 s30, s14, 28
	s_cmp_lg_u32 s28, 0
	v_xor3_b32 v1, v35, v1, v6
	s_cselect_b32 s31, -1, 0
	s_delay_alu instid0(VALU_DEP_2) | instskip(NEXT) | instid1(VALU_DEP_2)
	v_xor3_b32 v3, v31, v3, v4
	v_mad_u64_u32 v[4:5], null, 0xcd9e8d57, v1, 0
	s_delay_alu instid0(VALU_DEP_2) | instskip(NEXT) | instid1(VALU_DEP_2)
	v_mad_u64_u32 v[6:7], null, 0xd2511f53, v3, 0
	v_xor3_b32 v1, v34, v5, v2
	s_delay_alu instid0(VALU_DEP_2) | instskip(NEXT) | instid1(VALU_DEP_2)
	v_xor3_b32 v0, v37, v7, v0
	v_mad_u64_u32 v[7:8], null, 0xd2511f53, v1, 0
	s_delay_alu instid0(VALU_DEP_2) | instskip(NEXT) | instid1(VALU_DEP_2)
	v_mad_u64_u32 v[1:2], null, 0xcd9e8d57, v0, 0
	v_mov_b32_e32 v3, v7
	s_delay_alu instid0(VALU_DEP_2) | instskip(NEXT) | instid1(VALU_DEP_4)
	v_xor3_b32 v0, v2, v4, v28
	v_xor3_b32 v2, v8, v6, v38
	s_branch .LBB154_9
.LBB154_7:                              ;   in Loop: Header=BB154_9 Depth=1
	v_lshrrev_b32_e32 v0, 11, v3
	v_cvt_f64_u32_e32 v[2:3], v2
	s_delay_alu instid0(VALU_DEP_2) | instskip(NEXT) | instid1(VALU_DEP_1)
	v_cvt_f64_u32_e32 v[7:8], v0
	v_ldexp_f64 v[7:8], v[7:8], 32
	s_delay_alu instid0(VALU_DEP_1) | instskip(NEXT) | instid1(VALU_DEP_1)
	v_add_f64 v[2:3], v[7:8], v[2:3]
	v_fma_f64 v[2:3], 0x3ca00000, v[2:3], 0x3ca00000
	s_delay_alu instid0(VALU_DEP_1) | instskip(NEXT) | instid1(VALU_DEP_1)
	v_cvt_f32_f64_e32 v0, v[2:3]
	v_cmp_gt_f32_e32 vcc_lo, v36, v0
	v_cndmask_b32_e64 v0, 0, 1.0, vcc_lo
	global_store_d16_hi_b16 v1, v0, s[12:13]
.LBB154_8:                              ;   in Loop: Header=BB154_9 Depth=1
	s_or_b32 exec_lo, exec_lo, s33
	v_add_co_u32 v13, vcc_lo, v13, s25
	v_add_co_ci_u32_e32 v14, vcc_lo, 0, v14, vcc_lo
	v_mov_b32_e32 v7, v15
	v_dual_mov_b32 v0, v4 :: v_dual_mov_b32 v1, v5
	s_delay_alu instid0(VALU_DEP_3) | instskip(NEXT) | instid1(VALU_DEP_3)
	v_cmp_le_i64_e32 vcc_lo, s[2:3], v[13:14]
	v_dual_mov_b32 v2, v6 :: v_dual_mov_b32 v3, v7
	s_waitcnt_vscnt null, 0x0
	s_barrier
	buffer_gl0_inv
	s_or_b32 s26, vcc_lo, s26
	s_delay_alu instid0(SALU_CYCLE_1)
	s_and_not1_b32 exec_lo, exec_lo, s26
	s_cbranch_execz .LBB154_48
.LBB154_9:                              ; =>This Loop Header: Depth=1
                                        ;     Child Loop BB154_24 Depth 2
                                        ;     Child Loop BB154_29 Depth 2
	;; [unrolled: 1-line block ×4, first 2 shown]
	v_add_co_u32 v17, vcc_lo, v17, 1
	s_delay_alu instid0(VALU_DEP_1) | instskip(SKIP_2) | instid1(VALU_DEP_1)
	v_cndmask_b32_e64 v4, 0, 1, vcc_lo
	v_add_co_ci_u32_e32 v18, vcc_lo, 0, v18, vcc_lo
	s_mov_b32 s14, exec_lo
	v_cmp_eq_u32_e32 vcc_lo, 0, v18
	s_delay_alu instid0(VALU_DEP_3) | instskip(NEXT) | instid1(VALU_DEP_1)
	v_cndmask_b32_e32 v4, 0, v4, vcc_lo
	v_add_nc_u32_e32 v39, v4, v39
	s_delay_alu instid0(VALU_DEP_1) | instskip(SKIP_2) | instid1(VALU_DEP_2)
	v_cmp_eq_u32_e32 vcc_lo, 0, v39
	v_cndmask_b32_e32 v4, 0, v4, vcc_lo
	v_mad_u64_u32 v[6:7], null, 0xcd9e8d57, v39, 0
	v_add_nc_u32_e32 v40, v4, v40
	v_mad_u64_u32 v[4:5], null, 0xd2511f53, v17, 0
	s_delay_alu instid0(VALU_DEP_3) | instskip(NEXT) | instid1(VALU_DEP_2)
	v_xor3_b32 v9, v7, v11, v18
	v_xor_b32_e32 v5, v5, v12
	s_delay_alu instid0(VALU_DEP_2) | instskip(NEXT) | instid1(VALU_DEP_2)
	v_mad_u64_u32 v[7:8], null, 0xd2511f53, v9, 0
	v_xor_b32_e32 v5, v40, v5
	s_delay_alu instid0(VALU_DEP_2) | instskip(NEXT) | instid1(VALU_DEP_2)
	v_xor3_b32 v8, v19, v8, v4
	v_mad_u64_u32 v[9:10], null, 0xcd9e8d57, v5, 0
	s_delay_alu instid0(VALU_DEP_2) | instskip(NEXT) | instid1(VALU_DEP_2)
	v_mad_u64_u32 v[4:5], null, 0xcd9e8d57, v8, 0
	v_xor3_b32 v6, v20, v10, v6
	s_delay_alu instid0(VALU_DEP_2) | instskip(NEXT) | instid1(VALU_DEP_2)
	v_xor3_b32 v8, v21, v5, v9
	v_mad_u64_u32 v[15:16], null, 0xd2511f53, v6, 0
	s_delay_alu instid0(VALU_DEP_2) | instskip(NEXT) | instid1(VALU_DEP_2)
	v_mad_u64_u32 v[5:6], null, 0xd2511f53, v8, 0
	v_xor3_b32 v9, v22, v16, v7
	s_delay_alu instid0(VALU_DEP_2) | instskip(NEXT) | instid1(VALU_DEP_2)
	v_xor3_b32 v6, v23, v6, v15
	v_mad_u64_u32 v[7:8], null, 0xcd9e8d57, v9, 0
	s_delay_alu instid0(VALU_DEP_1) | instskip(NEXT) | instid1(VALU_DEP_3)
	v_xor3_b32 v4, v24, v8, v4
	v_mad_u64_u32 v[8:9], null, 0xcd9e8d57, v6, 0
	s_delay_alu instid0(VALU_DEP_2) | instskip(NEXT) | instid1(VALU_DEP_2)
	v_mad_u64_u32 v[15:16], null, 0xd2511f53, v4, 0
	v_xor3_b32 v6, v25, v9, v7
	s_delay_alu instid0(VALU_DEP_2) | instskip(NEXT) | instid1(VALU_DEP_2)
	v_xor3_b32 v9, v26, v16, v5
	v_mad_u64_u32 v[4:5], null, 0xd2511f53, v6, 0
	s_delay_alu instid0(VALU_DEP_2) | instskip(NEXT) | instid1(VALU_DEP_2)
	v_mad_u64_u32 v[6:7], null, 0xcd9e8d57, v9, 0
	v_xor3_b32 v5, v29, v5, v15
	s_delay_alu instid0(VALU_DEP_2) | instskip(NEXT) | instid1(VALU_DEP_2)
	;; [unrolled: 6-line block ×6, first 2 shown]
	v_xor3_b32 v4, v6, v7, v28
	v_mov_b32_e32 v6, v10
	v_cmpx_lt_i32_e32 1, v27
	s_xor_b32 s14, exec_lo, s14
	s_cbranch_execnz .LBB154_12
; %bb.10:                               ;   in Loop: Header=BB154_9 Depth=1
	s_and_not1_saveexec_b32 s14, s14
	s_cbranch_execnz .LBB154_17
.LBB154_11:                             ;   in Loop: Header=BB154_9 Depth=1
	s_or_b32 exec_lo, exec_lo, s14
	s_delay_alu instid0(SALU_CYCLE_1)
	s_mov_b32 s33, exec_lo
	v_cmpx_gt_i64_e64 s[16:17], v[13:14]
	s_cbranch_execnz .LBB154_20
	s_branch .LBB154_34
.LBB154_12:                             ;   in Loop: Header=BB154_9 Depth=1
	s_mov_b32 s15, exec_lo
	v_cmpx_lt_i32_e32 2, v27
	s_xor_b32 s15, exec_lo, s15
; %bb.13:                               ;   in Loop: Header=BB154_9 Depth=1
	v_dual_mov_b32 v7, v3 :: v_dual_mov_b32 v8, v4
	v_mov_b32_e32 v9, v5
	s_delay_alu instid0(VALU_DEP_2) | instskip(NEXT) | instid1(VALU_DEP_2)
	v_dual_mov_b32 v0, v7 :: v_dual_mov_b32 v1, v8
	v_dual_mov_b32 v2, v9 :: v_dual_mov_b32 v3, v10
; %bb.14:                               ;   in Loop: Header=BB154_9 Depth=1
	s_and_not1_saveexec_b32 s15, s15
; %bb.15:                               ;   in Loop: Header=BB154_9 Depth=1
	s_delay_alu instid0(VALU_DEP_1)
	v_dual_mov_b32 v0, v2 :: v_dual_mov_b32 v1, v3
	v_dual_mov_b32 v2, v4 :: v_dual_mov_b32 v3, v5
; %bb.16:                               ;   in Loop: Header=BB154_9 Depth=1
	s_or_b32 exec_lo, exec_lo, s15
	s_and_not1_saveexec_b32 s14, s14
	s_cbranch_execz .LBB154_11
.LBB154_17:                             ;   in Loop: Header=BB154_9 Depth=1
	s_mov_b32 s15, exec_lo
	v_cmpx_eq_u32_e32 1, v27
; %bb.18:                               ;   in Loop: Header=BB154_9 Depth=1
	v_dual_mov_b32 v0, v1 :: v_dual_mov_b32 v1, v2
	v_dual_mov_b32 v2, v3 :: v_dual_mov_b32 v3, v4
; %bb.19:                               ;   in Loop: Header=BB154_9 Depth=1
	s_or_b32 exec_lo, exec_lo, s15
	s_delay_alu instid0(SALU_CYCLE_1) | instskip(NEXT) | instid1(SALU_CYCLE_1)
	s_or_b32 exec_lo, exec_lo, s14
	s_mov_b32 s33, exec_lo
	v_cmpx_gt_i64_e64 s[16:17], v[13:14]
	s_cbranch_execz .LBB154_34
.LBB154_20:                             ;   in Loop: Header=BB154_9 Depth=1
	s_and_not1_b32 vcc_lo, exec_lo, s11
	s_cbranch_vccnz .LBB154_26
; %bb.21:                               ;   in Loop: Header=BB154_9 Depth=1
	v_mov_b32_e32 v7, 0
	s_and_not1_b32 vcc_lo, exec_lo, s27
	s_cbranch_vccnz .LBB154_30
; %bb.22:                               ;   in Loop: Header=BB154_9 Depth=1
	s_and_not1_b32 vcc_lo, exec_lo, s29
	s_mov_b32 s14, 0
	s_cbranch_vccnz .LBB154_27
; %bb.23:                               ;   in Loop: Header=BB154_9 Depth=1
	v_dual_mov_b32 v7, 0 :: v_dual_mov_b32 v8, v13
	s_mov_b32 s34, 0
	s_mov_b64 s[14:15], s[18:19]
	s_mov_b64 s[22:23], s[0:1]
.LBB154_24:                             ;   Parent Loop BB154_9 Depth=1
                                        ; =>  This Inner Loop Header: Depth=2
	s_clause 0x1
	s_load_b256 s[36:43], s[14:15], 0x4
	s_load_b128 s[44:47], s[14:15], 0x24
	s_load_b128 s[48:51], s[22:23], 0x0
	s_add_u32 s14, s14, 48
	s_addc_u32 s15, s15, 0
	s_add_i32 s34, s34, 4
	s_add_u32 s22, s22, 16
	s_addc_u32 s23, s23, 0
	s_cmp_lg_u32 s30, s34
	s_waitcnt lgkmcnt(0)
	v_mul_hi_u32 v9, s37, v8
	s_delay_alu instid0(VALU_DEP_1) | instskip(NEXT) | instid1(VALU_DEP_1)
	v_add_nc_u32_e32 v9, v8, v9
	v_lshrrev_b32_e32 v9, s38, v9
	s_delay_alu instid0(VALU_DEP_1) | instskip(SKIP_1) | instid1(VALU_DEP_2)
	v_mul_hi_u32 v10, s40, v9
	v_mul_lo_u32 v42, v9, s36
	v_add_nc_u32_e32 v10, v9, v10
	s_delay_alu instid0(VALU_DEP_2) | instskip(NEXT) | instid1(VALU_DEP_2)
	v_sub_nc_u32_e32 v42, v8, v42
	v_lshrrev_b32_e32 v10, s41, v10
	s_delay_alu instid0(VALU_DEP_2) | instskip(NEXT) | instid1(VALU_DEP_2)
	v_mul_lo_u32 v42, v42, s48
	v_mul_hi_u32 v16, s43, v10
	v_mul_lo_u32 v43, v10, s39
	s_delay_alu instid0(VALU_DEP_2) | instskip(NEXT) | instid1(VALU_DEP_2)
	v_add_nc_u32_e32 v16, v10, v16
	v_sub_nc_u32_e32 v9, v9, v43
	s_delay_alu instid0(VALU_DEP_2) | instskip(NEXT) | instid1(VALU_DEP_2)
	v_lshrrev_b32_e32 v16, s44, v16
	v_mul_lo_u32 v9, v9, s49
	s_delay_alu instid0(VALU_DEP_2) | instskip(NEXT) | instid1(VALU_DEP_2)
	v_mul_hi_u32 v41, s46, v16
	v_add3_u32 v7, v42, v7, v9
	s_delay_alu instid0(VALU_DEP_2) | instskip(NEXT) | instid1(VALU_DEP_1)
	v_add_nc_u32_e32 v41, v16, v41
	v_lshrrev_b32_e32 v8, s47, v41
	v_mul_lo_u32 v41, v16, s42
	s_delay_alu instid0(VALU_DEP_2) | instskip(NEXT) | instid1(VALU_DEP_2)
	v_mul_lo_u32 v44, v8, s45
	v_sub_nc_u32_e32 v10, v10, v41
	s_delay_alu instid0(VALU_DEP_2) | instskip(NEXT) | instid1(VALU_DEP_2)
	v_sub_nc_u32_e32 v16, v16, v44
	v_mul_lo_u32 v10, v10, s50
	s_delay_alu instid0(VALU_DEP_2) | instskip(NEXT) | instid1(VALU_DEP_1)
	v_mul_lo_u32 v16, v16, s51
	v_add3_u32 v7, v10, v7, v16
	s_cbranch_scc1 .LBB154_24
; %bb.25:                               ;   in Loop: Header=BB154_9 Depth=1
	s_mov_b32 s14, s30
	s_and_not1_b32 vcc_lo, exec_lo, s31
	s_cbranch_vccz .LBB154_28
	s_branch .LBB154_30
.LBB154_26:                             ;   in Loop: Header=BB154_9 Depth=1
                                        ; implicit-def: $vgpr7
	s_branch .LBB154_31
.LBB154_27:                             ;   in Loop: Header=BB154_9 Depth=1
	v_mov_b32_e32 v8, v13
	s_and_not1_b32 vcc_lo, exec_lo, s31
	s_cbranch_vccnz .LBB154_30
.LBB154_28:                             ;   in Loop: Header=BB154_9 Depth=1
	s_lshl_b32 s15, s14, 2
	s_mul_i32 s22, s14, 12
	s_add_u32 s14, s0, s15
	s_addc_u32 s15, s1, 0
	s_add_u32 s22, s18, s22
	s_addc_u32 s23, s19, 0
	s_mov_b32 s34, s28
	.p2align	6
.LBB154_29:                             ;   Parent Loop BB154_9 Depth=1
                                        ; =>  This Inner Loop Header: Depth=2
	s_clause 0x1
	s_load_b64 s[36:37], s[22:23], 0x4
	s_load_b32 s35, s[22:23], 0xc
	s_add_u32 s22, s22, 12
	s_addc_u32 s23, s23, 0
	s_waitcnt lgkmcnt(0)
	v_mul_hi_u32 v9, s37, v8
	s_load_b32 s37, s[14:15], 0x0
	s_add_u32 s14, s14, 4
	s_addc_u32 s15, s15, 0
	s_add_i32 s34, s34, -1
	s_delay_alu instid0(SALU_CYCLE_1) | instskip(NEXT) | instid1(VALU_DEP_1)
	s_cmp_lg_u32 s34, 0
	v_add_nc_u32_e32 v9, v8, v9
	s_delay_alu instid0(VALU_DEP_1) | instskip(NEXT) | instid1(VALU_DEP_1)
	v_lshrrev_b32_e32 v16, s35, v9
	v_mul_lo_u32 v9, v16, s36
	s_delay_alu instid0(VALU_DEP_1) | instskip(SKIP_1) | instid1(VALU_DEP_1)
	v_sub_nc_u32_e32 v8, v8, v9
	s_waitcnt lgkmcnt(0)
	v_mad_u64_u32 v[9:10], null, v8, s37, v[7:8]
	s_delay_alu instid0(VALU_DEP_1)
	v_dual_mov_b32 v8, v16 :: v_dual_mov_b32 v7, v9
	s_cbranch_scc1 .LBB154_29
.LBB154_30:                             ;   in Loop: Header=BB154_9 Depth=1
	s_cbranch_execnz .LBB154_33
.LBB154_31:                             ;   in Loop: Header=BB154_9 Depth=1
	v_mul_hi_u32 v7, v13, s6
	s_and_not1_b32 vcc_lo, exec_lo, s4
	s_delay_alu instid0(VALU_DEP_1) | instskip(NEXT) | instid1(VALU_DEP_1)
	v_add_nc_u32_e32 v7, v7, v13
	v_lshrrev_b32_e32 v8, s7, v7
	s_delay_alu instid0(VALU_DEP_1) | instskip(NEXT) | instid1(VALU_DEP_1)
	v_mul_lo_u32 v7, v8, s5
	v_sub_nc_u32_e32 v7, v13, v7
	s_delay_alu instid0(VALU_DEP_1)
	v_mul_lo_u32 v7, v7, s20
	s_cbranch_vccnz .LBB154_33
; %bb.32:                               ;   in Loop: Header=BB154_9 Depth=1
	v_mul_hi_u32 v9, s9, v8
	s_delay_alu instid0(VALU_DEP_1) | instskip(NEXT) | instid1(VALU_DEP_1)
	v_add_nc_u32_e32 v9, v8, v9
	v_lshrrev_b32_e32 v9, s10, v9
	s_delay_alu instid0(VALU_DEP_1) | instskip(NEXT) | instid1(VALU_DEP_1)
	v_mul_lo_u32 v9, v9, s8
	v_sub_nc_u32_e32 v10, v8, v9
	s_delay_alu instid0(VALU_DEP_1) | instskip(NEXT) | instid1(VALU_DEP_1)
	v_mad_u64_u32 v[8:9], null, v10, s21, v[7:8]
	v_mov_b32_e32 v7, v8
.LBB154_33:                             ;   in Loop: Header=BB154_9 Depth=1
	v_lshrrev_b32_e32 v1, 11, v1
	s_delay_alu instid0(VALU_DEP_1) | instskip(SKIP_1) | instid1(VALU_DEP_2)
	v_cvt_f64_u32_e32 v[8:9], v1
	v_cvt_f64_u32_e32 v[0:1], v0
	v_ldexp_f64 v[8:9], v[8:9], 32
	s_delay_alu instid0(VALU_DEP_1) | instskip(NEXT) | instid1(VALU_DEP_1)
	v_add_f64 v[0:1], v[8:9], v[0:1]
	v_fma_f64 v[0:1], 0x3ca00000, v[0:1], 0x3ca00000
	s_delay_alu instid0(VALU_DEP_1) | instskip(NEXT) | instid1(VALU_DEP_1)
	v_cvt_f32_f64_e32 v0, v[0:1]
	v_cmp_gt_f32_e32 vcc_lo, v36, v0
	v_cndmask_b32_e64 v0, 0, 1.0, vcc_lo
	global_store_d16_hi_b16 v7, v0, s[12:13]
.LBB154_34:                             ;   in Loop: Header=BB154_9 Depth=1
	s_or_b32 exec_lo, exec_lo, s33
	v_add_co_u32 v0, vcc_lo, v13, s24
	v_add_co_ci_u32_e32 v1, vcc_lo, 0, v14, vcc_lo
	s_mov_b32 s33, exec_lo
	s_delay_alu instid0(VALU_DEP_1)
	v_cmpx_gt_i64_e64 s[16:17], v[0:1]
	s_cbranch_execz .LBB154_8
; %bb.35:                               ;   in Loop: Header=BB154_9 Depth=1
	s_and_not1_b32 vcc_lo, exec_lo, s11
	s_cbranch_vccnz .LBB154_41
; %bb.36:                               ;   in Loop: Header=BB154_9 Depth=1
	v_mov_b32_e32 v1, 0
	s_and_not1_b32 vcc_lo, exec_lo, s27
	s_cbranch_vccnz .LBB154_45
; %bb.37:                               ;   in Loop: Header=BB154_9 Depth=1
	s_and_not1_b32 vcc_lo, exec_lo, s29
	s_mov_b32 s14, 0
	s_cbranch_vccnz .LBB154_42
; %bb.38:                               ;   in Loop: Header=BB154_9 Depth=1
	v_mov_b32_e32 v1, 0
	v_mov_b32_e32 v7, v0
	s_mov_b32 s34, 0
	s_mov_b64 s[14:15], s[18:19]
	s_mov_b64 s[22:23], s[0:1]
.LBB154_39:                             ;   Parent Loop BB154_9 Depth=1
                                        ; =>  This Inner Loop Header: Depth=2
	s_clause 0x1
	s_load_b256 s[36:43], s[14:15], 0x4
	s_load_b128 s[44:47], s[14:15], 0x24
	s_load_b128 s[48:51], s[22:23], 0x0
	s_add_u32 s14, s14, 48
	s_addc_u32 s15, s15, 0
	s_add_i32 s34, s34, 4
	s_add_u32 s22, s22, 16
	s_addc_u32 s23, s23, 0
	s_cmp_eq_u32 s30, s34
	s_waitcnt lgkmcnt(0)
	v_mul_hi_u32 v8, s37, v7
	s_delay_alu instid0(VALU_DEP_1) | instskip(NEXT) | instid1(VALU_DEP_1)
	v_add_nc_u32_e32 v8, v7, v8
	v_lshrrev_b32_e32 v8, s38, v8
	s_delay_alu instid0(VALU_DEP_1) | instskip(SKIP_1) | instid1(VALU_DEP_2)
	v_mul_hi_u32 v9, s40, v8
	v_mul_lo_u32 v41, v8, s36
	v_add_nc_u32_e32 v9, v8, v9
	s_delay_alu instid0(VALU_DEP_2) | instskip(NEXT) | instid1(VALU_DEP_2)
	v_sub_nc_u32_e32 v41, v7, v41
	v_lshrrev_b32_e32 v9, s41, v9
	s_delay_alu instid0(VALU_DEP_2) | instskip(NEXT) | instid1(VALU_DEP_2)
	v_mul_lo_u32 v41, v41, s48
	v_mul_hi_u32 v10, s43, v9
	v_mul_lo_u32 v42, v9, s39
	s_delay_alu instid0(VALU_DEP_2) | instskip(NEXT) | instid1(VALU_DEP_2)
	v_add_nc_u32_e32 v10, v9, v10
	v_sub_nc_u32_e32 v8, v8, v42
	s_delay_alu instid0(VALU_DEP_2) | instskip(NEXT) | instid1(VALU_DEP_2)
	v_lshrrev_b32_e32 v10, s44, v10
	v_mul_lo_u32 v8, v8, s49
	s_delay_alu instid0(VALU_DEP_2) | instskip(NEXT) | instid1(VALU_DEP_2)
	v_mul_hi_u32 v16, s46, v10
	v_add3_u32 v1, v41, v1, v8
	s_delay_alu instid0(VALU_DEP_2) | instskip(NEXT) | instid1(VALU_DEP_1)
	v_add_nc_u32_e32 v16, v10, v16
	v_lshrrev_b32_e32 v7, s47, v16
	v_mul_lo_u32 v16, v10, s42
	s_delay_alu instid0(VALU_DEP_2) | instskip(NEXT) | instid1(VALU_DEP_2)
	v_mul_lo_u32 v43, v7, s45
	v_sub_nc_u32_e32 v9, v9, v16
	s_delay_alu instid0(VALU_DEP_2) | instskip(NEXT) | instid1(VALU_DEP_2)
	v_sub_nc_u32_e32 v10, v10, v43
	v_mul_lo_u32 v9, v9, s50
	s_delay_alu instid0(VALU_DEP_2) | instskip(NEXT) | instid1(VALU_DEP_1)
	v_mul_lo_u32 v10, v10, s51
	v_add3_u32 v1, v9, v1, v10
	s_cbranch_scc0 .LBB154_39
; %bb.40:                               ;   in Loop: Header=BB154_9 Depth=1
	s_mov_b32 s14, s30
	s_and_not1_b32 vcc_lo, exec_lo, s31
	s_cbranch_vccz .LBB154_43
	s_branch .LBB154_45
.LBB154_41:                             ;   in Loop: Header=BB154_9 Depth=1
                                        ; implicit-def: $vgpr1
	s_branch .LBB154_46
.LBB154_42:                             ;   in Loop: Header=BB154_9 Depth=1
	v_mov_b32_e32 v7, v0
	s_and_not1_b32 vcc_lo, exec_lo, s31
	s_cbranch_vccnz .LBB154_45
.LBB154_43:                             ;   in Loop: Header=BB154_9 Depth=1
	s_lshl_b32 s15, s14, 2
	s_mul_i32 s22, s14, 12
	s_add_u32 s14, s0, s15
	s_addc_u32 s15, s1, 0
	s_add_u32 s22, s18, s22
	s_addc_u32 s23, s19, 0
	s_mov_b32 s34, s28
	.p2align	6
.LBB154_44:                             ;   Parent Loop BB154_9 Depth=1
                                        ; =>  This Inner Loop Header: Depth=2
	s_clause 0x1
	s_load_b64 s[36:37], s[22:23], 0x4
	s_load_b32 s35, s[22:23], 0xc
	s_add_u32 s22, s22, 12
	s_addc_u32 s23, s23, 0
	s_waitcnt lgkmcnt(0)
	v_mul_hi_u32 v8, s37, v7
	s_load_b32 s37, s[14:15], 0x0
	s_add_u32 s14, s14, 4
	s_addc_u32 s15, s15, 0
	s_add_i32 s34, s34, -1
	s_delay_alu instid0(SALU_CYCLE_1) | instskip(NEXT) | instid1(VALU_DEP_1)
	s_cmp_lg_u32 s34, 0
	v_add_nc_u32_e32 v8, v7, v8
	s_delay_alu instid0(VALU_DEP_1) | instskip(NEXT) | instid1(VALU_DEP_1)
	v_lshrrev_b32_e32 v10, s35, v8
	v_mul_lo_u32 v8, v10, s36
	s_delay_alu instid0(VALU_DEP_1) | instskip(SKIP_1) | instid1(VALU_DEP_1)
	v_sub_nc_u32_e32 v7, v7, v8
	s_waitcnt lgkmcnt(0)
	v_mad_u64_u32 v[8:9], null, v7, s37, v[1:2]
	v_mov_b32_e32 v7, v10
	s_delay_alu instid0(VALU_DEP_2)
	v_mov_b32_e32 v1, v8
	s_cbranch_scc1 .LBB154_44
.LBB154_45:                             ;   in Loop: Header=BB154_9 Depth=1
	s_cbranch_execnz .LBB154_7
.LBB154_46:                             ;   in Loop: Header=BB154_9 Depth=1
	v_mul_hi_u32 v1, v0, s6
	s_and_not1_b32 vcc_lo, exec_lo, s4
	s_delay_alu instid0(VALU_DEP_1) | instskip(NEXT) | instid1(VALU_DEP_1)
	v_add_nc_u32_e32 v1, v1, v0
	v_lshrrev_b32_e32 v7, s7, v1
	s_delay_alu instid0(VALU_DEP_1) | instskip(NEXT) | instid1(VALU_DEP_1)
	v_mul_lo_u32 v1, v7, s5
	v_sub_nc_u32_e32 v0, v0, v1
	s_delay_alu instid0(VALU_DEP_1)
	v_mul_lo_u32 v1, v0, s20
	s_cbranch_vccnz .LBB154_7
; %bb.47:                               ;   in Loop: Header=BB154_9 Depth=1
	v_mul_hi_u32 v0, s9, v7
	s_delay_alu instid0(VALU_DEP_1) | instskip(NEXT) | instid1(VALU_DEP_1)
	v_add_nc_u32_e32 v0, v7, v0
	v_lshrrev_b32_e32 v0, s10, v0
	s_delay_alu instid0(VALU_DEP_1) | instskip(NEXT) | instid1(VALU_DEP_1)
	v_mul_lo_u32 v0, v0, s8
	v_sub_nc_u32_e32 v0, v7, v0
	s_delay_alu instid0(VALU_DEP_1) | instskip(NEXT) | instid1(VALU_DEP_1)
	v_mad_u64_u32 v[7:8], null, v0, s21, v[1:2]
	v_mov_b32_e32 v1, v7
	s_branch .LBB154_7
.LBB154_48:
	s_endpgm
.LBB154_49:
                                        ; implicit-def: $sgpr2_sgpr3
	s_branch .LBB154_4
	.section	.rodata,"a",@progbits
	.p2align	6, 0x0
	.amdhsa_kernel _ZN2at6native12_GLOBAL__N_143distribution_elementwise_grid_stride_kernelIfLi4EZNS0_9templates4cuda21uniform_and_transformIN3c108BFloat16EfPNS_17CUDAGeneratorImplEZZZNS4_16bernoulli_kernelIS9_EEvRNS_18TensorIteratorBaseEdT_ENKUlvE_clEvENKUlvE7_clEvEUlfE_EEvSC_T1_T2_EUlP25hiprandStatePhilox4_32_10E_ZNS1_27distribution_nullary_kernelIS7_f15HIP_vector_typeIdLj2EES9_SL_SG_EEvSC_SI_RKT3_T4_EUlifE0_EEvlNS_15PhiloxCudaStateESH_SI_
		.amdhsa_group_segment_fixed_size 0
		.amdhsa_private_segment_fixed_size 0
		.amdhsa_kernarg_size 584
		.amdhsa_user_sgpr_count 15
		.amdhsa_user_sgpr_dispatch_ptr 0
		.amdhsa_user_sgpr_queue_ptr 0
		.amdhsa_user_sgpr_kernarg_segment_ptr 1
		.amdhsa_user_sgpr_dispatch_id 0
		.amdhsa_user_sgpr_private_segment_size 0
		.amdhsa_wavefront_size32 1
		.amdhsa_uses_dynamic_stack 0
		.amdhsa_enable_private_segment 0
		.amdhsa_system_sgpr_workgroup_id_x 1
		.amdhsa_system_sgpr_workgroup_id_y 0
		.amdhsa_system_sgpr_workgroup_id_z 0
		.amdhsa_system_sgpr_workgroup_info 0
		.amdhsa_system_vgpr_workitem_id 0
		.amdhsa_next_free_vgpr 45
		.amdhsa_next_free_sgpr 52
		.amdhsa_reserve_vcc 1
		.amdhsa_float_round_mode_32 0
		.amdhsa_float_round_mode_16_64 0
		.amdhsa_float_denorm_mode_32 3
		.amdhsa_float_denorm_mode_16_64 3
		.amdhsa_dx10_clamp 1
		.amdhsa_ieee_mode 1
		.amdhsa_fp16_overflow 0
		.amdhsa_workgroup_processor_mode 1
		.amdhsa_memory_ordered 1
		.amdhsa_forward_progress 0
		.amdhsa_shared_vgpr_count 0
		.amdhsa_exception_fp_ieee_invalid_op 0
		.amdhsa_exception_fp_denorm_src 0
		.amdhsa_exception_fp_ieee_div_zero 0
		.amdhsa_exception_fp_ieee_overflow 0
		.amdhsa_exception_fp_ieee_underflow 0
		.amdhsa_exception_fp_ieee_inexact 0
		.amdhsa_exception_int_div_zero 0
	.end_amdhsa_kernel
	.section	.text._ZN2at6native12_GLOBAL__N_143distribution_elementwise_grid_stride_kernelIfLi4EZNS0_9templates4cuda21uniform_and_transformIN3c108BFloat16EfPNS_17CUDAGeneratorImplEZZZNS4_16bernoulli_kernelIS9_EEvRNS_18TensorIteratorBaseEdT_ENKUlvE_clEvENKUlvE7_clEvEUlfE_EEvSC_T1_T2_EUlP25hiprandStatePhilox4_32_10E_ZNS1_27distribution_nullary_kernelIS7_f15HIP_vector_typeIdLj2EES9_SL_SG_EEvSC_SI_RKT3_T4_EUlifE0_EEvlNS_15PhiloxCudaStateESH_SI_,"axG",@progbits,_ZN2at6native12_GLOBAL__N_143distribution_elementwise_grid_stride_kernelIfLi4EZNS0_9templates4cuda21uniform_and_transformIN3c108BFloat16EfPNS_17CUDAGeneratorImplEZZZNS4_16bernoulli_kernelIS9_EEvRNS_18TensorIteratorBaseEdT_ENKUlvE_clEvENKUlvE7_clEvEUlfE_EEvSC_T1_T2_EUlP25hiprandStatePhilox4_32_10E_ZNS1_27distribution_nullary_kernelIS7_f15HIP_vector_typeIdLj2EES9_SL_SG_EEvSC_SI_RKT3_T4_EUlifE0_EEvlNS_15PhiloxCudaStateESH_SI_,comdat
.Lfunc_end154:
	.size	_ZN2at6native12_GLOBAL__N_143distribution_elementwise_grid_stride_kernelIfLi4EZNS0_9templates4cuda21uniform_and_transformIN3c108BFloat16EfPNS_17CUDAGeneratorImplEZZZNS4_16bernoulli_kernelIS9_EEvRNS_18TensorIteratorBaseEdT_ENKUlvE_clEvENKUlvE7_clEvEUlfE_EEvSC_T1_T2_EUlP25hiprandStatePhilox4_32_10E_ZNS1_27distribution_nullary_kernelIS7_f15HIP_vector_typeIdLj2EES9_SL_SG_EEvSC_SI_RKT3_T4_EUlifE0_EEvlNS_15PhiloxCudaStateESH_SI_, .Lfunc_end154-_ZN2at6native12_GLOBAL__N_143distribution_elementwise_grid_stride_kernelIfLi4EZNS0_9templates4cuda21uniform_and_transformIN3c108BFloat16EfPNS_17CUDAGeneratorImplEZZZNS4_16bernoulli_kernelIS9_EEvRNS_18TensorIteratorBaseEdT_ENKUlvE_clEvENKUlvE7_clEvEUlfE_EEvSC_T1_T2_EUlP25hiprandStatePhilox4_32_10E_ZNS1_27distribution_nullary_kernelIS7_f15HIP_vector_typeIdLj2EES9_SL_SG_EEvSC_SI_RKT3_T4_EUlifE0_EEvlNS_15PhiloxCudaStateESH_SI_
                                        ; -- End function
	.section	.AMDGPU.csdata,"",@progbits
; Kernel info:
; codeLenInByte = 3960
; NumSgprs: 54
; NumVgprs: 45
; ScratchSize: 0
; MemoryBound: 0
; FloatMode: 240
; IeeeMode: 1
; LDSByteSize: 0 bytes/workgroup (compile time only)
; SGPRBlocks: 6
; VGPRBlocks: 5
; NumSGPRsForWavesPerEU: 54
; NumVGPRsForWavesPerEU: 45
; Occupancy: 16
; WaveLimiterHint : 1
; COMPUTE_PGM_RSRC2:SCRATCH_EN: 0
; COMPUTE_PGM_RSRC2:USER_SGPR: 15
; COMPUTE_PGM_RSRC2:TRAP_HANDLER: 0
; COMPUTE_PGM_RSRC2:TGID_X_EN: 1
; COMPUTE_PGM_RSRC2:TGID_Y_EN: 0
; COMPUTE_PGM_RSRC2:TGID_Z_EN: 0
; COMPUTE_PGM_RSRC2:TIDIG_COMP_CNT: 0
	.section	.text._ZN2at6native12_GLOBAL__N_143distribution_elementwise_grid_stride_kernelIfLi4EZNS0_9templates4cuda21uniform_and_transformIN3c108BFloat16EfPNS_17CUDAGeneratorImplEZZZNS4_16bernoulli_kernelIS9_EEvRNS_18TensorIteratorBaseEdT_ENKUlvE_clEvENKUlvE7_clEvEUlfE_EEvSC_T1_T2_EUlP25hiprandStatePhilox4_32_10E0_ZNS1_27distribution_nullary_kernelIS7_f15HIP_vector_typeIfLj4EES9_SL_SG_EEvSC_SI_RKT3_T4_EUlifE_EEvlNS_15PhiloxCudaStateESH_SI_,"axG",@progbits,_ZN2at6native12_GLOBAL__N_143distribution_elementwise_grid_stride_kernelIfLi4EZNS0_9templates4cuda21uniform_and_transformIN3c108BFloat16EfPNS_17CUDAGeneratorImplEZZZNS4_16bernoulli_kernelIS9_EEvRNS_18TensorIteratorBaseEdT_ENKUlvE_clEvENKUlvE7_clEvEUlfE_EEvSC_T1_T2_EUlP25hiprandStatePhilox4_32_10E0_ZNS1_27distribution_nullary_kernelIS7_f15HIP_vector_typeIfLj4EES9_SL_SG_EEvSC_SI_RKT3_T4_EUlifE_EEvlNS_15PhiloxCudaStateESH_SI_,comdat
	.globl	_ZN2at6native12_GLOBAL__N_143distribution_elementwise_grid_stride_kernelIfLi4EZNS0_9templates4cuda21uniform_and_transformIN3c108BFloat16EfPNS_17CUDAGeneratorImplEZZZNS4_16bernoulli_kernelIS9_EEvRNS_18TensorIteratorBaseEdT_ENKUlvE_clEvENKUlvE7_clEvEUlfE_EEvSC_T1_T2_EUlP25hiprandStatePhilox4_32_10E0_ZNS1_27distribution_nullary_kernelIS7_f15HIP_vector_typeIfLj4EES9_SL_SG_EEvSC_SI_RKT3_T4_EUlifE_EEvlNS_15PhiloxCudaStateESH_SI_ ; -- Begin function _ZN2at6native12_GLOBAL__N_143distribution_elementwise_grid_stride_kernelIfLi4EZNS0_9templates4cuda21uniform_and_transformIN3c108BFloat16EfPNS_17CUDAGeneratorImplEZZZNS4_16bernoulli_kernelIS9_EEvRNS_18TensorIteratorBaseEdT_ENKUlvE_clEvENKUlvE7_clEvEUlfE_EEvSC_T1_T2_EUlP25hiprandStatePhilox4_32_10E0_ZNS1_27distribution_nullary_kernelIS7_f15HIP_vector_typeIfLj4EES9_SL_SG_EEvSC_SI_RKT3_T4_EUlifE_EEvlNS_15PhiloxCudaStateESH_SI_
	.p2align	8
	.type	_ZN2at6native12_GLOBAL__N_143distribution_elementwise_grid_stride_kernelIfLi4EZNS0_9templates4cuda21uniform_and_transformIN3c108BFloat16EfPNS_17CUDAGeneratorImplEZZZNS4_16bernoulli_kernelIS9_EEvRNS_18TensorIteratorBaseEdT_ENKUlvE_clEvENKUlvE7_clEvEUlfE_EEvSC_T1_T2_EUlP25hiprandStatePhilox4_32_10E0_ZNS1_27distribution_nullary_kernelIS7_f15HIP_vector_typeIfLj4EES9_SL_SG_EEvSC_SI_RKT3_T4_EUlifE_EEvlNS_15PhiloxCudaStateESH_SI_,@function
_ZN2at6native12_GLOBAL__N_143distribution_elementwise_grid_stride_kernelIfLi4EZNS0_9templates4cuda21uniform_and_transformIN3c108BFloat16EfPNS_17CUDAGeneratorImplEZZZNS4_16bernoulli_kernelIS9_EEvRNS_18TensorIteratorBaseEdT_ENKUlvE_clEvENKUlvE7_clEvEUlfE_EEvSC_T1_T2_EUlP25hiprandStatePhilox4_32_10E0_ZNS1_27distribution_nullary_kernelIS7_f15HIP_vector_typeIfLj4EES9_SL_SG_EEvSC_SI_RKT3_T4_EUlifE_EEvlNS_15PhiloxCudaStateESH_SI_: ; @_ZN2at6native12_GLOBAL__N_143distribution_elementwise_grid_stride_kernelIfLi4EZNS0_9templates4cuda21uniform_and_transformIN3c108BFloat16EfPNS_17CUDAGeneratorImplEZZZNS4_16bernoulli_kernelIS9_EEvRNS_18TensorIteratorBaseEdT_ENKUlvE_clEvENKUlvE7_clEvEUlfE_EEvSC_T1_T2_EUlP25hiprandStatePhilox4_32_10E0_ZNS1_27distribution_nullary_kernelIS7_f15HIP_vector_typeIfLj4EES9_SL_SG_EEvSC_SI_RKT3_T4_EUlifE_EEvlNS_15PhiloxCudaStateESH_SI_
; %bb.0:
	s_clause 0x2
	s_load_b64 s[8:9], s[0:1], 0x10
	s_load_b128 s[4:7], s[0:1], 0x0
	s_load_b32 s2, s[0:1], 0x20
	s_waitcnt lgkmcnt(0)
	v_dual_mov_b32 v2, s8 :: v_dual_mov_b32 v3, s9
	v_dual_mov_b32 v12, s7 :: v_dual_mov_b32 v11, s6
	s_bitcmp0_b32 s2, 0
	s_mov_b32 s2, 0
	s_cbranch_scc1 .LBB155_2
; %bb.1:
	v_dual_mov_b32 v1, s8 :: v_dual_mov_b32 v2, s9
	v_dual_mov_b32 v4, s6 :: v_dual_mov_b32 v5, s7
	s_load_b64 s[6:7], s[0:1], 0x18
	flat_load_b64 v[2:3], v[1:2]
	flat_load_b64 v[11:12], v[4:5]
	s_waitcnt vmcnt(1) lgkmcnt(0)
	v_add_co_u32 v2, vcc_lo, v2, s6
	v_add_co_ci_u32_e32 v3, vcc_lo, s7, v3, vcc_lo
.LBB155_2:
	s_clause 0x1
	s_load_b32 s3, s[0:1], 0x54
	s_load_b32 s11, s[0:1], 0x48
	s_waitcnt lgkmcnt(0)
	s_and_b32 s10, s3, 0xffff
	s_add_u32 s6, s4, -1
	s_mul_i32 s8, s11, s10
	s_addc_u32 s3, s5, -1
	s_lshl_b32 s9, s8, 2
	s_cmp_lg_u64 s[2:3], 0
	s_cbranch_scc0 .LBB155_27
; %bb.3:
	v_cvt_f32_ubyte0_e32 v1, 0
	v_cvt_f32_u32_e32 v4, s9
	s_sub_u32 s12, 0, s9
	s_subb_u32 s13, 0, 0
	s_delay_alu instid0(VALU_DEP_1) | instskip(NEXT) | instid1(VALU_DEP_1)
	v_fmamk_f32 v1, v1, 0x4f800000, v4
	v_rcp_f32_e32 v1, v1
	s_waitcnt_depctr 0xfff
	v_mul_f32_e32 v1, 0x5f7ffffc, v1
	s_delay_alu instid0(VALU_DEP_1) | instskip(NEXT) | instid1(VALU_DEP_1)
	v_mul_f32_e32 v4, 0x2f800000, v1
	v_trunc_f32_e32 v4, v4
	s_delay_alu instid0(VALU_DEP_1) | instskip(SKIP_1) | instid1(VALU_DEP_2)
	v_fmamk_f32 v1, v4, 0xcf800000, v1
	v_cvt_u32_f32_e32 v4, v4
	v_cvt_u32_f32_e32 v1, v1
	s_delay_alu instid0(VALU_DEP_2) | instskip(NEXT) | instid1(VALU_DEP_2)
	v_readfirstlane_b32 s2, v4
	v_readfirstlane_b32 s7, v1
	s_delay_alu instid0(VALU_DEP_2) | instskip(NEXT) | instid1(VALU_DEP_1)
	s_mul_i32 s14, s12, s2
	s_mul_hi_u32 s17, s12, s7
	s_mul_i32 s16, s13, s7
	s_add_i32 s14, s17, s14
	s_mul_i32 s18, s12, s7
	s_add_i32 s14, s14, s16
	s_mul_hi_u32 s17, s7, s18
	s_mul_hi_u32 s19, s2, s18
	s_mul_i32 s16, s2, s18
	s_mul_hi_u32 s18, s7, s14
	s_mul_i32 s7, s7, s14
	s_mul_hi_u32 s20, s2, s14
	s_add_u32 s7, s17, s7
	s_addc_u32 s17, 0, s18
	s_add_u32 s7, s7, s16
	s_mul_i32 s14, s2, s14
	s_addc_u32 s7, s17, s19
	s_addc_u32 s16, s20, 0
	s_add_u32 s7, s7, s14
	s_addc_u32 s14, 0, s16
	v_add_co_u32 v1, s7, v1, s7
	s_delay_alu instid0(VALU_DEP_1) | instskip(SKIP_1) | instid1(VALU_DEP_1)
	s_cmp_lg_u32 s7, 0
	s_addc_u32 s2, s2, s14
	v_readfirstlane_b32 s7, v1
	s_mul_i32 s14, s12, s2
	s_delay_alu instid0(VALU_DEP_1)
	s_mul_hi_u32 s16, s12, s7
	s_mul_i32 s13, s13, s7
	s_add_i32 s14, s16, s14
	s_mul_i32 s12, s12, s7
	s_add_i32 s14, s14, s13
	s_mul_hi_u32 s16, s2, s12
	s_mul_i32 s17, s2, s12
	s_mul_hi_u32 s12, s7, s12
	s_mul_hi_u32 s18, s7, s14
	s_mul_i32 s7, s7, s14
	s_mul_hi_u32 s13, s2, s14
	s_add_u32 s7, s12, s7
	s_addc_u32 s12, 0, s18
	s_add_u32 s7, s7, s17
	s_mul_i32 s14, s2, s14
	s_addc_u32 s7, s12, s16
	s_addc_u32 s12, s13, 0
	s_add_u32 s7, s7, s14
	s_addc_u32 s12, 0, s12
	v_add_co_u32 v1, s7, v1, s7
	s_delay_alu instid0(VALU_DEP_1) | instskip(SKIP_2) | instid1(VALU_DEP_1)
	s_cmp_lg_u32 s7, 0
	s_addc_u32 s7, s2, s12
	s_ashr_i32 s12, s3, 31
	v_readfirstlane_b32 s14, v1
	s_add_u32 s2, s6, s12
	s_mov_b32 s13, s12
	s_addc_u32 s3, s3, s12
	s_delay_alu instid0(SALU_CYCLE_1) | instskip(NEXT) | instid1(SALU_CYCLE_1)
	s_xor_b64 s[2:3], s[2:3], s[12:13]
	s_mul_i32 s17, s2, s7
	s_mul_hi_u32 s18, s2, s14
	s_mul_hi_u32 s16, s2, s7
	;; [unrolled: 1-line block ×3, first 2 shown]
	s_mul_i32 s14, s3, s14
	s_add_u32 s17, s18, s17
	s_addc_u32 s16, 0, s16
	s_mul_hi_u32 s19, s3, s7
	s_add_u32 s14, s17, s14
	s_mul_i32 s7, s3, s7
	s_addc_u32 s14, s16, s20
	s_addc_u32 s16, s19, 0
	s_add_u32 s7, s14, s7
	s_addc_u32 s14, 0, s16
	s_mul_i32 s17, s9, s7
	s_add_u32 s16, s7, 1
	v_sub_co_u32 v1, s2, s2, s17
	s_mul_hi_u32 s17, s9, s7
	s_addc_u32 s18, s14, 0
	s_mul_i32 s19, s9, s14
	s_delay_alu instid0(VALU_DEP_1)
	v_sub_co_u32 v4, s20, v1, s9
	s_add_u32 s21, s7, 2
	s_addc_u32 s22, s14, 0
	s_add_i32 s17, s17, s19
	s_cmp_lg_u32 s2, 0
	v_readfirstlane_b32 s2, v4
	s_subb_u32 s3, s3, s17
	s_cmp_lg_u32 s20, 0
	s_subb_u32 s17, s3, 0
	s_delay_alu instid0(VALU_DEP_1) | instskip(SKIP_4) | instid1(SALU_CYCLE_1)
	s_cmp_ge_u32 s2, s9
	s_cselect_b32 s2, -1, 0
	s_cmp_eq_u32 s17, 0
	v_readfirstlane_b32 s17, v1
	s_cselect_b32 s2, s2, -1
	s_cmp_lg_u32 s2, 0
	s_cselect_b32 s2, s21, s16
	s_cselect_b32 s16, s22, s18
	s_cmp_ge_u32 s17, s9
	s_cselect_b32 s17, -1, 0
	s_cmp_eq_u32 s3, 0
	s_cselect_b32 s3, s17, -1
	s_delay_alu instid0(SALU_CYCLE_1) | instskip(SKIP_2) | instid1(SALU_CYCLE_1)
	s_cmp_lg_u32 s3, 0
	s_cselect_b32 s3, s16, s14
	s_cselect_b32 s2, s2, s7
	s_xor_b64 s[2:3], s[2:3], s[12:13]
	s_delay_alu instid0(SALU_CYCLE_1)
	s_sub_u32 s2, s2, s12
	s_subb_u32 s3, s3, s12
	s_cbranch_execnz .LBB155_5
.LBB155_4:
	v_cvt_f32_u32_e32 v1, s9
	s_sub_i32 s3, 0, s9
	s_delay_alu instid0(VALU_DEP_1) | instskip(SKIP_2) | instid1(VALU_DEP_1)
	v_rcp_iflag_f32_e32 v1, v1
	s_waitcnt_depctr 0xfff
	v_mul_f32_e32 v1, 0x4f7ffffe, v1
	v_cvt_u32_f32_e32 v1, v1
	s_delay_alu instid0(VALU_DEP_1) | instskip(NEXT) | instid1(VALU_DEP_1)
	v_readfirstlane_b32 s2, v1
	s_mul_i32 s3, s3, s2
	s_delay_alu instid0(SALU_CYCLE_1) | instskip(NEXT) | instid1(SALU_CYCLE_1)
	s_mul_hi_u32 s3, s2, s3
	s_add_i32 s2, s2, s3
	s_delay_alu instid0(SALU_CYCLE_1) | instskip(NEXT) | instid1(SALU_CYCLE_1)
	s_mul_hi_u32 s2, s6, s2
	s_mul_i32 s3, s2, s9
	s_delay_alu instid0(SALU_CYCLE_1)
	s_sub_i32 s3, s6, s3
	s_add_i32 s6, s2, 1
	s_sub_i32 s7, s3, s9
	s_cmp_ge_u32 s3, s9
	s_cselect_b32 s2, s6, s2
	s_cselect_b32 s3, s7, s3
	s_add_i32 s6, s2, 1
	s_cmp_ge_u32 s3, s9
	s_mov_b32 s3, 0
	s_cselect_b32 s2, s6, s2
.LBB155_5:
	v_mov_b32_e32 v1, 0
	s_add_u32 s2, s2, 1
	s_addc_u32 s3, s3, 0
	s_mul_hi_u32 s6, s8, s2
	s_mul_i32 s3, s8, s3
	v_mad_u64_u32 v[13:14], null, s10, s15, v[0:1]
	s_mul_hi_u32 s7, s11, s10
	s_add_i32 s3, s6, s3
	s_mul_i32 s7, s7, s2
	s_mul_i32 s2, s8, s2
	s_add_i32 s3, s3, s7
	s_mov_b32 s6, exec_lo
	s_lshl_b64 s[2:3], s[2:3], 2
	s_delay_alu instid0(SALU_CYCLE_1)
	v_cmpx_gt_i64_e64 s[2:3], v[13:14]
	s_cbranch_execz .LBB155_26
; %bb.6:
	v_alignbit_b32 v17, v3, v2, 2
	v_mad_u64_u32 v[6:7], null, 0xcd9e8d57, v13, 0
	v_lshrrev_b32_e32 v18, 2, v3
	s_waitcnt vmcnt(0)
	v_dual_mov_b32 v15, v12 :: v_dual_add_nc_u32 v28, 0x8ff34781, v11
	v_mad_u64_u32 v[4:5], null, 0xd2511f53, v17, 0
	v_add_co_u32 v20, null, 0x9e3779b9, v11
	v_xor3_b32 v3, v11, v7, v18
	s_delay_alu instid0(VALU_DEP_4) | instskip(SKIP_2) | instid1(VALU_DEP_4)
	v_add_co_u32 v19, null, 0xbb67ae85, v15
	v_add_co_u32 v21, null, 0x3c6ef372, v11
	v_xor_b32_e32 v1, v5, v12
	v_mad_u64_u32 v[7:8], null, 0xd2511f53, v3, 0
	v_add_co_u32 v22, null, 0x76cf5d0a, v15
	s_delay_alu instid0(VALU_DEP_3) | instskip(SKIP_2) | instid1(VALU_DEP_3)
	v_xor_b32_e32 v1, v1, v14
	v_add_co_u32 v23, null, 0x32370b8f, v15
	v_add_co_u32 v24, null, 0xdaa66d2b, v11
	v_mad_u64_u32 v[9:10], null, 0xcd9e8d57, v1, 0
	v_xor3_b32 v1, v19, v8, v4
	v_add_co_u32 v25, null, 0x78dde6e4, v11
	v_add_co_u32 v26, null, 0xed9eba14, v15
	s_delay_alu instid0(VALU_DEP_3) | instskip(SKIP_3) | instid1(VALU_DEP_3)
	v_mad_u64_u32 v[3:4], null, 0xcd9e8d57, v1, 0
	v_xor3_b32 v8, v20, v10, v6
	v_dual_mov_b32 v38, v13 :: v_dual_and_b32 v27, 3, v2
	v_add_co_u32 v29, null, 0xa9066899, v15
	v_mad_u64_u32 v[5:6], null, 0xd2511f53, v8, 0
	v_xor3_b32 v1, v21, v4, v9
	v_add_co_u32 v30, null, 0x1715609d, v11
	s_clause 0x2
	s_load_b64 s[6:7], s[0:1], 0x30
	s_load_b32 s14, s[0:1], 0x38
	s_load_b64 s[12:13], s[0:1], 0x40
	v_add_co_u32 v33, null, 0xb54cda56, v11
	v_xor3_b32 v4, v22, v6, v7
	v_mad_u64_u32 v[6:7], null, 0xd2511f53, v1, 0
	v_add_co_u32 v35, null, 0x646e171e, v15
	s_delay_alu instid0(VALU_DEP_3) | instskip(SKIP_1) | instid1(VALU_DEP_4)
	v_mad_u64_u32 v[8:9], null, 0xcd9e8d57, v4, 0
	v_add_co_u32 v36, null, 0x1fd5c5a3, v15
	v_xor3_b32 v1, v23, v7, v5
	v_add_co_u32 v32, null, 0x5384540f, v11
	v_add_co_u32 v34, null, 0xf1bbcdc8, v11
	v_xor3_b32 v5, v24, v9, v3
	s_delay_alu instid0(VALU_DEP_4)
	v_mad_u64_u32 v[3:4], null, 0xcd9e8d57, v1, 0
	s_waitcnt lgkmcnt(0)
	v_cvt_f32_f64_e32 v37, s[12:13]
	s_mul_i32 s16, s11, 3
	v_mad_u64_u32 v[9:10], null, 0xd2511f53, v5, 0
	s_add_i32 s18, s15, s11
	s_add_i32 s12, s15, s16
	s_delay_alu instid0(VALU_DEP_3) | instskip(SKIP_2) | instid1(VALU_DEP_3)
	v_xor3_b32 v4, v25, v4, v8
	v_add_co_u32 v39, null, 0xdb3d7428, v15
	s_lshl_b32 s17, s11, 1
	v_xor3_b32 v6, v26, v10, v6
	s_delay_alu instid0(VALU_DEP_3) | instskip(SKIP_1) | instid1(VALU_DEP_3)
	v_mad_u64_u32 v[1:2], null, 0xd2511f53, v4, 0
	v_dual_mov_b32 v44, v14 :: v_dual_add_nc_u32 v31, 0x96a522ad, v12
	v_mad_u64_u32 v[4:5], null, 0xcd9e8d57, v6, 0
	s_mul_i32 s11, s11, s14
	s_mov_b32 s0, 0
	s_delay_alu instid0(VALU_DEP_3) | instskip(SKIP_3) | instid1(VALU_DEP_2)
	v_xor3_b32 v6, v29, v2, v9
	s_mul_i32 s11, s11, s10
	s_lshl_b32 s1, s8, 1
	s_lshl_b32 s11, s11, 2
	v_xor3_b32 v7, v30, v5, v3
	v_mad_u64_u32 v[2:3], null, 0xcd9e8d57, v6, 0
	s_delay_alu instid0(VALU_DEP_2) | instskip(NEXT) | instid1(VALU_DEP_2)
	v_mad_u64_u32 v[5:6], null, 0xd2511f53, v7, 0
	v_xor3_b32 v8, v33, v3, v4
	v_mad_u64_u32 v[3:4], null, s15, s10, v[0:1]
	s_add_i32 s15, s15, s17
	s_delay_alu instid0(VALU_DEP_3) | instskip(NEXT) | instid1(VALU_DEP_3)
	v_xor3_b32 v1, v35, v6, v1
	v_mad_u64_u32 v[6:7], null, 0xd2511f53, v8, 0
	s_delay_alu instid0(VALU_DEP_2) | instskip(NEXT) | instid1(VALU_DEP_4)
	v_mad_u64_u32 v[8:9], null, 0xcd9e8d57, v1, 0
	v_mul_lo_u32 v40, s14, v3
	s_delay_alu instid0(VALU_DEP_3) | instskip(NEXT) | instid1(VALU_DEP_3)
	v_xor3_b32 v1, v36, v7, v5
	v_xor3_b32 v2, v32, v9, v2
	s_delay_alu instid0(VALU_DEP_2) | instskip(SKIP_1) | instid1(VALU_DEP_3)
	v_mad_u64_u32 v[4:5], null, 0xcd9e8d57, v1, 0
	v_mad_u64_u32 v[15:16], null, s18, s10, v[0:1]
	;; [unrolled: 1-line block ×4, first 2 shown]
	s_delay_alu instid0(VALU_DEP_4) | instskip(SKIP_1) | instid1(VALU_DEP_4)
	v_xor3_b32 v1, v34, v5, v8
	s_mov_b32 s12, 0
	v_mul_lo_u32 v43, s14, v15
	s_delay_alu instid0(VALU_DEP_4) | instskip(NEXT) | instid1(VALU_DEP_3)
	v_xor3_b32 v8, v39, v10, v6
	v_mad_u64_u32 v[5:6], null, s15, s10, v[0:1]
	v_mad_u64_u32 v[6:7], null, 0xd2511f53, v1, 0
	s_delay_alu instid0(VALU_DEP_3) | instskip(SKIP_2) | instid1(VALU_DEP_4)
	v_mad_u64_u32 v[1:2], null, 0xcd9e8d57, v8, 0
	v_mul_lo_u32 v41, s14, v41
	s_mul_i32 s10, s8, 3
	v_mul_lo_u32 v42, s14, v5
	s_delay_alu instid0(VALU_DEP_4) | instskip(NEXT) | instid1(VALU_DEP_4)
	v_mov_b32_e32 v3, v6
	v_xor3_b32 v0, v2, v4, v28
	v_xor3_b32 v2, v7, v9, v31
	s_branch .LBB155_8
.LBB155_7:                              ;   in Loop: Header=BB155_8 Depth=1
	s_or_b32 exec_lo, exec_lo, s13
	v_add_co_u32 v13, vcc_lo, v13, s9
	v_add_co_ci_u32_e32 v14, vcc_lo, 0, v14, vcc_lo
	v_mov_b32_e32 v7, v15
	v_dual_mov_b32 v0, v4 :: v_dual_mov_b32 v1, v5
	s_delay_alu instid0(VALU_DEP_3) | instskip(NEXT) | instid1(VALU_DEP_3)
	v_cmp_le_i64_e32 vcc_lo, s[2:3], v[13:14]
	v_dual_mov_b32 v2, v6 :: v_dual_mov_b32 v3, v7
	s_add_i32 s12, s12, s11
	s_waitcnt_vscnt null, 0x0
	s_barrier
	s_or_b32 s0, vcc_lo, s0
	buffer_gl0_inv
	s_and_not1_b32 exec_lo, exec_lo, s0
	s_cbranch_execz .LBB155_26
.LBB155_8:                              ; =>This Inner Loop Header: Depth=1
	v_add_co_u32 v17, vcc_lo, v17, 1
	s_delay_alu instid0(VALU_DEP_1) | instskip(SKIP_2) | instid1(VALU_DEP_1)
	v_cndmask_b32_e64 v4, 0, 1, vcc_lo
	v_add_co_ci_u32_e32 v18, vcc_lo, 0, v18, vcc_lo
	s_mov_b32 s13, exec_lo
	v_cmp_eq_u32_e32 vcc_lo, 0, v18
	s_delay_alu instid0(VALU_DEP_3) | instskip(NEXT) | instid1(VALU_DEP_1)
	v_cndmask_b32_e32 v4, 0, v4, vcc_lo
	v_add_nc_u32_e32 v38, v4, v38
	s_delay_alu instid0(VALU_DEP_1) | instskip(SKIP_2) | instid1(VALU_DEP_2)
	v_cmp_eq_u32_e32 vcc_lo, 0, v38
	v_mad_u64_u32 v[6:7], null, 0xcd9e8d57, v38, 0
	v_cndmask_b32_e32 v4, 0, v4, vcc_lo
	v_xor3_b32 v9, v7, v11, v18
	s_delay_alu instid0(VALU_DEP_2) | instskip(SKIP_1) | instid1(VALU_DEP_3)
	v_add_nc_u32_e32 v44, v4, v44
	v_mad_u64_u32 v[4:5], null, 0xd2511f53, v17, 0
	v_mad_u64_u32 v[7:8], null, 0xd2511f53, v9, 0
	s_delay_alu instid0(VALU_DEP_2) | instskip(NEXT) | instid1(VALU_DEP_2)
	v_xor_b32_e32 v5, v5, v12
	v_xor3_b32 v8, v19, v8, v4
	s_delay_alu instid0(VALU_DEP_2) | instskip(NEXT) | instid1(VALU_DEP_1)
	v_xor_b32_e32 v5, v44, v5
	v_mad_u64_u32 v[9:10], null, 0xcd9e8d57, v5, 0
	s_delay_alu instid0(VALU_DEP_3) | instskip(NEXT) | instid1(VALU_DEP_2)
	v_mad_u64_u32 v[4:5], null, 0xcd9e8d57, v8, 0
	v_xor3_b32 v6, v20, v10, v6
	s_delay_alu instid0(VALU_DEP_2) | instskip(NEXT) | instid1(VALU_DEP_2)
	v_xor3_b32 v8, v21, v5, v9
	v_mad_u64_u32 v[15:16], null, 0xd2511f53, v6, 0
	s_delay_alu instid0(VALU_DEP_2) | instskip(NEXT) | instid1(VALU_DEP_2)
	v_mad_u64_u32 v[5:6], null, 0xd2511f53, v8, 0
	v_xor3_b32 v9, v22, v16, v7
	s_delay_alu instid0(VALU_DEP_2) | instskip(NEXT) | instid1(VALU_DEP_2)
	v_xor3_b32 v6, v23, v6, v15
	v_mad_u64_u32 v[7:8], null, 0xcd9e8d57, v9, 0
	s_delay_alu instid0(VALU_DEP_1) | instskip(NEXT) | instid1(VALU_DEP_3)
	v_xor3_b32 v4, v24, v8, v4
	v_mad_u64_u32 v[8:9], null, 0xcd9e8d57, v6, 0
	s_delay_alu instid0(VALU_DEP_2) | instskip(NEXT) | instid1(VALU_DEP_2)
	v_mad_u64_u32 v[15:16], null, 0xd2511f53, v4, 0
	v_xor3_b32 v6, v25, v9, v7
	s_delay_alu instid0(VALU_DEP_2) | instskip(NEXT) | instid1(VALU_DEP_2)
	v_xor3_b32 v9, v26, v16, v5
	v_mad_u64_u32 v[4:5], null, 0xd2511f53, v6, 0
	s_delay_alu instid0(VALU_DEP_2) | instskip(NEXT) | instid1(VALU_DEP_2)
	v_mad_u64_u32 v[6:7], null, 0xcd9e8d57, v9, 0
	v_xor3_b32 v5, v29, v5, v15
	s_delay_alu instid0(VALU_DEP_2) | instskip(NEXT) | instid1(VALU_DEP_2)
	v_xor3_b32 v15, v30, v7, v8
	v_mad_u64_u32 v[7:8], null, 0xcd9e8d57, v5, 0
	s_delay_alu instid0(VALU_DEP_2) | instskip(NEXT) | instid1(VALU_DEP_2)
	v_mad_u64_u32 v[9:10], null, 0xd2511f53, v15, 0
	v_xor3_b32 v6, v33, v8, v6
	s_delay_alu instid0(VALU_DEP_2) | instskip(NEXT) | instid1(VALU_DEP_2)
	v_xor3_b32 v8, v35, v10, v4
	v_mad_u64_u32 v[4:5], null, 0xd2511f53, v6, 0
	s_delay_alu instid0(VALU_DEP_2) | instskip(NEXT) | instid1(VALU_DEP_2)
	v_mad_u64_u32 v[15:16], null, 0xcd9e8d57, v8, 0
	v_xor3_b32 v5, v36, v5, v9
	s_delay_alu instid0(VALU_DEP_2) | instskip(NEXT) | instid1(VALU_DEP_2)
	v_xor3_b32 v6, v32, v16, v7
	v_mad_u64_u32 v[7:8], null, 0xcd9e8d57, v5, 0
	s_delay_alu instid0(VALU_DEP_2) | instskip(NEXT) | instid1(VALU_DEP_2)
	v_mad_u64_u32 v[9:10], null, 0xd2511f53, v6, 0
	v_xor3_b32 v5, v34, v8, v15
	s_delay_alu instid0(VALU_DEP_2) | instskip(NEXT) | instid1(VALU_DEP_2)
	v_xor3_b32 v4, v39, v10, v4
	v_mad_u64_u32 v[15:16], null, 0xd2511f53, v5, 0
	s_delay_alu instid0(VALU_DEP_2) | instskip(NEXT) | instid1(VALU_DEP_2)
	v_mad_u64_u32 v[5:6], null, 0xcd9e8d57, v4, 0
	v_xor3_b32 v10, v16, v9, v31
	s_delay_alu instid0(VALU_DEP_2) | instskip(NEXT) | instid1(VALU_DEP_2)
	v_xor3_b32 v4, v6, v7, v28
	v_mov_b32_e32 v6, v10
	v_cmpx_lt_i32_e32 1, v27
	s_xor_b32 s13, exec_lo, s13
	s_cbranch_execnz .LBB155_18
; %bb.9:                                ;   in Loop: Header=BB155_8 Depth=1
	s_and_not1_saveexec_b32 s13, s13
	s_cbranch_execnz .LBB155_23
.LBB155_10:                             ;   in Loop: Header=BB155_8 Depth=1
	s_or_b32 exec_lo, exec_lo, s13
	s_delay_alu instid0(SALU_CYCLE_1)
	s_mov_b32 s13, exec_lo
	v_cmpx_gt_i64_e64 s[4:5], v[13:14]
	s_cbranch_execz .LBB155_12
.LBB155_11:                             ;   in Loop: Header=BB155_8 Depth=1
	v_add_nc_u32_e32 v7, s12, v40
	v_cvt_f32_u32_e32 v0, v0
	s_delay_alu instid0(VALU_DEP_2) | instskip(NEXT) | instid1(VALU_DEP_2)
	v_ashrrev_i32_e32 v8, 31, v7
	v_fmaak_f32 v0, 0x2f800000, v0, 0x2f800000
	v_add_co_u32 v7, vcc_lo, s6, v7
	s_delay_alu instid0(VALU_DEP_3) | instskip(NEXT) | instid1(VALU_DEP_3)
	v_add_co_ci_u32_e32 v8, vcc_lo, s7, v8, vcc_lo
	v_cmp_lt_f32_e32 vcc_lo, v0, v37
	v_cndmask_b32_e64 v0, 0, 1.0, vcc_lo
	global_store_d16_hi_b16 v[7:8], v0, off
.LBB155_12:                             ;   in Loop: Header=BB155_8 Depth=1
	s_or_b32 exec_lo, exec_lo, s13
	v_add_co_u32 v7, vcc_lo, s8, v13
	v_add_co_ci_u32_e32 v8, vcc_lo, 0, v14, vcc_lo
	s_mov_b32 s13, exec_lo
	s_delay_alu instid0(VALU_DEP_1)
	v_cmpx_gt_i64_e64 s[4:5], v[7:8]
	s_cbranch_execz .LBB155_14
; %bb.13:                               ;   in Loop: Header=BB155_8 Depth=1
	v_add_nc_u32_e32 v0, s12, v43
	v_cvt_f32_u32_e32 v1, v1
	s_delay_alu instid0(VALU_DEP_2) | instskip(NEXT) | instid1(VALU_DEP_2)
	v_ashrrev_i32_e32 v7, 31, v0
	v_fmaak_f32 v8, 0x2f800000, v1, 0x2f800000
	v_add_co_u32 v0, vcc_lo, s6, v0
	s_delay_alu instid0(VALU_DEP_3) | instskip(NEXT) | instid1(VALU_DEP_3)
	v_add_co_ci_u32_e32 v1, vcc_lo, s7, v7, vcc_lo
	v_cmp_lt_f32_e32 vcc_lo, v8, v37
	v_cndmask_b32_e64 v7, 0, 1.0, vcc_lo
	global_store_d16_hi_b16 v[0:1], v7, off
.LBB155_14:                             ;   in Loop: Header=BB155_8 Depth=1
	s_or_b32 exec_lo, exec_lo, s13
	v_add_co_u32 v0, vcc_lo, s1, v13
	v_add_co_ci_u32_e32 v1, vcc_lo, 0, v14, vcc_lo
	s_mov_b32 s13, exec_lo
	s_delay_alu instid0(VALU_DEP_1)
	v_cmpx_gt_i64_e64 s[4:5], v[0:1]
	s_cbranch_execz .LBB155_16
; %bb.15:                               ;   in Loop: Header=BB155_8 Depth=1
	v_cvt_f32_u32_e32 v1, v2
	s_delay_alu instid0(VALU_DEP_1) | instskip(NEXT) | instid1(VALU_DEP_1)
	v_dual_fmaak_f32 v7, 0x2f800000, v1, 0x2f800000 :: v_dual_add_nc_u32 v0, s12, v42
	v_ashrrev_i32_e32 v2, 31, v0
	v_add_co_u32 v0, vcc_lo, s6, v0
	s_delay_alu instid0(VALU_DEP_2) | instskip(NEXT) | instid1(VALU_DEP_4)
	v_add_co_ci_u32_e32 v1, vcc_lo, s7, v2, vcc_lo
	v_cmp_lt_f32_e32 vcc_lo, v7, v37
	v_cndmask_b32_e64 v2, 0, 1.0, vcc_lo
	global_store_d16_hi_b16 v[0:1], v2, off
.LBB155_16:                             ;   in Loop: Header=BB155_8 Depth=1
	s_or_b32 exec_lo, exec_lo, s13
	v_add_co_u32 v0, vcc_lo, s10, v13
	v_add_co_ci_u32_e32 v1, vcc_lo, 0, v14, vcc_lo
	s_mov_b32 s13, exec_lo
	s_delay_alu instid0(VALU_DEP_1)
	v_cmpx_gt_i64_e64 s[4:5], v[0:1]
	s_cbranch_execz .LBB155_7
; %bb.17:                               ;   in Loop: Header=BB155_8 Depth=1
	v_add_nc_u32_e32 v0, s12, v41
	v_cvt_f32_u32_e32 v1, v3
	s_delay_alu instid0(VALU_DEP_2) | instskip(NEXT) | instid1(VALU_DEP_2)
	v_ashrrev_i32_e32 v2, 31, v0
	v_fmaak_f32 v3, 0x2f800000, v1, 0x2f800000
	v_add_co_u32 v0, vcc_lo, s6, v0
	s_delay_alu instid0(VALU_DEP_3) | instskip(NEXT) | instid1(VALU_DEP_3)
	v_add_co_ci_u32_e32 v1, vcc_lo, s7, v2, vcc_lo
	v_cmp_lt_f32_e32 vcc_lo, v3, v37
	v_cndmask_b32_e64 v2, 0, 1.0, vcc_lo
	global_store_d16_hi_b16 v[0:1], v2, off
	s_branch .LBB155_7
.LBB155_18:                             ;   in Loop: Header=BB155_8 Depth=1
	s_mov_b32 s14, exec_lo
	v_cmpx_lt_i32_e32 2, v27
	s_xor_b32 s14, exec_lo, s14
; %bb.19:                               ;   in Loop: Header=BB155_8 Depth=1
	v_dual_mov_b32 v7, v3 :: v_dual_mov_b32 v8, v4
	v_mov_b32_e32 v9, v5
	s_delay_alu instid0(VALU_DEP_2) | instskip(NEXT) | instid1(VALU_DEP_2)
	v_dual_mov_b32 v0, v7 :: v_dual_mov_b32 v1, v8
	v_dual_mov_b32 v2, v9 :: v_dual_mov_b32 v3, v10
; %bb.20:                               ;   in Loop: Header=BB155_8 Depth=1
	s_and_not1_saveexec_b32 s14, s14
; %bb.21:                               ;   in Loop: Header=BB155_8 Depth=1
	s_delay_alu instid0(VALU_DEP_1)
	v_dual_mov_b32 v0, v2 :: v_dual_mov_b32 v1, v3
	v_dual_mov_b32 v2, v4 :: v_dual_mov_b32 v3, v5
; %bb.22:                               ;   in Loop: Header=BB155_8 Depth=1
	s_or_b32 exec_lo, exec_lo, s14
	s_and_not1_saveexec_b32 s13, s13
	s_cbranch_execz .LBB155_10
.LBB155_23:                             ;   in Loop: Header=BB155_8 Depth=1
	s_mov_b32 s14, exec_lo
	v_cmpx_eq_u32_e32 1, v27
; %bb.24:                               ;   in Loop: Header=BB155_8 Depth=1
	v_dual_mov_b32 v0, v1 :: v_dual_mov_b32 v1, v2
	v_dual_mov_b32 v2, v3 :: v_dual_mov_b32 v3, v4
; %bb.25:                               ;   in Loop: Header=BB155_8 Depth=1
	s_or_b32 exec_lo, exec_lo, s14
	s_delay_alu instid0(SALU_CYCLE_1) | instskip(NEXT) | instid1(SALU_CYCLE_1)
	s_or_b32 exec_lo, exec_lo, s13
	s_mov_b32 s13, exec_lo
	v_cmpx_gt_i64_e64 s[4:5], v[13:14]
	s_cbranch_execnz .LBB155_11
	s_branch .LBB155_12
.LBB155_26:
	s_endpgm
.LBB155_27:
                                        ; implicit-def: $sgpr2_sgpr3
	s_branch .LBB155_4
	.section	.rodata,"a",@progbits
	.p2align	6, 0x0
	.amdhsa_kernel _ZN2at6native12_GLOBAL__N_143distribution_elementwise_grid_stride_kernelIfLi4EZNS0_9templates4cuda21uniform_and_transformIN3c108BFloat16EfPNS_17CUDAGeneratorImplEZZZNS4_16bernoulli_kernelIS9_EEvRNS_18TensorIteratorBaseEdT_ENKUlvE_clEvENKUlvE7_clEvEUlfE_EEvSC_T1_T2_EUlP25hiprandStatePhilox4_32_10E0_ZNS1_27distribution_nullary_kernelIS7_f15HIP_vector_typeIfLj4EES9_SL_SG_EEvSC_SI_RKT3_T4_EUlifE_EEvlNS_15PhiloxCudaStateESH_SI_
		.amdhsa_group_segment_fixed_size 0
		.amdhsa_private_segment_fixed_size 0
		.amdhsa_kernarg_size 328
		.amdhsa_user_sgpr_count 15
		.amdhsa_user_sgpr_dispatch_ptr 0
		.amdhsa_user_sgpr_queue_ptr 0
		.amdhsa_user_sgpr_kernarg_segment_ptr 1
		.amdhsa_user_sgpr_dispatch_id 0
		.amdhsa_user_sgpr_private_segment_size 0
		.amdhsa_wavefront_size32 1
		.amdhsa_uses_dynamic_stack 0
		.amdhsa_enable_private_segment 0
		.amdhsa_system_sgpr_workgroup_id_x 1
		.amdhsa_system_sgpr_workgroup_id_y 0
		.amdhsa_system_sgpr_workgroup_id_z 0
		.amdhsa_system_sgpr_workgroup_info 0
		.amdhsa_system_vgpr_workitem_id 0
		.amdhsa_next_free_vgpr 45
		.amdhsa_next_free_sgpr 23
		.amdhsa_reserve_vcc 1
		.amdhsa_float_round_mode_32 0
		.amdhsa_float_round_mode_16_64 0
		.amdhsa_float_denorm_mode_32 3
		.amdhsa_float_denorm_mode_16_64 3
		.amdhsa_dx10_clamp 1
		.amdhsa_ieee_mode 1
		.amdhsa_fp16_overflow 0
		.amdhsa_workgroup_processor_mode 1
		.amdhsa_memory_ordered 1
		.amdhsa_forward_progress 0
		.amdhsa_shared_vgpr_count 0
		.amdhsa_exception_fp_ieee_invalid_op 0
		.amdhsa_exception_fp_denorm_src 0
		.amdhsa_exception_fp_ieee_div_zero 0
		.amdhsa_exception_fp_ieee_overflow 0
		.amdhsa_exception_fp_ieee_underflow 0
		.amdhsa_exception_fp_ieee_inexact 0
		.amdhsa_exception_int_div_zero 0
	.end_amdhsa_kernel
	.section	.text._ZN2at6native12_GLOBAL__N_143distribution_elementwise_grid_stride_kernelIfLi4EZNS0_9templates4cuda21uniform_and_transformIN3c108BFloat16EfPNS_17CUDAGeneratorImplEZZZNS4_16bernoulli_kernelIS9_EEvRNS_18TensorIteratorBaseEdT_ENKUlvE_clEvENKUlvE7_clEvEUlfE_EEvSC_T1_T2_EUlP25hiprandStatePhilox4_32_10E0_ZNS1_27distribution_nullary_kernelIS7_f15HIP_vector_typeIfLj4EES9_SL_SG_EEvSC_SI_RKT3_T4_EUlifE_EEvlNS_15PhiloxCudaStateESH_SI_,"axG",@progbits,_ZN2at6native12_GLOBAL__N_143distribution_elementwise_grid_stride_kernelIfLi4EZNS0_9templates4cuda21uniform_and_transformIN3c108BFloat16EfPNS_17CUDAGeneratorImplEZZZNS4_16bernoulli_kernelIS9_EEvRNS_18TensorIteratorBaseEdT_ENKUlvE_clEvENKUlvE7_clEvEUlfE_EEvSC_T1_T2_EUlP25hiprandStatePhilox4_32_10E0_ZNS1_27distribution_nullary_kernelIS7_f15HIP_vector_typeIfLj4EES9_SL_SG_EEvSC_SI_RKT3_T4_EUlifE_EEvlNS_15PhiloxCudaStateESH_SI_,comdat
.Lfunc_end155:
	.size	_ZN2at6native12_GLOBAL__N_143distribution_elementwise_grid_stride_kernelIfLi4EZNS0_9templates4cuda21uniform_and_transformIN3c108BFloat16EfPNS_17CUDAGeneratorImplEZZZNS4_16bernoulli_kernelIS9_EEvRNS_18TensorIteratorBaseEdT_ENKUlvE_clEvENKUlvE7_clEvEUlfE_EEvSC_T1_T2_EUlP25hiprandStatePhilox4_32_10E0_ZNS1_27distribution_nullary_kernelIS7_f15HIP_vector_typeIfLj4EES9_SL_SG_EEvSC_SI_RKT3_T4_EUlifE_EEvlNS_15PhiloxCudaStateESH_SI_, .Lfunc_end155-_ZN2at6native12_GLOBAL__N_143distribution_elementwise_grid_stride_kernelIfLi4EZNS0_9templates4cuda21uniform_and_transformIN3c108BFloat16EfPNS_17CUDAGeneratorImplEZZZNS4_16bernoulli_kernelIS9_EEvRNS_18TensorIteratorBaseEdT_ENKUlvE_clEvENKUlvE7_clEvEUlfE_EEvSC_T1_T2_EUlP25hiprandStatePhilox4_32_10E0_ZNS1_27distribution_nullary_kernelIS7_f15HIP_vector_typeIfLj4EES9_SL_SG_EEvSC_SI_RKT3_T4_EUlifE_EEvlNS_15PhiloxCudaStateESH_SI_
                                        ; -- End function
	.section	.AMDGPU.csdata,"",@progbits
; Kernel info:
; codeLenInByte = 2928
; NumSgprs: 25
; NumVgprs: 45
; ScratchSize: 0
; MemoryBound: 0
; FloatMode: 240
; IeeeMode: 1
; LDSByteSize: 0 bytes/workgroup (compile time only)
; SGPRBlocks: 3
; VGPRBlocks: 5
; NumSGPRsForWavesPerEU: 25
; NumVGPRsForWavesPerEU: 45
; Occupancy: 16
; WaveLimiterHint : 0
; COMPUTE_PGM_RSRC2:SCRATCH_EN: 0
; COMPUTE_PGM_RSRC2:USER_SGPR: 15
; COMPUTE_PGM_RSRC2:TRAP_HANDLER: 0
; COMPUTE_PGM_RSRC2:TGID_X_EN: 1
; COMPUTE_PGM_RSRC2:TGID_Y_EN: 0
; COMPUTE_PGM_RSRC2:TGID_Z_EN: 0
; COMPUTE_PGM_RSRC2:TIDIG_COMP_CNT: 0
	.section	.text._ZN2at6native12_GLOBAL__N_143distribution_elementwise_grid_stride_kernelIfLi4EZNS0_9templates4cuda21uniform_and_transformIN3c108BFloat16EfPNS_17CUDAGeneratorImplEZZZNS4_16bernoulli_kernelIS9_EEvRNS_18TensorIteratorBaseEdT_ENKUlvE_clEvENKUlvE7_clEvEUlfE_EEvSC_T1_T2_EUlP25hiprandStatePhilox4_32_10E0_ZNS1_27distribution_nullary_kernelIS7_f15HIP_vector_typeIfLj4EES9_SL_SG_EEvSC_SI_RKT3_T4_EUlifE0_EEvlNS_15PhiloxCudaStateESH_SI_,"axG",@progbits,_ZN2at6native12_GLOBAL__N_143distribution_elementwise_grid_stride_kernelIfLi4EZNS0_9templates4cuda21uniform_and_transformIN3c108BFloat16EfPNS_17CUDAGeneratorImplEZZZNS4_16bernoulli_kernelIS9_EEvRNS_18TensorIteratorBaseEdT_ENKUlvE_clEvENKUlvE7_clEvEUlfE_EEvSC_T1_T2_EUlP25hiprandStatePhilox4_32_10E0_ZNS1_27distribution_nullary_kernelIS7_f15HIP_vector_typeIfLj4EES9_SL_SG_EEvSC_SI_RKT3_T4_EUlifE0_EEvlNS_15PhiloxCudaStateESH_SI_,comdat
	.globl	_ZN2at6native12_GLOBAL__N_143distribution_elementwise_grid_stride_kernelIfLi4EZNS0_9templates4cuda21uniform_and_transformIN3c108BFloat16EfPNS_17CUDAGeneratorImplEZZZNS4_16bernoulli_kernelIS9_EEvRNS_18TensorIteratorBaseEdT_ENKUlvE_clEvENKUlvE7_clEvEUlfE_EEvSC_T1_T2_EUlP25hiprandStatePhilox4_32_10E0_ZNS1_27distribution_nullary_kernelIS7_f15HIP_vector_typeIfLj4EES9_SL_SG_EEvSC_SI_RKT3_T4_EUlifE0_EEvlNS_15PhiloxCudaStateESH_SI_ ; -- Begin function _ZN2at6native12_GLOBAL__N_143distribution_elementwise_grid_stride_kernelIfLi4EZNS0_9templates4cuda21uniform_and_transformIN3c108BFloat16EfPNS_17CUDAGeneratorImplEZZZNS4_16bernoulli_kernelIS9_EEvRNS_18TensorIteratorBaseEdT_ENKUlvE_clEvENKUlvE7_clEvEUlfE_EEvSC_T1_T2_EUlP25hiprandStatePhilox4_32_10E0_ZNS1_27distribution_nullary_kernelIS7_f15HIP_vector_typeIfLj4EES9_SL_SG_EEvSC_SI_RKT3_T4_EUlifE0_EEvlNS_15PhiloxCudaStateESH_SI_
	.p2align	8
	.type	_ZN2at6native12_GLOBAL__N_143distribution_elementwise_grid_stride_kernelIfLi4EZNS0_9templates4cuda21uniform_and_transformIN3c108BFloat16EfPNS_17CUDAGeneratorImplEZZZNS4_16bernoulli_kernelIS9_EEvRNS_18TensorIteratorBaseEdT_ENKUlvE_clEvENKUlvE7_clEvEUlfE_EEvSC_T1_T2_EUlP25hiprandStatePhilox4_32_10E0_ZNS1_27distribution_nullary_kernelIS7_f15HIP_vector_typeIfLj4EES9_SL_SG_EEvSC_SI_RKT3_T4_EUlifE0_EEvlNS_15PhiloxCudaStateESH_SI_,@function
_ZN2at6native12_GLOBAL__N_143distribution_elementwise_grid_stride_kernelIfLi4EZNS0_9templates4cuda21uniform_and_transformIN3c108BFloat16EfPNS_17CUDAGeneratorImplEZZZNS4_16bernoulli_kernelIS9_EEvRNS_18TensorIteratorBaseEdT_ENKUlvE_clEvENKUlvE7_clEvEUlfE_EEvSC_T1_T2_EUlP25hiprandStatePhilox4_32_10E0_ZNS1_27distribution_nullary_kernelIS7_f15HIP_vector_typeIfLj4EES9_SL_SG_EEvSC_SI_RKT3_T4_EUlifE0_EEvlNS_15PhiloxCudaStateESH_SI_: ; @_ZN2at6native12_GLOBAL__N_143distribution_elementwise_grid_stride_kernelIfLi4EZNS0_9templates4cuda21uniform_and_transformIN3c108BFloat16EfPNS_17CUDAGeneratorImplEZZZNS4_16bernoulli_kernelIS9_EEvRNS_18TensorIteratorBaseEdT_ENKUlvE_clEvENKUlvE7_clEvEUlfE_EEvSC_T1_T2_EUlP25hiprandStatePhilox4_32_10E0_ZNS1_27distribution_nullary_kernelIS7_f15HIP_vector_typeIfLj4EES9_SL_SG_EEvSC_SI_RKT3_T4_EUlifE0_EEvlNS_15PhiloxCudaStateESH_SI_
; %bb.0:
	s_clause 0x2
	s_load_b64 s[4:5], s[0:1], 0x10
	s_load_b128 s[16:19], s[0:1], 0x0
	s_load_b32 s2, s[0:1], 0x20
	s_waitcnt lgkmcnt(0)
	v_dual_mov_b32 v2, s4 :: v_dual_mov_b32 v3, s5
	v_dual_mov_b32 v11, s18 :: v_dual_mov_b32 v12, s19
	s_bitcmp0_b32 s2, 0
	s_mov_b32 s2, 0
	s_cbranch_scc1 .LBB156_2
; %bb.1:
	v_dual_mov_b32 v1, s4 :: v_dual_mov_b32 v2, s5
	v_dual_mov_b32 v4, s18 :: v_dual_mov_b32 v5, s19
	s_load_b64 s[4:5], s[0:1], 0x18
	flat_load_b64 v[2:3], v[1:2]
	flat_load_b64 v[11:12], v[4:5]
	s_waitcnt vmcnt(1) lgkmcnt(0)
	v_add_co_u32 v2, vcc_lo, v2, s4
	v_add_co_ci_u32_e32 v3, vcc_lo, s5, v3, vcc_lo
.LBB156_2:
	s_clause 0x1
	s_load_b32 s3, s[0:1], 0x154
	s_load_b32 s4, s[0:1], 0x148
	s_waitcnt lgkmcnt(0)
	s_and_b32 s5, s3, 0xffff
	s_add_u32 s6, s16, -1
	s_mul_i32 s24, s4, s5
	s_addc_u32 s3, s17, -1
	s_lshl_b32 s25, s24, 2
	s_cmp_lg_u64 s[2:3], 0
	s_cbranch_scc0 .LBB156_79
; %bb.3:
	v_cvt_f32_ubyte0_e32 v1, 0
	v_cvt_f32_u32_e32 v4, s25
	s_sub_u32 s8, 0, s25
	s_subb_u32 s9, 0, 0
	s_delay_alu instid0(VALU_DEP_1) | instskip(NEXT) | instid1(VALU_DEP_1)
	v_fmamk_f32 v1, v1, 0x4f800000, v4
	v_rcp_f32_e32 v1, v1
	s_waitcnt_depctr 0xfff
	v_mul_f32_e32 v1, 0x5f7ffffc, v1
	s_delay_alu instid0(VALU_DEP_1) | instskip(NEXT) | instid1(VALU_DEP_1)
	v_mul_f32_e32 v4, 0x2f800000, v1
	v_trunc_f32_e32 v4, v4
	s_delay_alu instid0(VALU_DEP_1) | instskip(SKIP_1) | instid1(VALU_DEP_2)
	v_fmamk_f32 v1, v4, 0xcf800000, v1
	v_cvt_u32_f32_e32 v4, v4
	v_cvt_u32_f32_e32 v1, v1
	s_delay_alu instid0(VALU_DEP_2) | instskip(NEXT) | instid1(VALU_DEP_2)
	v_readfirstlane_b32 s2, v4
	v_readfirstlane_b32 s7, v1
	s_delay_alu instid0(VALU_DEP_2) | instskip(NEXT) | instid1(VALU_DEP_1)
	s_mul_i32 s10, s8, s2
	s_mul_hi_u32 s12, s8, s7
	s_mul_i32 s11, s9, s7
	s_add_i32 s10, s12, s10
	s_mul_i32 s13, s8, s7
	s_add_i32 s10, s10, s11
	s_mul_hi_u32 s12, s7, s13
	s_mul_hi_u32 s14, s2, s13
	s_mul_i32 s11, s2, s13
	s_mul_hi_u32 s13, s7, s10
	s_mul_i32 s7, s7, s10
	s_mul_hi_u32 s18, s2, s10
	s_add_u32 s7, s12, s7
	s_addc_u32 s12, 0, s13
	s_add_u32 s7, s7, s11
	s_mul_i32 s10, s2, s10
	s_addc_u32 s7, s12, s14
	s_addc_u32 s11, s18, 0
	s_add_u32 s7, s7, s10
	s_addc_u32 s10, 0, s11
	v_add_co_u32 v1, s7, v1, s7
	s_delay_alu instid0(VALU_DEP_1) | instskip(SKIP_1) | instid1(VALU_DEP_1)
	s_cmp_lg_u32 s7, 0
	s_addc_u32 s2, s2, s10
	v_readfirstlane_b32 s7, v1
	s_mul_i32 s10, s8, s2
	s_delay_alu instid0(VALU_DEP_1)
	s_mul_hi_u32 s11, s8, s7
	s_mul_i32 s9, s9, s7
	s_add_i32 s10, s11, s10
	s_mul_i32 s8, s8, s7
	s_add_i32 s10, s10, s9
	s_mul_hi_u32 s11, s2, s8
	s_mul_i32 s12, s2, s8
	s_mul_hi_u32 s8, s7, s8
	s_mul_hi_u32 s13, s7, s10
	s_mul_i32 s7, s7, s10
	s_mul_hi_u32 s9, s2, s10
	s_add_u32 s7, s8, s7
	s_addc_u32 s8, 0, s13
	s_add_u32 s7, s7, s12
	s_mul_i32 s10, s2, s10
	s_addc_u32 s7, s8, s11
	s_addc_u32 s8, s9, 0
	s_add_u32 s7, s7, s10
	s_addc_u32 s8, 0, s8
	v_add_co_u32 v1, s7, v1, s7
	s_delay_alu instid0(VALU_DEP_1) | instskip(SKIP_2) | instid1(VALU_DEP_1)
	s_cmp_lg_u32 s7, 0
	s_addc_u32 s7, s2, s8
	s_ashr_i32 s8, s3, 31
	v_readfirstlane_b32 s10, v1
	s_add_u32 s2, s6, s8
	s_mov_b32 s9, s8
	s_addc_u32 s3, s3, s8
	s_delay_alu instid0(SALU_CYCLE_1) | instskip(NEXT) | instid1(SALU_CYCLE_1)
	s_xor_b64 s[2:3], s[2:3], s[8:9]
	s_mul_i32 s12, s2, s7
	s_mul_hi_u32 s13, s2, s10
	s_mul_hi_u32 s11, s2, s7
	;; [unrolled: 1-line block ×3, first 2 shown]
	s_mul_i32 s10, s3, s10
	s_add_u32 s12, s13, s12
	s_addc_u32 s11, 0, s11
	s_mul_hi_u32 s14, s3, s7
	s_add_u32 s10, s12, s10
	s_mul_i32 s7, s3, s7
	s_addc_u32 s10, s11, s18
	s_addc_u32 s11, s14, 0
	s_add_u32 s7, s10, s7
	s_addc_u32 s10, 0, s11
	s_mul_i32 s12, s25, s7
	s_add_u32 s11, s7, 1
	v_sub_co_u32 v1, s2, s2, s12
	s_mul_hi_u32 s12, s25, s7
	s_addc_u32 s13, s10, 0
	s_mul_i32 s14, s25, s10
	s_delay_alu instid0(VALU_DEP_1)
	v_sub_co_u32 v4, s18, v1, s25
	s_add_u32 s19, s7, 2
	s_addc_u32 s20, s10, 0
	s_add_i32 s12, s12, s14
	s_cmp_lg_u32 s2, 0
	v_readfirstlane_b32 s2, v4
	s_subb_u32 s3, s3, s12
	s_cmp_lg_u32 s18, 0
	s_subb_u32 s12, s3, 0
	s_delay_alu instid0(VALU_DEP_1) | instskip(SKIP_4) | instid1(SALU_CYCLE_1)
	s_cmp_ge_u32 s2, s25
	s_cselect_b32 s2, -1, 0
	s_cmp_eq_u32 s12, 0
	v_readfirstlane_b32 s12, v1
	s_cselect_b32 s2, s2, -1
	s_cmp_lg_u32 s2, 0
	s_cselect_b32 s2, s19, s11
	s_cselect_b32 s11, s20, s13
	s_cmp_ge_u32 s12, s25
	s_cselect_b32 s12, -1, 0
	s_cmp_eq_u32 s3, 0
	s_cselect_b32 s3, s12, -1
	s_delay_alu instid0(SALU_CYCLE_1) | instskip(SKIP_2) | instid1(SALU_CYCLE_1)
	s_cmp_lg_u32 s3, 0
	s_cselect_b32 s3, s11, s10
	s_cselect_b32 s2, s2, s7
	s_xor_b64 s[2:3], s[2:3], s[8:9]
	s_delay_alu instid0(SALU_CYCLE_1)
	s_sub_u32 s2, s2, s8
	s_subb_u32 s3, s3, s8
	s_cbranch_execnz .LBB156_5
.LBB156_4:
	v_cvt_f32_u32_e32 v1, s25
	s_sub_i32 s3, 0, s25
	s_delay_alu instid0(VALU_DEP_1) | instskip(SKIP_2) | instid1(VALU_DEP_1)
	v_rcp_iflag_f32_e32 v1, v1
	s_waitcnt_depctr 0xfff
	v_mul_f32_e32 v1, 0x4f7ffffe, v1
	v_cvt_u32_f32_e32 v1, v1
	s_delay_alu instid0(VALU_DEP_1) | instskip(NEXT) | instid1(VALU_DEP_1)
	v_readfirstlane_b32 s2, v1
	s_mul_i32 s3, s3, s2
	s_delay_alu instid0(SALU_CYCLE_1) | instskip(NEXT) | instid1(SALU_CYCLE_1)
	s_mul_hi_u32 s3, s2, s3
	s_add_i32 s2, s2, s3
	s_delay_alu instid0(SALU_CYCLE_1) | instskip(NEXT) | instid1(SALU_CYCLE_1)
	s_mul_hi_u32 s2, s6, s2
	s_mul_i32 s3, s2, s25
	s_delay_alu instid0(SALU_CYCLE_1)
	s_sub_i32 s3, s6, s3
	s_add_i32 s6, s2, 1
	s_sub_i32 s7, s3, s25
	s_cmp_ge_u32 s3, s25
	s_cselect_b32 s2, s6, s2
	s_cselect_b32 s3, s7, s3
	s_add_i32 s6, s2, 1
	s_cmp_ge_u32 s3, s25
	s_mov_b32 s3, 0
	s_cselect_b32 s2, s6, s2
.LBB156_5:
	v_mov_b32_e32 v1, 0
	s_add_u32 s2, s2, 1
	s_addc_u32 s3, s3, 0
	s_mul_hi_u32 s6, s24, s2
	s_mul_i32 s3, s24, s3
	v_mad_u64_u32 v[13:14], null, s5, s15, v[0:1]
	s_mul_hi_u32 s4, s4, s5
	s_add_i32 s3, s6, s3
	s_mul_i32 s4, s4, s2
	s_mul_i32 s2, s24, s2
	s_add_i32 s3, s3, s4
	s_mov_b32 s4, exec_lo
	s_lshl_b64 s[2:3], s[2:3], 2
	s_delay_alu instid0(SALU_CYCLE_1)
	v_cmpx_gt_i64_e64 s[2:3], v[13:14]
	s_cbranch_execz .LBB156_78
; %bb.6:
	v_alignbit_b32 v17, v3, v2, 2
	v_mad_u64_u32 v[4:5], null, 0xcd9e8d57, v13, 0
	v_lshrrev_b32_e32 v18, 2, v3
	s_waitcnt vmcnt(0)
	v_dual_mov_b32 v9, v12 :: v_dual_add_nc_u32 v28, 0x8ff34781, v11
	v_mad_u64_u32 v[0:1], null, 0xd2511f53, v17, 0
	v_add_co_u32 v20, null, 0x9e3779b9, v11
	v_xor3_b32 v3, v11, v5, v18
	s_delay_alu instid0(VALU_DEP_4) | instskip(SKIP_2) | instid1(VALU_DEP_4)
	v_add_co_u32 v19, null, 0xbb67ae85, v9
	v_add_co_u32 v21, null, 0x3c6ef372, v11
	v_xor_b32_e32 v1, v1, v12
	v_mad_u64_u32 v[5:6], null, 0xd2511f53, v3, 0
	v_add_co_u32 v22, null, 0x76cf5d0a, v9
	s_delay_alu instid0(VALU_DEP_3) | instskip(SKIP_2) | instid1(VALU_DEP_3)
	v_xor_b32_e32 v1, v1, v14
	v_add_co_u32 v23, null, 0x32370b8f, v9
	v_add_co_u32 v24, null, 0xdaa66d2b, v11
	v_mad_u64_u32 v[7:8], null, 0xcd9e8d57, v1, 0
	v_xor3_b32 v3, v19, v6, v0
	v_dual_mov_b32 v36, v13 :: v_dual_and_b32 v25, 3, v2
	v_add_co_u32 v26, null, 0x78dde6e4, v11
	s_delay_alu instid0(VALU_DEP_3) | instskip(SKIP_3) | instid1(VALU_DEP_3)
	v_mad_u64_u32 v[0:1], null, 0xcd9e8d57, v3, 0
	v_xor3_b32 v6, v20, v8, v4
	v_add_co_u32 v27, null, 0xed9eba14, v9
	v_add_co_u32 v31, null, 0xa9066899, v9
	v_mad_u64_u32 v[3:4], null, 0xd2511f53, v6, 0
	v_xor3_b32 v1, v21, v1, v7
	v_add_co_u32 v32, null, 0x1715609d, v11
	s_clause 0x1
	s_load_b64 s[20:21], s[0:1], 0xf4
	s_load_b128 s[12:15], s[0:1], 0x138
	v_add_co_u32 v33, null, 0xb54cda56, v11
	s_delay_alu instid0(VALU_DEP_4) | instskip(SKIP_2) | instid1(VALU_DEP_3)
	v_xor3_b32 v8, v22, v4, v5
	v_mad_u64_u32 v[4:5], null, 0xd2511f53, v1, 0
	v_add_co_u32 v34, null, 0x646e171e, v9
	v_mad_u64_u32 v[6:7], null, 0xcd9e8d57, v8, 0
	s_load_b256 s[4:11], s[0:1], 0x30
	v_add_co_u32 v30, null, 0x5384540f, v11
	s_delay_alu instid0(VALU_DEP_4) | instskip(SKIP_1) | instid1(VALU_DEP_4)
	v_xor3_b32 v3, v23, v5, v3
	v_add_co_u32 v37, null, 0x1fd5c5a3, v9
	v_xor3_b32 v5, v24, v7, v0
	v_add_co_u32 v35, null, 0xf1bbcdc8, v11
	s_delay_alu instid0(VALU_DEP_4) | instskip(NEXT) | instid1(VALU_DEP_3)
	v_mad_u64_u32 v[0:1], null, 0xcd9e8d57, v3, 0
	v_mad_u64_u32 v[2:3], null, 0xd2511f53, v5, 0
	s_waitcnt lgkmcnt(0)
	v_cvt_f32_f64_e32 v38, s[14:15]
	v_add_co_u32 v39, null, 0xdb3d7428, v9
	s_add_u32 s18, s0, 48
	s_delay_alu instid0(VALU_DEP_4) | instskip(SKIP_1) | instid1(VALU_DEP_4)
	v_xor3_b32 v1, v26, v1, v6
	s_addc_u32 s19, s1, 0
	v_xor3_b32 v7, v27, v3, v4
	s_add_i32 s22, s4, -1
	v_dual_mov_b32 v40, v14 :: v_dual_add_nc_u32 v29, 0x96a522ad, v12
	v_mad_u64_u32 v[3:4], null, 0xd2511f53, v1, 0
	s_delay_alu instid0(VALU_DEP_3) | instskip(SKIP_4) | instid1(VALU_DEP_2)
	v_mad_u64_u32 v[5:6], null, 0xcd9e8d57, v7, 0
	s_cmp_gt_u32 s22, 1
	s_mov_b32 s26, 0
	s_cselect_b32 s11, -1, 0
	s_cmp_lg_u32 s4, 0
	v_xor3_b32 v2, v31, v4, v2
	s_cselect_b32 s27, -1, 0
	s_delay_alu instid0(VALU_DEP_2) | instskip(SKIP_3) | instid1(VALU_DEP_2)
	v_xor3_b32 v4, v32, v6, v0
	s_add_u32 s0, s0, 0xf4
	s_addc_u32 s1, s1, 0
	v_mad_u64_u32 v[0:1], null, 0xcd9e8d57, v2, 0
	v_mad_u64_u32 v[6:7], null, 0xd2511f53, v4, 0
	s_min_u32 s14, s22, 15
	s_cmp_gt_u32 s4, 1
	s_mul_i32 s33, s24, 3
	s_cselect_b32 s4, -1, 0
	s_delay_alu instid0(VALU_DEP_2) | instskip(SKIP_1) | instid1(VALU_DEP_2)
	v_xor3_b32 v4, v33, v1, v5
	s_add_i32 s14, s14, 1
	v_xor3_b32 v5, v34, v7, v3
	s_lshl_b32 s28, s24, 1
	s_and_b32 s29, s14, 3
	v_mad_u64_u32 v[1:2], null, 0xd2511f53, v4, 0
	s_delay_alu instid0(VALU_DEP_2) | instskip(SKIP_3) | instid1(VALU_DEP_2)
	v_mad_u64_u32 v[3:4], null, 0xcd9e8d57, v5, 0
	s_cmp_lg_u32 s22, 2
	s_cselect_b32 s30, -1, 0
	s_and_b32 s31, s14, 28
	v_xor3_b32 v2, v37, v2, v6
	s_cmp_lg_u32 s29, 0
	s_delay_alu instid0(VALU_DEP_2) | instskip(SKIP_1) | instid1(VALU_DEP_2)
	v_xor3_b32 v0, v30, v4, v0
	s_cselect_b32 s34, -1, 0
	v_mad_u64_u32 v[4:5], null, 0xcd9e8d57, v2, 0
	s_delay_alu instid0(VALU_DEP_2) | instskip(NEXT) | instid1(VALU_DEP_2)
	v_mad_u64_u32 v[6:7], null, 0xd2511f53, v0, 0
	v_xor3_b32 v0, v35, v5, v3
	s_delay_alu instid0(VALU_DEP_2) | instskip(NEXT) | instid1(VALU_DEP_2)
	v_xor3_b32 v3, v39, v7, v1
	v_mad_u64_u32 v[7:8], null, 0xd2511f53, v0, 0
	s_delay_alu instid0(VALU_DEP_2) | instskip(NEXT) | instid1(VALU_DEP_2)
	v_mad_u64_u32 v[1:2], null, 0xcd9e8d57, v3, 0
	v_mov_b32_e32 v3, v7
	s_delay_alu instid0(VALU_DEP_2) | instskip(NEXT) | instid1(VALU_DEP_4)
	v_xor3_b32 v0, v2, v4, v28
	v_xor3_b32 v2, v8, v6, v29
	s_branch .LBB156_9
.LBB156_7:                              ;   in Loop: Header=BB156_9 Depth=1
	v_cvt_f32_u32_e32 v0, v3
	s_delay_alu instid0(VALU_DEP_1) | instskip(NEXT) | instid1(VALU_DEP_1)
	v_fmaak_f32 v0, 0x2f800000, v0, 0x2f800000
	v_cmp_lt_f32_e32 vcc_lo, v0, v38
	v_cndmask_b32_e64 v0, 0, 1.0, vcc_lo
	global_store_d16_hi_b16 v1, v0, s[12:13]
.LBB156_8:                              ;   in Loop: Header=BB156_9 Depth=1
	s_or_b32 exec_lo, exec_lo, s35
	v_add_co_u32 v13, vcc_lo, v13, s25
	v_add_co_ci_u32_e32 v14, vcc_lo, 0, v14, vcc_lo
	v_mov_b32_e32 v7, v15
	v_dual_mov_b32 v0, v4 :: v_dual_mov_b32 v1, v5
	s_delay_alu instid0(VALU_DEP_3) | instskip(NEXT) | instid1(VALU_DEP_3)
	v_cmp_le_i64_e32 vcc_lo, s[2:3], v[13:14]
	v_dual_mov_b32 v2, v6 :: v_dual_mov_b32 v3, v7
	s_waitcnt_vscnt null, 0x0
	s_barrier
	buffer_gl0_inv
	s_or_b32 s26, vcc_lo, s26
	s_delay_alu instid0(SALU_CYCLE_1)
	s_and_not1_b32 exec_lo, exec_lo, s26
	s_cbranch_execz .LBB156_78
.LBB156_9:                              ; =>This Loop Header: Depth=1
                                        ;     Child Loop BB156_24 Depth 2
                                        ;     Child Loop BB156_29 Depth 2
	;; [unrolled: 1-line block ×8, first 2 shown]
	v_add_co_u32 v17, vcc_lo, v17, 1
	s_delay_alu instid0(VALU_DEP_1) | instskip(SKIP_2) | instid1(VALU_DEP_1)
	v_cndmask_b32_e64 v4, 0, 1, vcc_lo
	v_add_co_ci_u32_e32 v18, vcc_lo, 0, v18, vcc_lo
	s_mov_b32 s14, exec_lo
	v_cmp_eq_u32_e32 vcc_lo, 0, v18
	s_delay_alu instid0(VALU_DEP_3) | instskip(NEXT) | instid1(VALU_DEP_1)
	v_cndmask_b32_e32 v4, 0, v4, vcc_lo
	v_add_nc_u32_e32 v36, v4, v36
	s_delay_alu instid0(VALU_DEP_1) | instskip(SKIP_2) | instid1(VALU_DEP_2)
	v_cmp_eq_u32_e32 vcc_lo, 0, v36
	v_mad_u64_u32 v[6:7], null, 0xcd9e8d57, v36, 0
	v_cndmask_b32_e32 v4, 0, v4, vcc_lo
	v_xor3_b32 v9, v7, v11, v18
	s_delay_alu instid0(VALU_DEP_2) | instskip(SKIP_1) | instid1(VALU_DEP_3)
	v_add_nc_u32_e32 v40, v4, v40
	v_mad_u64_u32 v[4:5], null, 0xd2511f53, v17, 0
	v_mad_u64_u32 v[7:8], null, 0xd2511f53, v9, 0
	s_delay_alu instid0(VALU_DEP_2) | instskip(NEXT) | instid1(VALU_DEP_2)
	v_xor_b32_e32 v5, v5, v12
	v_xor3_b32 v8, v19, v8, v4
	s_delay_alu instid0(VALU_DEP_2) | instskip(NEXT) | instid1(VALU_DEP_1)
	v_xor_b32_e32 v5, v40, v5
	v_mad_u64_u32 v[9:10], null, 0xcd9e8d57, v5, 0
	s_delay_alu instid0(VALU_DEP_3) | instskip(NEXT) | instid1(VALU_DEP_2)
	v_mad_u64_u32 v[4:5], null, 0xcd9e8d57, v8, 0
	v_xor3_b32 v6, v20, v10, v6
	s_delay_alu instid0(VALU_DEP_2) | instskip(NEXT) | instid1(VALU_DEP_2)
	v_xor3_b32 v8, v21, v5, v9
	v_mad_u64_u32 v[15:16], null, 0xd2511f53, v6, 0
	s_delay_alu instid0(VALU_DEP_2) | instskip(NEXT) | instid1(VALU_DEP_2)
	v_mad_u64_u32 v[5:6], null, 0xd2511f53, v8, 0
	v_xor3_b32 v9, v22, v16, v7
	s_delay_alu instid0(VALU_DEP_2) | instskip(NEXT) | instid1(VALU_DEP_2)
	v_xor3_b32 v6, v23, v6, v15
	v_mad_u64_u32 v[7:8], null, 0xcd9e8d57, v9, 0
	s_delay_alu instid0(VALU_DEP_1) | instskip(NEXT) | instid1(VALU_DEP_3)
	v_xor3_b32 v4, v24, v8, v4
	v_mad_u64_u32 v[8:9], null, 0xcd9e8d57, v6, 0
	s_delay_alu instid0(VALU_DEP_2) | instskip(NEXT) | instid1(VALU_DEP_2)
	v_mad_u64_u32 v[15:16], null, 0xd2511f53, v4, 0
	v_xor3_b32 v6, v26, v9, v7
	s_delay_alu instid0(VALU_DEP_2) | instskip(NEXT) | instid1(VALU_DEP_2)
	v_xor3_b32 v9, v27, v16, v5
	v_mad_u64_u32 v[4:5], null, 0xd2511f53, v6, 0
	s_delay_alu instid0(VALU_DEP_2) | instskip(NEXT) | instid1(VALU_DEP_2)
	v_mad_u64_u32 v[6:7], null, 0xcd9e8d57, v9, 0
	v_xor3_b32 v5, v31, v5, v15
	s_delay_alu instid0(VALU_DEP_2) | instskip(NEXT) | instid1(VALU_DEP_2)
	;; [unrolled: 6-line block ×6, first 2 shown]
	v_xor3_b32 v4, v6, v7, v28
	v_mov_b32_e32 v6, v10
	v_cmpx_lt_i32_e32 1, v25
	s_xor_b32 s14, exec_lo, s14
	s_cbranch_execnz .LBB156_12
; %bb.10:                               ;   in Loop: Header=BB156_9 Depth=1
	s_and_not1_saveexec_b32 s14, s14
	s_cbranch_execnz .LBB156_17
.LBB156_11:                             ;   in Loop: Header=BB156_9 Depth=1
	s_or_b32 exec_lo, exec_lo, s14
	s_delay_alu instid0(SALU_CYCLE_1)
	s_mov_b32 s35, exec_lo
	v_cmpx_gt_i64_e64 s[16:17], v[13:14]
	s_cbranch_execnz .LBB156_20
	s_branch .LBB156_34
.LBB156_12:                             ;   in Loop: Header=BB156_9 Depth=1
	s_mov_b32 s15, exec_lo
	v_cmpx_lt_i32_e32 2, v25
	s_xor_b32 s15, exec_lo, s15
; %bb.13:                               ;   in Loop: Header=BB156_9 Depth=1
	v_dual_mov_b32 v7, v3 :: v_dual_mov_b32 v8, v4
	v_mov_b32_e32 v9, v5
	s_delay_alu instid0(VALU_DEP_2) | instskip(NEXT) | instid1(VALU_DEP_2)
	v_dual_mov_b32 v0, v7 :: v_dual_mov_b32 v1, v8
	v_dual_mov_b32 v2, v9 :: v_dual_mov_b32 v3, v10
; %bb.14:                               ;   in Loop: Header=BB156_9 Depth=1
	s_and_not1_saveexec_b32 s15, s15
; %bb.15:                               ;   in Loop: Header=BB156_9 Depth=1
	s_delay_alu instid0(VALU_DEP_1)
	v_dual_mov_b32 v0, v2 :: v_dual_mov_b32 v1, v3
	v_dual_mov_b32 v2, v4 :: v_dual_mov_b32 v3, v5
; %bb.16:                               ;   in Loop: Header=BB156_9 Depth=1
	s_or_b32 exec_lo, exec_lo, s15
	s_and_not1_saveexec_b32 s14, s14
	s_cbranch_execz .LBB156_11
.LBB156_17:                             ;   in Loop: Header=BB156_9 Depth=1
	s_mov_b32 s15, exec_lo
	v_cmpx_eq_u32_e32 1, v25
; %bb.18:                               ;   in Loop: Header=BB156_9 Depth=1
	v_dual_mov_b32 v0, v1 :: v_dual_mov_b32 v1, v2
	v_dual_mov_b32 v2, v3 :: v_dual_mov_b32 v3, v4
; %bb.19:                               ;   in Loop: Header=BB156_9 Depth=1
	s_or_b32 exec_lo, exec_lo, s15
	s_delay_alu instid0(SALU_CYCLE_1) | instskip(NEXT) | instid1(SALU_CYCLE_1)
	s_or_b32 exec_lo, exec_lo, s14
	s_mov_b32 s35, exec_lo
	v_cmpx_gt_i64_e64 s[16:17], v[13:14]
	s_cbranch_execz .LBB156_34
.LBB156_20:                             ;   in Loop: Header=BB156_9 Depth=1
	s_and_not1_b32 vcc_lo, exec_lo, s11
	s_cbranch_vccnz .LBB156_26
; %bb.21:                               ;   in Loop: Header=BB156_9 Depth=1
	v_mov_b32_e32 v7, 0
	s_and_not1_b32 vcc_lo, exec_lo, s27
	s_cbranch_vccnz .LBB156_30
; %bb.22:                               ;   in Loop: Header=BB156_9 Depth=1
	s_and_not1_b32 vcc_lo, exec_lo, s30
	s_mov_b32 s14, 0
	s_cbranch_vccnz .LBB156_27
; %bb.23:                               ;   in Loop: Header=BB156_9 Depth=1
	v_dual_mov_b32 v7, 0 :: v_dual_mov_b32 v8, v13
	s_mov_b32 s36, 0
	s_mov_b64 s[14:15], s[18:19]
	s_mov_b64 s[22:23], s[0:1]
.LBB156_24:                             ;   Parent Loop BB156_9 Depth=1
                                        ; =>  This Inner Loop Header: Depth=2
	s_clause 0x1
	s_load_b256 s[40:47], s[14:15], 0x4
	s_load_b128 s[48:51], s[14:15], 0x24
	s_load_b128 s[52:55], s[22:23], 0x0
	s_add_u32 s14, s14, 48
	s_addc_u32 s15, s15, 0
	s_add_i32 s36, s36, 4
	s_add_u32 s22, s22, 16
	s_addc_u32 s23, s23, 0
	s_cmp_lg_u32 s31, s36
	s_waitcnt lgkmcnt(0)
	v_mul_hi_u32 v9, s41, v8
	s_delay_alu instid0(VALU_DEP_1) | instskip(NEXT) | instid1(VALU_DEP_1)
	v_add_nc_u32_e32 v9, v8, v9
	v_lshrrev_b32_e32 v9, s42, v9
	s_delay_alu instid0(VALU_DEP_1) | instskip(SKIP_1) | instid1(VALU_DEP_2)
	v_mul_hi_u32 v10, s44, v9
	v_mul_lo_u32 v42, v9, s40
	v_add_nc_u32_e32 v10, v9, v10
	s_delay_alu instid0(VALU_DEP_2) | instskip(NEXT) | instid1(VALU_DEP_2)
	v_sub_nc_u32_e32 v42, v8, v42
	v_lshrrev_b32_e32 v10, s45, v10
	s_delay_alu instid0(VALU_DEP_2) | instskip(NEXT) | instid1(VALU_DEP_2)
	v_mul_lo_u32 v42, v42, s52
	v_mul_hi_u32 v16, s47, v10
	v_mul_lo_u32 v43, v10, s43
	s_delay_alu instid0(VALU_DEP_2) | instskip(NEXT) | instid1(VALU_DEP_2)
	v_add_nc_u32_e32 v16, v10, v16
	v_sub_nc_u32_e32 v9, v9, v43
	s_delay_alu instid0(VALU_DEP_2) | instskip(NEXT) | instid1(VALU_DEP_2)
	v_lshrrev_b32_e32 v16, s48, v16
	v_mul_lo_u32 v9, v9, s53
	s_delay_alu instid0(VALU_DEP_2) | instskip(NEXT) | instid1(VALU_DEP_2)
	v_mul_hi_u32 v41, s50, v16
	v_add3_u32 v7, v42, v7, v9
	s_delay_alu instid0(VALU_DEP_2) | instskip(NEXT) | instid1(VALU_DEP_1)
	v_add_nc_u32_e32 v41, v16, v41
	v_lshrrev_b32_e32 v8, s51, v41
	v_mul_lo_u32 v41, v16, s46
	s_delay_alu instid0(VALU_DEP_2) | instskip(NEXT) | instid1(VALU_DEP_2)
	v_mul_lo_u32 v44, v8, s49
	v_sub_nc_u32_e32 v10, v10, v41
	s_delay_alu instid0(VALU_DEP_2) | instskip(NEXT) | instid1(VALU_DEP_2)
	v_sub_nc_u32_e32 v16, v16, v44
	v_mul_lo_u32 v10, v10, s54
	s_delay_alu instid0(VALU_DEP_2) | instskip(NEXT) | instid1(VALU_DEP_1)
	v_mul_lo_u32 v16, v16, s55
	v_add3_u32 v7, v10, v7, v16
	s_cbranch_scc1 .LBB156_24
; %bb.25:                               ;   in Loop: Header=BB156_9 Depth=1
	s_mov_b32 s14, s31
	s_and_not1_b32 vcc_lo, exec_lo, s34
	s_cbranch_vccz .LBB156_28
	s_branch .LBB156_30
.LBB156_26:                             ;   in Loop: Header=BB156_9 Depth=1
                                        ; implicit-def: $vgpr7
	s_branch .LBB156_31
.LBB156_27:                             ;   in Loop: Header=BB156_9 Depth=1
	v_mov_b32_e32 v8, v13
	s_and_not1_b32 vcc_lo, exec_lo, s34
	s_cbranch_vccnz .LBB156_30
.LBB156_28:                             ;   in Loop: Header=BB156_9 Depth=1
	s_lshl_b32 s15, s14, 2
	s_mul_i32 s22, s14, 12
	s_add_u32 s14, s0, s15
	s_addc_u32 s15, s1, 0
	s_add_u32 s22, s18, s22
	s_addc_u32 s23, s19, 0
	s_mov_b32 s36, s29
	.p2align	6
.LBB156_29:                             ;   Parent Loop BB156_9 Depth=1
                                        ; =>  This Inner Loop Header: Depth=2
	s_clause 0x1
	s_load_b64 s[38:39], s[22:23], 0x4
	s_load_b32 s37, s[22:23], 0xc
	s_add_u32 s22, s22, 12
	s_addc_u32 s23, s23, 0
	s_waitcnt lgkmcnt(0)
	v_mul_hi_u32 v9, s39, v8
	s_load_b32 s39, s[14:15], 0x0
	s_add_u32 s14, s14, 4
	s_addc_u32 s15, s15, 0
	s_add_i32 s36, s36, -1
	s_delay_alu instid0(SALU_CYCLE_1) | instskip(NEXT) | instid1(VALU_DEP_1)
	s_cmp_lg_u32 s36, 0
	v_add_nc_u32_e32 v9, v8, v9
	s_delay_alu instid0(VALU_DEP_1) | instskip(NEXT) | instid1(VALU_DEP_1)
	v_lshrrev_b32_e32 v16, s37, v9
	v_mul_lo_u32 v9, v16, s38
	s_delay_alu instid0(VALU_DEP_1) | instskip(SKIP_1) | instid1(VALU_DEP_1)
	v_sub_nc_u32_e32 v8, v8, v9
	s_waitcnt lgkmcnt(0)
	v_mad_u64_u32 v[9:10], null, v8, s39, v[7:8]
	s_delay_alu instid0(VALU_DEP_1)
	v_dual_mov_b32 v8, v16 :: v_dual_mov_b32 v7, v9
	s_cbranch_scc1 .LBB156_29
.LBB156_30:                             ;   in Loop: Header=BB156_9 Depth=1
	s_cbranch_execnz .LBB156_33
.LBB156_31:                             ;   in Loop: Header=BB156_9 Depth=1
	v_mul_hi_u32 v7, v13, s6
	s_and_not1_b32 vcc_lo, exec_lo, s4
	s_delay_alu instid0(VALU_DEP_1) | instskip(NEXT) | instid1(VALU_DEP_1)
	v_add_nc_u32_e32 v7, v7, v13
	v_lshrrev_b32_e32 v8, s7, v7
	s_delay_alu instid0(VALU_DEP_1) | instskip(NEXT) | instid1(VALU_DEP_1)
	v_mul_lo_u32 v7, v8, s5
	v_sub_nc_u32_e32 v7, v13, v7
	s_delay_alu instid0(VALU_DEP_1)
	v_mul_lo_u32 v7, v7, s20
	s_cbranch_vccnz .LBB156_33
; %bb.32:                               ;   in Loop: Header=BB156_9 Depth=1
	v_mul_hi_u32 v9, s9, v8
	s_delay_alu instid0(VALU_DEP_1) | instskip(NEXT) | instid1(VALU_DEP_1)
	v_add_nc_u32_e32 v9, v8, v9
	v_lshrrev_b32_e32 v9, s10, v9
	s_delay_alu instid0(VALU_DEP_1) | instskip(NEXT) | instid1(VALU_DEP_1)
	v_mul_lo_u32 v9, v9, s8
	v_sub_nc_u32_e32 v10, v8, v9
	s_delay_alu instid0(VALU_DEP_1) | instskip(NEXT) | instid1(VALU_DEP_1)
	v_mad_u64_u32 v[8:9], null, v10, s21, v[7:8]
	v_mov_b32_e32 v7, v8
.LBB156_33:                             ;   in Loop: Header=BB156_9 Depth=1
	v_cvt_f32_u32_e32 v0, v0
	s_delay_alu instid0(VALU_DEP_1) | instskip(NEXT) | instid1(VALU_DEP_1)
	v_fmaak_f32 v0, 0x2f800000, v0, 0x2f800000
	v_cmp_lt_f32_e32 vcc_lo, v0, v38
	v_cndmask_b32_e64 v0, 0, 1.0, vcc_lo
	global_store_d16_hi_b16 v7, v0, s[12:13]
.LBB156_34:                             ;   in Loop: Header=BB156_9 Depth=1
	s_or_b32 exec_lo, exec_lo, s35
	v_add_co_u32 v7, vcc_lo, v13, s24
	v_add_co_ci_u32_e32 v8, vcc_lo, 0, v14, vcc_lo
	s_mov_b32 s35, exec_lo
	s_delay_alu instid0(VALU_DEP_1)
	v_cmpx_gt_i64_e64 s[16:17], v[7:8]
	s_cbranch_execz .LBB156_49
; %bb.35:                               ;   in Loop: Header=BB156_9 Depth=1
	s_and_not1_b32 vcc_lo, exec_lo, s11
	s_cbranch_vccnz .LBB156_41
; %bb.36:                               ;   in Loop: Header=BB156_9 Depth=1
	v_mov_b32_e32 v0, 0
	s_and_not1_b32 vcc_lo, exec_lo, s27
	s_cbranch_vccnz .LBB156_45
; %bb.37:                               ;   in Loop: Header=BB156_9 Depth=1
	s_and_not1_b32 vcc_lo, exec_lo, s30
	s_mov_b32 s14, 0
	s_cbranch_vccnz .LBB156_42
; %bb.38:                               ;   in Loop: Header=BB156_9 Depth=1
	v_mov_b32_e32 v0, 0
	v_mov_b32_e32 v8, v7
	s_mov_b32 s36, 0
	s_mov_b64 s[14:15], s[18:19]
	s_mov_b64 s[22:23], s[0:1]
.LBB156_39:                             ;   Parent Loop BB156_9 Depth=1
                                        ; =>  This Inner Loop Header: Depth=2
	s_clause 0x1
	s_load_b256 s[40:47], s[14:15], 0x4
	s_load_b128 s[48:51], s[14:15], 0x24
	s_load_b128 s[52:55], s[22:23], 0x0
	s_add_u32 s14, s14, 48
	s_addc_u32 s15, s15, 0
	s_add_i32 s36, s36, 4
	s_add_u32 s22, s22, 16
	s_addc_u32 s23, s23, 0
	s_cmp_eq_u32 s31, s36
	s_waitcnt lgkmcnt(0)
	v_mul_hi_u32 v9, s41, v8
	s_delay_alu instid0(VALU_DEP_1) | instskip(NEXT) | instid1(VALU_DEP_1)
	v_add_nc_u32_e32 v9, v8, v9
	v_lshrrev_b32_e32 v9, s42, v9
	s_delay_alu instid0(VALU_DEP_1) | instskip(SKIP_1) | instid1(VALU_DEP_2)
	v_mul_hi_u32 v10, s44, v9
	v_mul_lo_u32 v42, v9, s40
	v_add_nc_u32_e32 v10, v9, v10
	s_delay_alu instid0(VALU_DEP_2) | instskip(NEXT) | instid1(VALU_DEP_2)
	v_sub_nc_u32_e32 v42, v8, v42
	v_lshrrev_b32_e32 v10, s45, v10
	s_delay_alu instid0(VALU_DEP_2) | instskip(NEXT) | instid1(VALU_DEP_2)
	v_mul_lo_u32 v42, v42, s52
	v_mul_hi_u32 v16, s47, v10
	v_mul_lo_u32 v43, v10, s43
	s_delay_alu instid0(VALU_DEP_2) | instskip(NEXT) | instid1(VALU_DEP_2)
	v_add_nc_u32_e32 v16, v10, v16
	v_sub_nc_u32_e32 v9, v9, v43
	s_delay_alu instid0(VALU_DEP_2) | instskip(NEXT) | instid1(VALU_DEP_2)
	v_lshrrev_b32_e32 v16, s48, v16
	v_mul_lo_u32 v9, v9, s53
	s_delay_alu instid0(VALU_DEP_2) | instskip(NEXT) | instid1(VALU_DEP_2)
	v_mul_hi_u32 v41, s50, v16
	v_add3_u32 v0, v42, v0, v9
	s_delay_alu instid0(VALU_DEP_2) | instskip(NEXT) | instid1(VALU_DEP_1)
	v_add_nc_u32_e32 v41, v16, v41
	v_lshrrev_b32_e32 v8, s51, v41
	v_mul_lo_u32 v41, v16, s46
	s_delay_alu instid0(VALU_DEP_2) | instskip(NEXT) | instid1(VALU_DEP_2)
	v_mul_lo_u32 v44, v8, s49
	v_sub_nc_u32_e32 v10, v10, v41
	s_delay_alu instid0(VALU_DEP_2) | instskip(NEXT) | instid1(VALU_DEP_2)
	v_sub_nc_u32_e32 v16, v16, v44
	v_mul_lo_u32 v10, v10, s54
	s_delay_alu instid0(VALU_DEP_2) | instskip(NEXT) | instid1(VALU_DEP_1)
	v_mul_lo_u32 v16, v16, s55
	v_add3_u32 v0, v10, v0, v16
	s_cbranch_scc0 .LBB156_39
; %bb.40:                               ;   in Loop: Header=BB156_9 Depth=1
	s_mov_b32 s14, s31
	s_and_not1_b32 vcc_lo, exec_lo, s34
	s_cbranch_vccz .LBB156_43
	s_branch .LBB156_45
.LBB156_41:                             ;   in Loop: Header=BB156_9 Depth=1
                                        ; implicit-def: $vgpr0
	s_branch .LBB156_46
.LBB156_42:                             ;   in Loop: Header=BB156_9 Depth=1
	v_mov_b32_e32 v8, v7
	s_and_not1_b32 vcc_lo, exec_lo, s34
	s_cbranch_vccnz .LBB156_45
.LBB156_43:                             ;   in Loop: Header=BB156_9 Depth=1
	s_lshl_b32 s15, s14, 2
	s_mul_i32 s22, s14, 12
	s_add_u32 s14, s0, s15
	s_addc_u32 s15, s1, 0
	s_add_u32 s22, s18, s22
	s_addc_u32 s23, s19, 0
	s_mov_b32 s36, s29
	.p2align	6
.LBB156_44:                             ;   Parent Loop BB156_9 Depth=1
                                        ; =>  This Inner Loop Header: Depth=2
	s_clause 0x1
	s_load_b64 s[38:39], s[22:23], 0x4
	s_load_b32 s37, s[22:23], 0xc
	s_add_u32 s22, s22, 12
	s_addc_u32 s23, s23, 0
	s_waitcnt lgkmcnt(0)
	v_mul_hi_u32 v9, s39, v8
	s_load_b32 s39, s[14:15], 0x0
	s_add_u32 s14, s14, 4
	s_addc_u32 s15, s15, 0
	s_add_i32 s36, s36, -1
	s_delay_alu instid0(SALU_CYCLE_1) | instskip(NEXT) | instid1(VALU_DEP_1)
	s_cmp_lg_u32 s36, 0
	v_add_nc_u32_e32 v9, v8, v9
	s_delay_alu instid0(VALU_DEP_1) | instskip(NEXT) | instid1(VALU_DEP_1)
	v_lshrrev_b32_e32 v16, s37, v9
	v_mul_lo_u32 v9, v16, s38
	s_delay_alu instid0(VALU_DEP_1) | instskip(SKIP_1) | instid1(VALU_DEP_1)
	v_sub_nc_u32_e32 v8, v8, v9
	s_waitcnt lgkmcnt(0)
	v_mad_u64_u32 v[9:10], null, v8, s39, v[0:1]
	v_mov_b32_e32 v8, v16
	s_delay_alu instid0(VALU_DEP_2)
	v_mov_b32_e32 v0, v9
	s_cbranch_scc1 .LBB156_44
.LBB156_45:                             ;   in Loop: Header=BB156_9 Depth=1
	s_cbranch_execnz .LBB156_48
.LBB156_46:                             ;   in Loop: Header=BB156_9 Depth=1
	v_mul_hi_u32 v0, v7, s6
	s_and_not1_b32 vcc_lo, exec_lo, s4
	s_delay_alu instid0(VALU_DEP_1) | instskip(NEXT) | instid1(VALU_DEP_1)
	v_add_nc_u32_e32 v0, v0, v7
	v_lshrrev_b32_e32 v8, s7, v0
	s_delay_alu instid0(VALU_DEP_1) | instskip(NEXT) | instid1(VALU_DEP_1)
	v_mul_lo_u32 v0, v8, s5
	v_sub_nc_u32_e32 v0, v7, v0
	s_delay_alu instid0(VALU_DEP_1)
	v_mul_lo_u32 v0, v0, s20
	s_cbranch_vccnz .LBB156_48
; %bb.47:                               ;   in Loop: Header=BB156_9 Depth=1
	v_mul_hi_u32 v7, s9, v8
	s_delay_alu instid0(VALU_DEP_1) | instskip(NEXT) | instid1(VALU_DEP_1)
	v_add_nc_u32_e32 v7, v8, v7
	v_lshrrev_b32_e32 v7, s10, v7
	s_delay_alu instid0(VALU_DEP_1) | instskip(NEXT) | instid1(VALU_DEP_1)
	v_mul_lo_u32 v7, v7, s8
	v_sub_nc_u32_e32 v9, v8, v7
	s_delay_alu instid0(VALU_DEP_1) | instskip(NEXT) | instid1(VALU_DEP_1)
	v_mad_u64_u32 v[7:8], null, v9, s21, v[0:1]
	v_mov_b32_e32 v0, v7
.LBB156_48:                             ;   in Loop: Header=BB156_9 Depth=1
	v_cvt_f32_u32_e32 v1, v1
	s_delay_alu instid0(VALU_DEP_1) | instskip(NEXT) | instid1(VALU_DEP_1)
	v_fmaak_f32 v1, 0x2f800000, v1, 0x2f800000
	v_cmp_lt_f32_e32 vcc_lo, v1, v38
	v_cndmask_b32_e64 v1, 0, 1.0, vcc_lo
	global_store_d16_hi_b16 v0, v1, s[12:13]
.LBB156_49:                             ;   in Loop: Header=BB156_9 Depth=1
	s_or_b32 exec_lo, exec_lo, s35
	v_add_co_u32 v0, vcc_lo, v13, s28
	v_add_co_ci_u32_e32 v1, vcc_lo, 0, v14, vcc_lo
	s_mov_b32 s35, exec_lo
	s_delay_alu instid0(VALU_DEP_1)
	v_cmpx_gt_i64_e64 s[16:17], v[0:1]
	s_cbranch_execz .LBB156_64
; %bb.50:                               ;   in Loop: Header=BB156_9 Depth=1
	s_and_not1_b32 vcc_lo, exec_lo, s11
	s_cbranch_vccnz .LBB156_56
; %bb.51:                               ;   in Loop: Header=BB156_9 Depth=1
	v_mov_b32_e32 v1, 0
	s_and_not1_b32 vcc_lo, exec_lo, s27
	s_cbranch_vccnz .LBB156_60
; %bb.52:                               ;   in Loop: Header=BB156_9 Depth=1
	s_and_not1_b32 vcc_lo, exec_lo, s30
	s_mov_b32 s14, 0
	s_cbranch_vccnz .LBB156_57
; %bb.53:                               ;   in Loop: Header=BB156_9 Depth=1
	v_mov_b32_e32 v1, 0
	v_mov_b32_e32 v7, v0
	s_mov_b32 s36, 0
	s_mov_b64 s[14:15], s[18:19]
	s_mov_b64 s[22:23], s[0:1]
.LBB156_54:                             ;   Parent Loop BB156_9 Depth=1
                                        ; =>  This Inner Loop Header: Depth=2
	s_clause 0x1
	s_load_b256 s[40:47], s[14:15], 0x4
	s_load_b128 s[48:51], s[14:15], 0x24
	s_load_b128 s[52:55], s[22:23], 0x0
	s_add_u32 s14, s14, 48
	s_addc_u32 s15, s15, 0
	s_add_i32 s36, s36, 4
	s_add_u32 s22, s22, 16
	s_addc_u32 s23, s23, 0
	s_cmp_eq_u32 s31, s36
	s_waitcnt lgkmcnt(0)
	v_mul_hi_u32 v8, s41, v7
	s_delay_alu instid0(VALU_DEP_1) | instskip(NEXT) | instid1(VALU_DEP_1)
	v_add_nc_u32_e32 v8, v7, v8
	v_lshrrev_b32_e32 v8, s42, v8
	s_delay_alu instid0(VALU_DEP_1) | instskip(SKIP_1) | instid1(VALU_DEP_2)
	v_mul_hi_u32 v9, s44, v8
	v_mul_lo_u32 v41, v8, s40
	v_add_nc_u32_e32 v9, v8, v9
	s_delay_alu instid0(VALU_DEP_2) | instskip(NEXT) | instid1(VALU_DEP_2)
	v_sub_nc_u32_e32 v41, v7, v41
	v_lshrrev_b32_e32 v9, s45, v9
	s_delay_alu instid0(VALU_DEP_2) | instskip(NEXT) | instid1(VALU_DEP_2)
	v_mul_lo_u32 v41, v41, s52
	v_mul_hi_u32 v10, s47, v9
	v_mul_lo_u32 v42, v9, s43
	s_delay_alu instid0(VALU_DEP_2) | instskip(NEXT) | instid1(VALU_DEP_2)
	v_add_nc_u32_e32 v10, v9, v10
	v_sub_nc_u32_e32 v8, v8, v42
	s_delay_alu instid0(VALU_DEP_2) | instskip(NEXT) | instid1(VALU_DEP_2)
	v_lshrrev_b32_e32 v10, s48, v10
	v_mul_lo_u32 v8, v8, s53
	s_delay_alu instid0(VALU_DEP_2) | instskip(NEXT) | instid1(VALU_DEP_2)
	v_mul_hi_u32 v16, s50, v10
	v_add3_u32 v1, v41, v1, v8
	s_delay_alu instid0(VALU_DEP_2) | instskip(NEXT) | instid1(VALU_DEP_1)
	v_add_nc_u32_e32 v16, v10, v16
	v_lshrrev_b32_e32 v7, s51, v16
	v_mul_lo_u32 v16, v10, s46
	s_delay_alu instid0(VALU_DEP_2) | instskip(NEXT) | instid1(VALU_DEP_2)
	v_mul_lo_u32 v43, v7, s49
	v_sub_nc_u32_e32 v9, v9, v16
	s_delay_alu instid0(VALU_DEP_2) | instskip(NEXT) | instid1(VALU_DEP_2)
	v_sub_nc_u32_e32 v10, v10, v43
	v_mul_lo_u32 v9, v9, s54
	s_delay_alu instid0(VALU_DEP_2) | instskip(NEXT) | instid1(VALU_DEP_1)
	v_mul_lo_u32 v10, v10, s55
	v_add3_u32 v1, v9, v1, v10
	s_cbranch_scc0 .LBB156_54
; %bb.55:                               ;   in Loop: Header=BB156_9 Depth=1
	s_mov_b32 s14, s31
	s_and_not1_b32 vcc_lo, exec_lo, s34
	s_cbranch_vccz .LBB156_58
	s_branch .LBB156_60
.LBB156_56:                             ;   in Loop: Header=BB156_9 Depth=1
                                        ; implicit-def: $vgpr1
	s_branch .LBB156_61
.LBB156_57:                             ;   in Loop: Header=BB156_9 Depth=1
	v_mov_b32_e32 v7, v0
	s_and_not1_b32 vcc_lo, exec_lo, s34
	s_cbranch_vccnz .LBB156_60
.LBB156_58:                             ;   in Loop: Header=BB156_9 Depth=1
	s_lshl_b32 s15, s14, 2
	s_mul_i32 s22, s14, 12
	s_add_u32 s14, s0, s15
	s_addc_u32 s15, s1, 0
	s_add_u32 s22, s18, s22
	s_addc_u32 s23, s19, 0
	s_mov_b32 s36, s29
	.p2align	6
.LBB156_59:                             ;   Parent Loop BB156_9 Depth=1
                                        ; =>  This Inner Loop Header: Depth=2
	s_clause 0x1
	s_load_b64 s[38:39], s[22:23], 0x4
	s_load_b32 s37, s[22:23], 0xc
	s_add_u32 s22, s22, 12
	s_addc_u32 s23, s23, 0
	s_waitcnt lgkmcnt(0)
	v_mul_hi_u32 v8, s39, v7
	s_load_b32 s39, s[14:15], 0x0
	s_add_u32 s14, s14, 4
	s_addc_u32 s15, s15, 0
	s_add_i32 s36, s36, -1
	s_delay_alu instid0(SALU_CYCLE_1) | instskip(NEXT) | instid1(VALU_DEP_1)
	s_cmp_lg_u32 s36, 0
	v_add_nc_u32_e32 v8, v7, v8
	s_delay_alu instid0(VALU_DEP_1) | instskip(NEXT) | instid1(VALU_DEP_1)
	v_lshrrev_b32_e32 v10, s37, v8
	v_mul_lo_u32 v8, v10, s38
	s_delay_alu instid0(VALU_DEP_1) | instskip(SKIP_1) | instid1(VALU_DEP_1)
	v_sub_nc_u32_e32 v7, v7, v8
	s_waitcnt lgkmcnt(0)
	v_mad_u64_u32 v[8:9], null, v7, s39, v[1:2]
	v_mov_b32_e32 v7, v10
	s_delay_alu instid0(VALU_DEP_2)
	v_mov_b32_e32 v1, v8
	s_cbranch_scc1 .LBB156_59
.LBB156_60:                             ;   in Loop: Header=BB156_9 Depth=1
	s_cbranch_execnz .LBB156_63
.LBB156_61:                             ;   in Loop: Header=BB156_9 Depth=1
	v_mul_hi_u32 v1, v0, s6
	s_and_not1_b32 vcc_lo, exec_lo, s4
	s_delay_alu instid0(VALU_DEP_1) | instskip(NEXT) | instid1(VALU_DEP_1)
	v_add_nc_u32_e32 v1, v1, v0
	v_lshrrev_b32_e32 v7, s7, v1
	s_delay_alu instid0(VALU_DEP_1) | instskip(NEXT) | instid1(VALU_DEP_1)
	v_mul_lo_u32 v1, v7, s5
	v_sub_nc_u32_e32 v0, v0, v1
	s_delay_alu instid0(VALU_DEP_1)
	v_mul_lo_u32 v1, v0, s20
	s_cbranch_vccnz .LBB156_63
; %bb.62:                               ;   in Loop: Header=BB156_9 Depth=1
	v_mul_hi_u32 v0, s9, v7
	s_delay_alu instid0(VALU_DEP_1) | instskip(NEXT) | instid1(VALU_DEP_1)
	v_add_nc_u32_e32 v0, v7, v0
	v_lshrrev_b32_e32 v0, s10, v0
	s_delay_alu instid0(VALU_DEP_1) | instskip(NEXT) | instid1(VALU_DEP_1)
	v_mul_lo_u32 v0, v0, s8
	v_sub_nc_u32_e32 v0, v7, v0
	s_delay_alu instid0(VALU_DEP_1) | instskip(NEXT) | instid1(VALU_DEP_1)
	v_mad_u64_u32 v[7:8], null, v0, s21, v[1:2]
	v_mov_b32_e32 v1, v7
.LBB156_63:                             ;   in Loop: Header=BB156_9 Depth=1
	v_cvt_f32_u32_e32 v0, v2
	s_delay_alu instid0(VALU_DEP_1) | instskip(NEXT) | instid1(VALU_DEP_1)
	v_fmaak_f32 v0, 0x2f800000, v0, 0x2f800000
	v_cmp_lt_f32_e32 vcc_lo, v0, v38
	v_cndmask_b32_e64 v0, 0, 1.0, vcc_lo
	global_store_d16_hi_b16 v1, v0, s[12:13]
.LBB156_64:                             ;   in Loop: Header=BB156_9 Depth=1
	s_or_b32 exec_lo, exec_lo, s35
	v_add_co_u32 v0, vcc_lo, v13, s33
	v_add_co_ci_u32_e32 v1, vcc_lo, 0, v14, vcc_lo
	s_mov_b32 s35, exec_lo
	s_delay_alu instid0(VALU_DEP_1)
	v_cmpx_gt_i64_e64 s[16:17], v[0:1]
	s_cbranch_execz .LBB156_8
; %bb.65:                               ;   in Loop: Header=BB156_9 Depth=1
	s_and_not1_b32 vcc_lo, exec_lo, s11
	s_cbranch_vccnz .LBB156_71
; %bb.66:                               ;   in Loop: Header=BB156_9 Depth=1
	v_mov_b32_e32 v1, 0
	s_and_not1_b32 vcc_lo, exec_lo, s27
	s_cbranch_vccnz .LBB156_75
; %bb.67:                               ;   in Loop: Header=BB156_9 Depth=1
	s_and_not1_b32 vcc_lo, exec_lo, s30
	s_mov_b32 s14, 0
	s_cbranch_vccnz .LBB156_72
; %bb.68:                               ;   in Loop: Header=BB156_9 Depth=1
	v_dual_mov_b32 v1, 0 :: v_dual_mov_b32 v2, v0
	s_mov_b32 s36, 0
	s_mov_b64 s[14:15], s[18:19]
	s_mov_b64 s[22:23], s[0:1]
.LBB156_69:                             ;   Parent Loop BB156_9 Depth=1
                                        ; =>  This Inner Loop Header: Depth=2
	s_clause 0x1
	s_load_b256 s[40:47], s[14:15], 0x4
	s_load_b128 s[48:51], s[14:15], 0x24
	s_load_b128 s[52:55], s[22:23], 0x0
	s_add_u32 s14, s14, 48
	s_addc_u32 s15, s15, 0
	s_add_i32 s36, s36, 4
	s_add_u32 s22, s22, 16
	s_addc_u32 s23, s23, 0
	s_cmp_eq_u32 s31, s36
	s_waitcnt lgkmcnt(0)
	v_mul_hi_u32 v7, s41, v2
	s_delay_alu instid0(VALU_DEP_1) | instskip(NEXT) | instid1(VALU_DEP_1)
	v_add_nc_u32_e32 v7, v2, v7
	v_lshrrev_b32_e32 v7, s42, v7
	s_delay_alu instid0(VALU_DEP_1) | instskip(SKIP_1) | instid1(VALU_DEP_2)
	v_mul_hi_u32 v8, s44, v7
	v_mul_lo_u32 v16, v7, s40
	v_add_nc_u32_e32 v8, v7, v8
	s_delay_alu instid0(VALU_DEP_2) | instskip(NEXT) | instid1(VALU_DEP_2)
	v_sub_nc_u32_e32 v16, v2, v16
	v_lshrrev_b32_e32 v8, s45, v8
	s_delay_alu instid0(VALU_DEP_2) | instskip(NEXT) | instid1(VALU_DEP_2)
	v_mul_lo_u32 v16, v16, s52
	v_mul_hi_u32 v9, s47, v8
	v_mul_lo_u32 v41, v8, s43
	s_delay_alu instid0(VALU_DEP_2) | instskip(NEXT) | instid1(VALU_DEP_2)
	v_add_nc_u32_e32 v9, v8, v9
	v_sub_nc_u32_e32 v7, v7, v41
	s_delay_alu instid0(VALU_DEP_2) | instskip(NEXT) | instid1(VALU_DEP_2)
	v_lshrrev_b32_e32 v9, s48, v9
	v_mul_lo_u32 v7, v7, s53
	s_delay_alu instid0(VALU_DEP_2) | instskip(NEXT) | instid1(VALU_DEP_2)
	v_mul_hi_u32 v10, s50, v9
	v_add3_u32 v1, v16, v1, v7
	s_delay_alu instid0(VALU_DEP_2) | instskip(NEXT) | instid1(VALU_DEP_1)
	v_add_nc_u32_e32 v10, v9, v10
	v_lshrrev_b32_e32 v2, s51, v10
	v_mul_lo_u32 v10, v9, s46
	s_delay_alu instid0(VALU_DEP_2) | instskip(NEXT) | instid1(VALU_DEP_2)
	v_mul_lo_u32 v42, v2, s49
	v_sub_nc_u32_e32 v8, v8, v10
	s_delay_alu instid0(VALU_DEP_2) | instskip(NEXT) | instid1(VALU_DEP_2)
	v_sub_nc_u32_e32 v9, v9, v42
	v_mul_lo_u32 v8, v8, s54
	s_delay_alu instid0(VALU_DEP_2) | instskip(NEXT) | instid1(VALU_DEP_1)
	v_mul_lo_u32 v9, v9, s55
	v_add3_u32 v1, v8, v1, v9
	s_cbranch_scc0 .LBB156_69
; %bb.70:                               ;   in Loop: Header=BB156_9 Depth=1
	s_mov_b32 s14, s31
	s_and_not1_b32 vcc_lo, exec_lo, s34
	s_cbranch_vccz .LBB156_73
	s_branch .LBB156_75
.LBB156_71:                             ;   in Loop: Header=BB156_9 Depth=1
                                        ; implicit-def: $vgpr1
	s_branch .LBB156_76
.LBB156_72:                             ;   in Loop: Header=BB156_9 Depth=1
	v_mov_b32_e32 v2, v0
	s_and_not1_b32 vcc_lo, exec_lo, s34
	s_cbranch_vccnz .LBB156_75
.LBB156_73:                             ;   in Loop: Header=BB156_9 Depth=1
	s_lshl_b32 s15, s14, 2
	s_mul_i32 s22, s14, 12
	s_add_u32 s14, s0, s15
	s_addc_u32 s15, s1, 0
	s_add_u32 s22, s18, s22
	s_addc_u32 s23, s19, 0
	s_mov_b32 s36, s29
	.p2align	6
.LBB156_74:                             ;   Parent Loop BB156_9 Depth=1
                                        ; =>  This Inner Loop Header: Depth=2
	s_clause 0x1
	s_load_b64 s[38:39], s[22:23], 0x4
	s_load_b32 s37, s[22:23], 0xc
	s_add_u32 s22, s22, 12
	s_addc_u32 s23, s23, 0
	s_waitcnt lgkmcnt(0)
	v_mul_hi_u32 v7, s39, v2
	s_load_b32 s39, s[14:15], 0x0
	s_add_u32 s14, s14, 4
	s_addc_u32 s15, s15, 0
	s_add_i32 s36, s36, -1
	s_delay_alu instid0(SALU_CYCLE_1) | instskip(NEXT) | instid1(VALU_DEP_1)
	s_cmp_lg_u32 s36, 0
	v_add_nc_u32_e32 v7, v2, v7
	s_delay_alu instid0(VALU_DEP_1) | instskip(NEXT) | instid1(VALU_DEP_1)
	v_lshrrev_b32_e32 v9, s37, v7
	v_mul_lo_u32 v7, v9, s38
	s_delay_alu instid0(VALU_DEP_1) | instskip(SKIP_1) | instid1(VALU_DEP_1)
	v_sub_nc_u32_e32 v2, v2, v7
	s_waitcnt lgkmcnt(0)
	v_mad_u64_u32 v[7:8], null, v2, s39, v[1:2]
	s_delay_alu instid0(VALU_DEP_1)
	v_dual_mov_b32 v2, v9 :: v_dual_mov_b32 v1, v7
	s_cbranch_scc1 .LBB156_74
.LBB156_75:                             ;   in Loop: Header=BB156_9 Depth=1
	s_cbranch_execnz .LBB156_7
.LBB156_76:                             ;   in Loop: Header=BB156_9 Depth=1
	v_mul_hi_u32 v1, v0, s6
	s_and_not1_b32 vcc_lo, exec_lo, s4
	s_delay_alu instid0(VALU_DEP_1) | instskip(NEXT) | instid1(VALU_DEP_1)
	v_add_nc_u32_e32 v1, v1, v0
	v_lshrrev_b32_e32 v2, s7, v1
	s_delay_alu instid0(VALU_DEP_1) | instskip(NEXT) | instid1(VALU_DEP_1)
	v_mul_lo_u32 v1, v2, s5
	v_sub_nc_u32_e32 v0, v0, v1
	s_delay_alu instid0(VALU_DEP_1)
	v_mul_lo_u32 v1, v0, s20
	s_cbranch_vccnz .LBB156_7
; %bb.77:                               ;   in Loop: Header=BB156_9 Depth=1
	v_mul_hi_u32 v0, s9, v2
	s_delay_alu instid0(VALU_DEP_1) | instskip(NEXT) | instid1(VALU_DEP_1)
	v_add_nc_u32_e32 v0, v2, v0
	v_lshrrev_b32_e32 v0, s10, v0
	s_delay_alu instid0(VALU_DEP_1) | instskip(NEXT) | instid1(VALU_DEP_1)
	v_mul_lo_u32 v0, v0, s8
	v_sub_nc_u32_e32 v0, v2, v0
	s_delay_alu instid0(VALU_DEP_1) | instskip(NEXT) | instid1(VALU_DEP_1)
	v_mad_u64_u32 v[7:8], null, v0, s21, v[1:2]
	v_mov_b32_e32 v1, v7
	s_branch .LBB156_7
.LBB156_78:
	s_endpgm
.LBB156_79:
                                        ; implicit-def: $sgpr2_sgpr3
	s_branch .LBB156_4
	.section	.rodata,"a",@progbits
	.p2align	6, 0x0
	.amdhsa_kernel _ZN2at6native12_GLOBAL__N_143distribution_elementwise_grid_stride_kernelIfLi4EZNS0_9templates4cuda21uniform_and_transformIN3c108BFloat16EfPNS_17CUDAGeneratorImplEZZZNS4_16bernoulli_kernelIS9_EEvRNS_18TensorIteratorBaseEdT_ENKUlvE_clEvENKUlvE7_clEvEUlfE_EEvSC_T1_T2_EUlP25hiprandStatePhilox4_32_10E0_ZNS1_27distribution_nullary_kernelIS7_f15HIP_vector_typeIfLj4EES9_SL_SG_EEvSC_SI_RKT3_T4_EUlifE0_EEvlNS_15PhiloxCudaStateESH_SI_
		.amdhsa_group_segment_fixed_size 0
		.amdhsa_private_segment_fixed_size 0
		.amdhsa_kernarg_size 584
		.amdhsa_user_sgpr_count 15
		.amdhsa_user_sgpr_dispatch_ptr 0
		.amdhsa_user_sgpr_queue_ptr 0
		.amdhsa_user_sgpr_kernarg_segment_ptr 1
		.amdhsa_user_sgpr_dispatch_id 0
		.amdhsa_user_sgpr_private_segment_size 0
		.amdhsa_wavefront_size32 1
		.amdhsa_uses_dynamic_stack 0
		.amdhsa_enable_private_segment 0
		.amdhsa_system_sgpr_workgroup_id_x 1
		.amdhsa_system_sgpr_workgroup_id_y 0
		.amdhsa_system_sgpr_workgroup_id_z 0
		.amdhsa_system_sgpr_workgroup_info 0
		.amdhsa_system_vgpr_workitem_id 0
		.amdhsa_next_free_vgpr 45
		.amdhsa_next_free_sgpr 56
		.amdhsa_reserve_vcc 1
		.amdhsa_float_round_mode_32 0
		.amdhsa_float_round_mode_16_64 0
		.amdhsa_float_denorm_mode_32 3
		.amdhsa_float_denorm_mode_16_64 3
		.amdhsa_dx10_clamp 1
		.amdhsa_ieee_mode 1
		.amdhsa_fp16_overflow 0
		.amdhsa_workgroup_processor_mode 1
		.amdhsa_memory_ordered 1
		.amdhsa_forward_progress 0
		.amdhsa_shared_vgpr_count 0
		.amdhsa_exception_fp_ieee_invalid_op 0
		.amdhsa_exception_fp_denorm_src 0
		.amdhsa_exception_fp_ieee_div_zero 0
		.amdhsa_exception_fp_ieee_overflow 0
		.amdhsa_exception_fp_ieee_underflow 0
		.amdhsa_exception_fp_ieee_inexact 0
		.amdhsa_exception_int_div_zero 0
	.end_amdhsa_kernel
	.section	.text._ZN2at6native12_GLOBAL__N_143distribution_elementwise_grid_stride_kernelIfLi4EZNS0_9templates4cuda21uniform_and_transformIN3c108BFloat16EfPNS_17CUDAGeneratorImplEZZZNS4_16bernoulli_kernelIS9_EEvRNS_18TensorIteratorBaseEdT_ENKUlvE_clEvENKUlvE7_clEvEUlfE_EEvSC_T1_T2_EUlP25hiprandStatePhilox4_32_10E0_ZNS1_27distribution_nullary_kernelIS7_f15HIP_vector_typeIfLj4EES9_SL_SG_EEvSC_SI_RKT3_T4_EUlifE0_EEvlNS_15PhiloxCudaStateESH_SI_,"axG",@progbits,_ZN2at6native12_GLOBAL__N_143distribution_elementwise_grid_stride_kernelIfLi4EZNS0_9templates4cuda21uniform_and_transformIN3c108BFloat16EfPNS_17CUDAGeneratorImplEZZZNS4_16bernoulli_kernelIS9_EEvRNS_18TensorIteratorBaseEdT_ENKUlvE_clEvENKUlvE7_clEvEUlfE_EEvSC_T1_T2_EUlP25hiprandStatePhilox4_32_10E0_ZNS1_27distribution_nullary_kernelIS7_f15HIP_vector_typeIfLj4EES9_SL_SG_EEvSC_SI_RKT3_T4_EUlifE0_EEvlNS_15PhiloxCudaStateESH_SI_,comdat
.Lfunc_end156:
	.size	_ZN2at6native12_GLOBAL__N_143distribution_elementwise_grid_stride_kernelIfLi4EZNS0_9templates4cuda21uniform_and_transformIN3c108BFloat16EfPNS_17CUDAGeneratorImplEZZZNS4_16bernoulli_kernelIS9_EEvRNS_18TensorIteratorBaseEdT_ENKUlvE_clEvENKUlvE7_clEvEUlfE_EEvSC_T1_T2_EUlP25hiprandStatePhilox4_32_10E0_ZNS1_27distribution_nullary_kernelIS7_f15HIP_vector_typeIfLj4EES9_SL_SG_EEvSC_SI_RKT3_T4_EUlifE0_EEvlNS_15PhiloxCudaStateESH_SI_, .Lfunc_end156-_ZN2at6native12_GLOBAL__N_143distribution_elementwise_grid_stride_kernelIfLi4EZNS0_9templates4cuda21uniform_and_transformIN3c108BFloat16EfPNS_17CUDAGeneratorImplEZZZNS4_16bernoulli_kernelIS9_EEvRNS_18TensorIteratorBaseEdT_ENKUlvE_clEvENKUlvE7_clEvEUlfE_EEvSC_T1_T2_EUlP25hiprandStatePhilox4_32_10E0_ZNS1_27distribution_nullary_kernelIS7_f15HIP_vector_typeIfLj4EES9_SL_SG_EEvSC_SI_RKT3_T4_EUlifE0_EEvlNS_15PhiloxCudaStateESH_SI_
                                        ; -- End function
	.section	.AMDGPU.csdata,"",@progbits
; Kernel info:
; codeLenInByte = 5256
; NumSgprs: 58
; NumVgprs: 45
; ScratchSize: 0
; MemoryBound: 0
; FloatMode: 240
; IeeeMode: 1
; LDSByteSize: 0 bytes/workgroup (compile time only)
; SGPRBlocks: 7
; VGPRBlocks: 5
; NumSGPRsForWavesPerEU: 58
; NumVGPRsForWavesPerEU: 45
; Occupancy: 16
; WaveLimiterHint : 1
; COMPUTE_PGM_RSRC2:SCRATCH_EN: 0
; COMPUTE_PGM_RSRC2:USER_SGPR: 15
; COMPUTE_PGM_RSRC2:TRAP_HANDLER: 0
; COMPUTE_PGM_RSRC2:TGID_X_EN: 1
; COMPUTE_PGM_RSRC2:TGID_Y_EN: 0
; COMPUTE_PGM_RSRC2:TGID_Z_EN: 0
; COMPUTE_PGM_RSRC2:TIDIG_COMP_CNT: 0
	.section	.text._ZN2at6native12_GLOBAL__N_143distribution_elementwise_grid_stride_kernelIfLi4EZNS0_9templates4cuda21uniform_and_transformIbfPNS_17CUDAGeneratorImplEZZZNS4_16bernoulli_kernelIS7_EEvRNS_18TensorIteratorBaseEdT_ENKUlvE_clEvENKUlvE8_clEvEUlfE_EEvSA_T1_T2_EUlP25hiprandStatePhilox4_32_10E_ZNS1_27distribution_nullary_kernelIbf15HIP_vector_typeIdLj2EES7_SJ_SE_EEvSA_SG_RKT3_T4_EUlifE_EEvlNS_15PhiloxCudaStateESF_SG_,"axG",@progbits,_ZN2at6native12_GLOBAL__N_143distribution_elementwise_grid_stride_kernelIfLi4EZNS0_9templates4cuda21uniform_and_transformIbfPNS_17CUDAGeneratorImplEZZZNS4_16bernoulli_kernelIS7_EEvRNS_18TensorIteratorBaseEdT_ENKUlvE_clEvENKUlvE8_clEvEUlfE_EEvSA_T1_T2_EUlP25hiprandStatePhilox4_32_10E_ZNS1_27distribution_nullary_kernelIbf15HIP_vector_typeIdLj2EES7_SJ_SE_EEvSA_SG_RKT3_T4_EUlifE_EEvlNS_15PhiloxCudaStateESF_SG_,comdat
	.globl	_ZN2at6native12_GLOBAL__N_143distribution_elementwise_grid_stride_kernelIfLi4EZNS0_9templates4cuda21uniform_and_transformIbfPNS_17CUDAGeneratorImplEZZZNS4_16bernoulli_kernelIS7_EEvRNS_18TensorIteratorBaseEdT_ENKUlvE_clEvENKUlvE8_clEvEUlfE_EEvSA_T1_T2_EUlP25hiprandStatePhilox4_32_10E_ZNS1_27distribution_nullary_kernelIbf15HIP_vector_typeIdLj2EES7_SJ_SE_EEvSA_SG_RKT3_T4_EUlifE_EEvlNS_15PhiloxCudaStateESF_SG_ ; -- Begin function _ZN2at6native12_GLOBAL__N_143distribution_elementwise_grid_stride_kernelIfLi4EZNS0_9templates4cuda21uniform_and_transformIbfPNS_17CUDAGeneratorImplEZZZNS4_16bernoulli_kernelIS7_EEvRNS_18TensorIteratorBaseEdT_ENKUlvE_clEvENKUlvE8_clEvEUlfE_EEvSA_T1_T2_EUlP25hiprandStatePhilox4_32_10E_ZNS1_27distribution_nullary_kernelIbf15HIP_vector_typeIdLj2EES7_SJ_SE_EEvSA_SG_RKT3_T4_EUlifE_EEvlNS_15PhiloxCudaStateESF_SG_
	.p2align	8
	.type	_ZN2at6native12_GLOBAL__N_143distribution_elementwise_grid_stride_kernelIfLi4EZNS0_9templates4cuda21uniform_and_transformIbfPNS_17CUDAGeneratorImplEZZZNS4_16bernoulli_kernelIS7_EEvRNS_18TensorIteratorBaseEdT_ENKUlvE_clEvENKUlvE8_clEvEUlfE_EEvSA_T1_T2_EUlP25hiprandStatePhilox4_32_10E_ZNS1_27distribution_nullary_kernelIbf15HIP_vector_typeIdLj2EES7_SJ_SE_EEvSA_SG_RKT3_T4_EUlifE_EEvlNS_15PhiloxCudaStateESF_SG_,@function
_ZN2at6native12_GLOBAL__N_143distribution_elementwise_grid_stride_kernelIfLi4EZNS0_9templates4cuda21uniform_and_transformIbfPNS_17CUDAGeneratorImplEZZZNS4_16bernoulli_kernelIS7_EEvRNS_18TensorIteratorBaseEdT_ENKUlvE_clEvENKUlvE8_clEvEUlfE_EEvSA_T1_T2_EUlP25hiprandStatePhilox4_32_10E_ZNS1_27distribution_nullary_kernelIbf15HIP_vector_typeIdLj2EES7_SJ_SE_EEvSA_SG_RKT3_T4_EUlifE_EEvlNS_15PhiloxCudaStateESF_SG_: ; @_ZN2at6native12_GLOBAL__N_143distribution_elementwise_grid_stride_kernelIfLi4EZNS0_9templates4cuda21uniform_and_transformIbfPNS_17CUDAGeneratorImplEZZZNS4_16bernoulli_kernelIS7_EEvRNS_18TensorIteratorBaseEdT_ENKUlvE_clEvENKUlvE8_clEvEUlfE_EEvSA_T1_T2_EUlP25hiprandStatePhilox4_32_10E_ZNS1_27distribution_nullary_kernelIbf15HIP_vector_typeIdLj2EES7_SJ_SE_EEvSA_SG_RKT3_T4_EUlifE_EEvlNS_15PhiloxCudaStateESF_SG_
; %bb.0:
	s_clause 0x2
	s_load_b64 s[8:9], s[0:1], 0x10
	s_load_b128 s[4:7], s[0:1], 0x0
	s_load_b32 s2, s[0:1], 0x20
	s_waitcnt lgkmcnt(0)
	v_dual_mov_b32 v2, s8 :: v_dual_mov_b32 v3, s9
	v_dual_mov_b32 v12, s7 :: v_dual_mov_b32 v11, s6
	s_bitcmp0_b32 s2, 0
	s_mov_b32 s2, 0
	s_cbranch_scc1 .LBB157_2
; %bb.1:
	v_dual_mov_b32 v1, s8 :: v_dual_mov_b32 v2, s9
	v_dual_mov_b32 v4, s6 :: v_dual_mov_b32 v5, s7
	s_load_b64 s[6:7], s[0:1], 0x18
	flat_load_b64 v[2:3], v[1:2]
	flat_load_b64 v[11:12], v[4:5]
	s_waitcnt vmcnt(1) lgkmcnt(0)
	v_add_co_u32 v2, vcc_lo, v2, s6
	v_add_co_ci_u32_e32 v3, vcc_lo, s7, v3, vcc_lo
.LBB157_2:
	s_clause 0x1
	s_load_b32 s3, s[0:1], 0x54
	s_load_b32 s11, s[0:1], 0x48
	s_waitcnt lgkmcnt(0)
	s_and_b32 s10, s3, 0xffff
	s_add_u32 s6, s4, -1
	s_mul_i32 s8, s11, s10
	s_addc_u32 s3, s5, -1
	s_lshl_b32 s9, s8, 2
	s_cmp_lg_u64 s[2:3], 0
	s_cbranch_scc0 .LBB157_23
; %bb.3:
	v_cvt_f32_ubyte0_e32 v1, 0
	v_cvt_f32_u32_e32 v4, s9
	s_sub_u32 s12, 0, s9
	s_subb_u32 s13, 0, 0
	s_delay_alu instid0(VALU_DEP_1) | instskip(NEXT) | instid1(VALU_DEP_1)
	v_fmamk_f32 v1, v1, 0x4f800000, v4
	v_rcp_f32_e32 v1, v1
	s_waitcnt_depctr 0xfff
	v_mul_f32_e32 v1, 0x5f7ffffc, v1
	s_delay_alu instid0(VALU_DEP_1) | instskip(NEXT) | instid1(VALU_DEP_1)
	v_mul_f32_e32 v4, 0x2f800000, v1
	v_trunc_f32_e32 v4, v4
	s_delay_alu instid0(VALU_DEP_1) | instskip(SKIP_1) | instid1(VALU_DEP_2)
	v_fmamk_f32 v1, v4, 0xcf800000, v1
	v_cvt_u32_f32_e32 v4, v4
	v_cvt_u32_f32_e32 v1, v1
	s_delay_alu instid0(VALU_DEP_2) | instskip(NEXT) | instid1(VALU_DEP_2)
	v_readfirstlane_b32 s2, v4
	v_readfirstlane_b32 s7, v1
	s_delay_alu instid0(VALU_DEP_2) | instskip(NEXT) | instid1(VALU_DEP_1)
	s_mul_i32 s14, s12, s2
	s_mul_hi_u32 s17, s12, s7
	s_mul_i32 s16, s13, s7
	s_add_i32 s14, s17, s14
	s_mul_i32 s18, s12, s7
	s_add_i32 s14, s14, s16
	s_mul_hi_u32 s17, s7, s18
	s_mul_hi_u32 s19, s2, s18
	s_mul_i32 s16, s2, s18
	s_mul_hi_u32 s18, s7, s14
	s_mul_i32 s7, s7, s14
	s_mul_hi_u32 s20, s2, s14
	s_add_u32 s7, s17, s7
	s_addc_u32 s17, 0, s18
	s_add_u32 s7, s7, s16
	s_mul_i32 s14, s2, s14
	s_addc_u32 s7, s17, s19
	s_addc_u32 s16, s20, 0
	s_add_u32 s7, s7, s14
	s_addc_u32 s14, 0, s16
	v_add_co_u32 v1, s7, v1, s7
	s_delay_alu instid0(VALU_DEP_1) | instskip(SKIP_1) | instid1(VALU_DEP_1)
	s_cmp_lg_u32 s7, 0
	s_addc_u32 s2, s2, s14
	v_readfirstlane_b32 s7, v1
	s_mul_i32 s14, s12, s2
	s_delay_alu instid0(VALU_DEP_1)
	s_mul_hi_u32 s16, s12, s7
	s_mul_i32 s13, s13, s7
	s_add_i32 s14, s16, s14
	s_mul_i32 s12, s12, s7
	s_add_i32 s14, s14, s13
	s_mul_hi_u32 s16, s2, s12
	s_mul_i32 s17, s2, s12
	s_mul_hi_u32 s12, s7, s12
	s_mul_hi_u32 s18, s7, s14
	s_mul_i32 s7, s7, s14
	s_mul_hi_u32 s13, s2, s14
	s_add_u32 s7, s12, s7
	s_addc_u32 s12, 0, s18
	s_add_u32 s7, s7, s17
	s_mul_i32 s14, s2, s14
	s_addc_u32 s7, s12, s16
	s_addc_u32 s12, s13, 0
	s_add_u32 s7, s7, s14
	s_addc_u32 s12, 0, s12
	v_add_co_u32 v1, s7, v1, s7
	s_delay_alu instid0(VALU_DEP_1) | instskip(SKIP_2) | instid1(VALU_DEP_1)
	s_cmp_lg_u32 s7, 0
	s_addc_u32 s7, s2, s12
	s_ashr_i32 s12, s3, 31
	v_readfirstlane_b32 s14, v1
	s_add_u32 s2, s6, s12
	s_mov_b32 s13, s12
	s_addc_u32 s3, s3, s12
	s_delay_alu instid0(SALU_CYCLE_1) | instskip(NEXT) | instid1(SALU_CYCLE_1)
	s_xor_b64 s[2:3], s[2:3], s[12:13]
	s_mul_i32 s17, s2, s7
	s_mul_hi_u32 s18, s2, s14
	s_mul_hi_u32 s16, s2, s7
	;; [unrolled: 1-line block ×3, first 2 shown]
	s_mul_i32 s14, s3, s14
	s_add_u32 s17, s18, s17
	s_addc_u32 s16, 0, s16
	s_mul_hi_u32 s19, s3, s7
	s_add_u32 s14, s17, s14
	s_mul_i32 s7, s3, s7
	s_addc_u32 s14, s16, s20
	s_addc_u32 s16, s19, 0
	s_add_u32 s7, s14, s7
	s_addc_u32 s14, 0, s16
	s_mul_i32 s17, s9, s7
	s_add_u32 s16, s7, 1
	v_sub_co_u32 v1, s2, s2, s17
	s_mul_hi_u32 s17, s9, s7
	s_addc_u32 s18, s14, 0
	s_mul_i32 s19, s9, s14
	s_delay_alu instid0(VALU_DEP_1)
	v_sub_co_u32 v4, s20, v1, s9
	s_add_u32 s21, s7, 2
	s_addc_u32 s22, s14, 0
	s_add_i32 s17, s17, s19
	s_cmp_lg_u32 s2, 0
	v_readfirstlane_b32 s2, v4
	s_subb_u32 s3, s3, s17
	s_cmp_lg_u32 s20, 0
	s_subb_u32 s17, s3, 0
	s_delay_alu instid0(VALU_DEP_1) | instskip(SKIP_4) | instid1(SALU_CYCLE_1)
	s_cmp_ge_u32 s2, s9
	s_cselect_b32 s2, -1, 0
	s_cmp_eq_u32 s17, 0
	v_readfirstlane_b32 s17, v1
	s_cselect_b32 s2, s2, -1
	s_cmp_lg_u32 s2, 0
	s_cselect_b32 s2, s21, s16
	s_cselect_b32 s16, s22, s18
	s_cmp_ge_u32 s17, s9
	s_cselect_b32 s17, -1, 0
	s_cmp_eq_u32 s3, 0
	s_cselect_b32 s3, s17, -1
	s_delay_alu instid0(SALU_CYCLE_1) | instskip(SKIP_2) | instid1(SALU_CYCLE_1)
	s_cmp_lg_u32 s3, 0
	s_cselect_b32 s3, s16, s14
	s_cselect_b32 s2, s2, s7
	s_xor_b64 s[2:3], s[2:3], s[12:13]
	s_delay_alu instid0(SALU_CYCLE_1)
	s_sub_u32 s2, s2, s12
	s_subb_u32 s3, s3, s12
	s_cbranch_execnz .LBB157_5
.LBB157_4:
	v_cvt_f32_u32_e32 v1, s9
	s_sub_i32 s3, 0, s9
	s_delay_alu instid0(VALU_DEP_1) | instskip(SKIP_2) | instid1(VALU_DEP_1)
	v_rcp_iflag_f32_e32 v1, v1
	s_waitcnt_depctr 0xfff
	v_mul_f32_e32 v1, 0x4f7ffffe, v1
	v_cvt_u32_f32_e32 v1, v1
	s_delay_alu instid0(VALU_DEP_1) | instskip(NEXT) | instid1(VALU_DEP_1)
	v_readfirstlane_b32 s2, v1
	s_mul_i32 s3, s3, s2
	s_delay_alu instid0(SALU_CYCLE_1) | instskip(NEXT) | instid1(SALU_CYCLE_1)
	s_mul_hi_u32 s3, s2, s3
	s_add_i32 s2, s2, s3
	s_delay_alu instid0(SALU_CYCLE_1) | instskip(NEXT) | instid1(SALU_CYCLE_1)
	s_mul_hi_u32 s2, s6, s2
	s_mul_i32 s3, s2, s9
	s_delay_alu instid0(SALU_CYCLE_1)
	s_sub_i32 s3, s6, s3
	s_add_i32 s6, s2, 1
	s_sub_i32 s7, s3, s9
	s_cmp_ge_u32 s3, s9
	s_cselect_b32 s2, s6, s2
	s_cselect_b32 s3, s7, s3
	s_add_i32 s6, s2, 1
	s_cmp_ge_u32 s3, s9
	s_mov_b32 s3, 0
	s_cselect_b32 s2, s6, s2
.LBB157_5:
	v_mov_b32_e32 v1, 0
	s_add_u32 s2, s2, 1
	s_addc_u32 s3, s3, 0
	s_mul_hi_u32 s6, s8, s2
	s_mul_i32 s3, s8, s3
	v_mad_u64_u32 v[13:14], null, s10, s15, v[0:1]
	s_mul_hi_u32 s7, s11, s10
	s_add_i32 s3, s6, s3
	s_mul_i32 s7, s7, s2
	s_mul_i32 s2, s8, s2
	s_add_i32 s3, s3, s7
	s_mov_b32 s6, exec_lo
	s_lshl_b64 s[2:3], s[2:3], 2
	s_delay_alu instid0(SALU_CYCLE_1)
	v_cmpx_gt_i64_e64 s[2:3], v[13:14]
	s_cbranch_execz .LBB157_22
; %bb.6:
	v_alignbit_b32 v17, v3, v2, 2
	v_mad_u64_u32 v[6:7], null, 0xcd9e8d57, v13, 0
	v_lshrrev_b32_e32 v18, 2, v3
	s_waitcnt vmcnt(0)
	v_dual_mov_b32 v15, v12 :: v_dual_and_b32 v34, 3, v2
	v_mad_u64_u32 v[4:5], null, 0xd2511f53, v17, 0
	v_add_co_u32 v20, null, 0x9e3779b9, v11
	v_xor3_b32 v3, v11, v7, v18
	s_delay_alu instid0(VALU_DEP_4) | instskip(SKIP_2) | instid1(VALU_DEP_4)
	v_add_co_u32 v19, null, 0xbb67ae85, v15
	v_add_co_u32 v21, null, 0x3c6ef372, v11
	v_xor_b32_e32 v1, v5, v12
	v_mad_u64_u32 v[7:8], null, 0xd2511f53, v3, 0
	v_add_co_u32 v22, null, 0x76cf5d0a, v15
	s_delay_alu instid0(VALU_DEP_3) | instskip(SKIP_2) | instid1(VALU_DEP_3)
	v_xor_b32_e32 v1, v1, v14
	v_add_co_u32 v23, null, 0x32370b8f, v15
	v_add_co_u32 v24, null, 0xdaa66d2b, v11
	v_mad_u64_u32 v[9:10], null, 0xcd9e8d57, v1, 0
	v_xor3_b32 v1, v19, v8, v4
	v_add_co_u32 v25, null, 0x78dde6e4, v11
	v_add_co_u32 v26, null, 0xed9eba14, v15
	s_delay_alu instid0(VALU_DEP_3) | instskip(SKIP_3) | instid1(VALU_DEP_3)
	v_mad_u64_u32 v[3:4], null, 0xcd9e8d57, v1, 0
	v_xor3_b32 v8, v20, v10, v6
	v_add_co_u32 v27, null, 0xa9066899, v15
	v_add_co_u32 v28, null, 0x1715609d, v11
	v_mad_u64_u32 v[5:6], null, 0xd2511f53, v8, 0
	v_xor3_b32 v1, v21, v4, v9
	s_load_b64 s[12:13], s[0:1], 0x40
	v_add_co_u32 v29, null, 0xb54cda56, v11
	v_add_co_u32 v30, null, 0x646e171e, v15
	s_delay_alu instid0(VALU_DEP_4) | instskip(SKIP_2) | instid1(VALU_DEP_3)
	v_xor3_b32 v4, v22, v6, v7
	v_mad_u64_u32 v[6:7], null, 0xd2511f53, v1, 0
	v_add_co_u32 v31, null, 0x1fd5c5a3, v15
	v_mad_u64_u32 v[8:9], null, 0xcd9e8d57, v4, 0
	v_add_co_u32 v32, null, 0x5384540f, v11
	s_delay_alu instid0(VALU_DEP_4) | instskip(SKIP_4) | instid1(VALU_DEP_4)
	v_xor3_b32 v1, v23, v7, v5
	s_clause 0x1
	s_load_b64 s[6:7], s[0:1], 0x30
	s_load_b32 s0, s[0:1], 0x38
	v_add_co_u32 v36, null, 0xf1bbcdc8, v11
	v_xor3_b32 v5, v24, v9, v3
	v_mad_u64_u32 v[3:4], null, 0xcd9e8d57, v1, 0
	s_waitcnt lgkmcnt(0)
	v_cvt_f32_f64_e32 v33, s[12:13]
	v_add_co_u32 v37, null, 0xdb3d7428, v15
	v_mad_u64_u32 v[9:10], null, 0xd2511f53, v5, 0
	v_dual_mov_b32 v42, v14 :: v_dual_add_nc_u32 v35, 0x8ff34781, v11
	v_xor3_b32 v1, v25, v4, v8
	v_dual_mov_b32 v39, v13 :: v_dual_add_nc_u32 v38, 0x96a522ad, v12
	s_delay_alu instid0(VALU_DEP_4) | instskip(NEXT) | instid1(VALU_DEP_3)
	v_xor3_b32 v8, v26, v10, v6
	v_mad_u64_u32 v[4:5], null, 0xd2511f53, v1, 0
	s_mul_i32 s1, s11, s0
	s_delay_alu instid0(VALU_DEP_2) | instskip(SKIP_1) | instid1(VALU_DEP_2)
	v_mad_u64_u32 v[6:7], null, 0xcd9e8d57, v8, 0
	s_mul_i32 s1, s1, s10
	v_xor3_b32 v1, v27, v5, v9
	s_lshl_b32 s1, s1, 2
	s_delay_alu instid0(VALU_DEP_2) | instskip(NEXT) | instid1(VALU_DEP_2)
	v_xor3_b32 v3, v28, v7, v3
	v_mad_u64_u32 v[7:8], null, 0xcd9e8d57, v1, 0
	s_delay_alu instid0(VALU_DEP_2) | instskip(NEXT) | instid1(VALU_DEP_2)
	v_mad_u64_u32 v[9:10], null, 0xd2511f53, v3, 0
	v_xor3_b32 v1, v29, v8, v6
	s_delay_alu instid0(VALU_DEP_2) | instskip(NEXT) | instid1(VALU_DEP_2)
	v_xor3_b32 v8, v30, v10, v4
	v_mad_u64_u32 v[3:4], null, 0xd2511f53, v1, 0
	s_delay_alu instid0(VALU_DEP_2) | instskip(NEXT) | instid1(VALU_DEP_2)
	v_mad_u64_u32 v[5:6], null, 0xcd9e8d57, v8, 0
	v_xor3_b32 v1, v31, v4, v9
	s_delay_alu instid0(VALU_DEP_2) | instskip(NEXT) | instid1(VALU_DEP_2)
	v_xor3_b32 v2, v32, v6, v7
	v_mad_u64_u32 v[6:7], null, 0xcd9e8d57, v1, 0
	v_mad_u64_u32 v[15:16], null, s15, s10, v[0:1]
	s_delay_alu instid0(VALU_DEP_3) | instskip(SKIP_1) | instid1(VALU_DEP_3)
	v_mad_u64_u32 v[8:9], null, 0xd2511f53, v2, 0
	s_add_i32 s15, s15, s11
	v_xor3_b32 v1, v36, v7, v5
	s_delay_alu instid0(VALU_DEP_3) | instskip(NEXT) | instid1(VALU_DEP_3)
	v_mul_lo_u32 v40, s0, v15
	v_xor3_b32 v7, v37, v9, v3
	s_delay_alu instid0(VALU_DEP_3) | instskip(SKIP_1) | instid1(VALU_DEP_3)
	v_mad_u64_u32 v[3:4], null, s15, s10, v[0:1]
	v_mad_u64_u32 v[4:5], null, 0xd2511f53, v1, 0
	v_mad_u64_u32 v[1:2], null, 0xcd9e8d57, v7, 0
	s_mov_b32 s10, 0
	s_delay_alu instid0(VALU_DEP_3) | instskip(SKIP_1) | instid1(VALU_DEP_3)
	v_mul_lo_u32 v41, s0, v3
	s_mov_b32 s0, 0
	v_mov_b32_e32 v3, v4
	s_delay_alu instid0(VALU_DEP_3)
	v_xor3_b32 v0, v2, v6, v35
	v_xor3_b32 v2, v5, v8, v38
	s_branch .LBB157_8
.LBB157_7:                              ;   in Loop: Header=BB157_8 Depth=1
	s_or_b32 exec_lo, exec_lo, s11
	v_add_co_u32 v13, vcc_lo, v13, s9
	v_add_co_ci_u32_e32 v14, vcc_lo, 0, v14, vcc_lo
	v_mov_b32_e32 v7, v15
	v_dual_mov_b32 v0, v4 :: v_dual_mov_b32 v1, v5
	s_delay_alu instid0(VALU_DEP_3) | instskip(NEXT) | instid1(VALU_DEP_3)
	v_cmp_le_i64_e32 vcc_lo, s[2:3], v[13:14]
	v_dual_mov_b32 v2, v6 :: v_dual_mov_b32 v3, v7
	s_add_i32 s10, s10, s1
	s_waitcnt_vscnt null, 0x0
	s_barrier
	s_or_b32 s0, vcc_lo, s0
	buffer_gl0_inv
	s_and_not1_b32 exec_lo, exec_lo, s0
	s_cbranch_execz .LBB157_22
.LBB157_8:                              ; =>This Inner Loop Header: Depth=1
	v_add_co_u32 v17, vcc_lo, v17, 1
	s_delay_alu instid0(VALU_DEP_1) | instskip(SKIP_2) | instid1(VALU_DEP_1)
	v_cndmask_b32_e64 v4, 0, 1, vcc_lo
	v_add_co_ci_u32_e32 v18, vcc_lo, 0, v18, vcc_lo
	s_mov_b32 s11, exec_lo
	v_cmp_eq_u32_e32 vcc_lo, 0, v18
	s_delay_alu instid0(VALU_DEP_3) | instskip(NEXT) | instid1(VALU_DEP_1)
	v_cndmask_b32_e32 v4, 0, v4, vcc_lo
	v_add_nc_u32_e32 v39, v4, v39
	s_delay_alu instid0(VALU_DEP_1) | instskip(SKIP_2) | instid1(VALU_DEP_2)
	v_cmp_eq_u32_e32 vcc_lo, 0, v39
	v_cndmask_b32_e32 v4, 0, v4, vcc_lo
	v_mad_u64_u32 v[6:7], null, 0xcd9e8d57, v39, 0
	v_add_nc_u32_e32 v42, v4, v42
	v_mad_u64_u32 v[4:5], null, 0xd2511f53, v17, 0
	s_delay_alu instid0(VALU_DEP_3) | instskip(NEXT) | instid1(VALU_DEP_2)
	v_xor3_b32 v9, v7, v11, v18
	v_xor_b32_e32 v5, v5, v12
	s_delay_alu instid0(VALU_DEP_2) | instskip(NEXT) | instid1(VALU_DEP_2)
	v_mad_u64_u32 v[7:8], null, 0xd2511f53, v9, 0
	v_xor_b32_e32 v5, v42, v5
	s_delay_alu instid0(VALU_DEP_2) | instskip(NEXT) | instid1(VALU_DEP_2)
	v_xor3_b32 v8, v19, v8, v4
	v_mad_u64_u32 v[9:10], null, 0xcd9e8d57, v5, 0
	s_delay_alu instid0(VALU_DEP_2) | instskip(NEXT) | instid1(VALU_DEP_2)
	v_mad_u64_u32 v[4:5], null, 0xcd9e8d57, v8, 0
	v_xor3_b32 v6, v20, v10, v6
	s_delay_alu instid0(VALU_DEP_2) | instskip(NEXT) | instid1(VALU_DEP_2)
	v_xor3_b32 v8, v21, v5, v9
	v_mad_u64_u32 v[15:16], null, 0xd2511f53, v6, 0
	s_delay_alu instid0(VALU_DEP_2) | instskip(NEXT) | instid1(VALU_DEP_2)
	v_mad_u64_u32 v[5:6], null, 0xd2511f53, v8, 0
	v_xor3_b32 v9, v22, v16, v7
	s_delay_alu instid0(VALU_DEP_2) | instskip(NEXT) | instid1(VALU_DEP_2)
	v_xor3_b32 v6, v23, v6, v15
	v_mad_u64_u32 v[7:8], null, 0xcd9e8d57, v9, 0
	s_delay_alu instid0(VALU_DEP_1) | instskip(NEXT) | instid1(VALU_DEP_3)
	v_xor3_b32 v4, v24, v8, v4
	v_mad_u64_u32 v[8:9], null, 0xcd9e8d57, v6, 0
	s_delay_alu instid0(VALU_DEP_2) | instskip(NEXT) | instid1(VALU_DEP_2)
	v_mad_u64_u32 v[15:16], null, 0xd2511f53, v4, 0
	v_xor3_b32 v6, v25, v9, v7
	s_delay_alu instid0(VALU_DEP_2) | instskip(NEXT) | instid1(VALU_DEP_2)
	v_xor3_b32 v9, v26, v16, v5
	v_mad_u64_u32 v[4:5], null, 0xd2511f53, v6, 0
	s_delay_alu instid0(VALU_DEP_2) | instskip(NEXT) | instid1(VALU_DEP_2)
	v_mad_u64_u32 v[6:7], null, 0xcd9e8d57, v9, 0
	v_xor3_b32 v5, v27, v5, v15
	s_delay_alu instid0(VALU_DEP_2) | instskip(NEXT) | instid1(VALU_DEP_2)
	;; [unrolled: 6-line block ×6, first 2 shown]
	v_xor3_b32 v4, v6, v7, v35
	v_mov_b32_e32 v6, v10
	v_cmpx_lt_i32_e32 1, v34
	s_xor_b32 s11, exec_lo, s11
	s_cbranch_execnz .LBB157_14
; %bb.9:                                ;   in Loop: Header=BB157_8 Depth=1
	s_and_not1_saveexec_b32 s11, s11
	s_cbranch_execnz .LBB157_19
.LBB157_10:                             ;   in Loop: Header=BB157_8 Depth=1
	s_or_b32 exec_lo, exec_lo, s11
	s_delay_alu instid0(SALU_CYCLE_1)
	s_mov_b32 s11, exec_lo
	v_cmpx_gt_i64_e64 s[4:5], v[13:14]
	s_cbranch_execz .LBB157_12
.LBB157_11:                             ;   in Loop: Header=BB157_8 Depth=1
	v_lshrrev_b32_e32 v1, 11, v1
	s_delay_alu instid0(VALU_DEP_1) | instskip(SKIP_1) | instid1(VALU_DEP_2)
	v_cvt_f64_u32_e32 v[7:8], v1
	v_cvt_f64_u32_e32 v[0:1], v0
	v_ldexp_f64 v[7:8], v[7:8], 32
	s_delay_alu instid0(VALU_DEP_1) | instskip(NEXT) | instid1(VALU_DEP_1)
	v_add_f64 v[0:1], v[7:8], v[0:1]
	v_fma_f64 v[0:1], 0x3ca00000, v[0:1], 0x3ca00000
	s_delay_alu instid0(VALU_DEP_1) | instskip(SKIP_1) | instid1(VALU_DEP_1)
	v_cvt_f32_f64_e32 v7, v[0:1]
	v_add_nc_u32_e32 v0, s10, v40
	v_ashrrev_i32_e32 v1, 31, v0
	v_add_co_u32 v0, vcc_lo, s6, v0
	s_delay_alu instid0(VALU_DEP_2)
	v_add_co_ci_u32_e32 v1, vcc_lo, s7, v1, vcc_lo
	v_cmp_gt_f32_e32 vcc_lo, v33, v7
	v_cndmask_b32_e64 v7, 0, 1, vcc_lo
	global_store_b8 v[0:1], v7, off
.LBB157_12:                             ;   in Loop: Header=BB157_8 Depth=1
	s_or_b32 exec_lo, exec_lo, s11
	v_add_co_u32 v0, vcc_lo, s8, v13
	v_add_co_ci_u32_e32 v1, vcc_lo, 0, v14, vcc_lo
	s_mov_b32 s11, exec_lo
	s_delay_alu instid0(VALU_DEP_1)
	v_cmpx_gt_i64_e64 s[4:5], v[0:1]
	s_cbranch_execz .LBB157_7
; %bb.13:                               ;   in Loop: Header=BB157_8 Depth=1
	v_lshrrev_b32_e32 v0, 11, v3
	v_cvt_f64_u32_e32 v[2:3], v2
	s_delay_alu instid0(VALU_DEP_2) | instskip(NEXT) | instid1(VALU_DEP_1)
	v_cvt_f64_u32_e32 v[0:1], v0
	v_ldexp_f64 v[0:1], v[0:1], 32
	s_delay_alu instid0(VALU_DEP_1) | instskip(NEXT) | instid1(VALU_DEP_1)
	v_add_f64 v[0:1], v[0:1], v[2:3]
	v_fma_f64 v[0:1], 0x3ca00000, v[0:1], 0x3ca00000
	s_delay_alu instid0(VALU_DEP_1) | instskip(SKIP_1) | instid1(VALU_DEP_1)
	v_cvt_f32_f64_e32 v2, v[0:1]
	v_add_nc_u32_e32 v0, s10, v41
	v_ashrrev_i32_e32 v1, 31, v0
	v_add_co_u32 v0, vcc_lo, s6, v0
	s_delay_alu instid0(VALU_DEP_2)
	v_add_co_ci_u32_e32 v1, vcc_lo, s7, v1, vcc_lo
	v_cmp_gt_f32_e32 vcc_lo, v33, v2
	v_cndmask_b32_e64 v2, 0, 1, vcc_lo
	global_store_b8 v[0:1], v2, off
	s_branch .LBB157_7
.LBB157_14:                             ;   in Loop: Header=BB157_8 Depth=1
	s_mov_b32 s12, exec_lo
	v_cmpx_lt_i32_e32 2, v34
	s_xor_b32 s12, exec_lo, s12
; %bb.15:                               ;   in Loop: Header=BB157_8 Depth=1
	v_dual_mov_b32 v7, v3 :: v_dual_mov_b32 v8, v4
	v_mov_b32_e32 v9, v5
	s_delay_alu instid0(VALU_DEP_2) | instskip(NEXT) | instid1(VALU_DEP_2)
	v_dual_mov_b32 v0, v7 :: v_dual_mov_b32 v1, v8
	v_dual_mov_b32 v2, v9 :: v_dual_mov_b32 v3, v10
; %bb.16:                               ;   in Loop: Header=BB157_8 Depth=1
	s_and_not1_saveexec_b32 s12, s12
; %bb.17:                               ;   in Loop: Header=BB157_8 Depth=1
	s_delay_alu instid0(VALU_DEP_1)
	v_dual_mov_b32 v0, v2 :: v_dual_mov_b32 v1, v3
	v_dual_mov_b32 v2, v4 :: v_dual_mov_b32 v3, v5
; %bb.18:                               ;   in Loop: Header=BB157_8 Depth=1
	s_or_b32 exec_lo, exec_lo, s12
	s_and_not1_saveexec_b32 s11, s11
	s_cbranch_execz .LBB157_10
.LBB157_19:                             ;   in Loop: Header=BB157_8 Depth=1
	s_mov_b32 s12, exec_lo
	v_cmpx_eq_u32_e32 1, v34
; %bb.20:                               ;   in Loop: Header=BB157_8 Depth=1
	v_dual_mov_b32 v0, v1 :: v_dual_mov_b32 v1, v2
	v_dual_mov_b32 v2, v3 :: v_dual_mov_b32 v3, v4
; %bb.21:                               ;   in Loop: Header=BB157_8 Depth=1
	s_or_b32 exec_lo, exec_lo, s12
	s_delay_alu instid0(SALU_CYCLE_1) | instskip(NEXT) | instid1(SALU_CYCLE_1)
	s_or_b32 exec_lo, exec_lo, s11
	s_mov_b32 s11, exec_lo
	v_cmpx_gt_i64_e64 s[4:5], v[13:14]
	s_cbranch_execnz .LBB157_11
	s_branch .LBB157_12
.LBB157_22:
	s_endpgm
.LBB157_23:
                                        ; implicit-def: $sgpr2_sgpr3
	s_branch .LBB157_4
	.section	.rodata,"a",@progbits
	.p2align	6, 0x0
	.amdhsa_kernel _ZN2at6native12_GLOBAL__N_143distribution_elementwise_grid_stride_kernelIfLi4EZNS0_9templates4cuda21uniform_and_transformIbfPNS_17CUDAGeneratorImplEZZZNS4_16bernoulli_kernelIS7_EEvRNS_18TensorIteratorBaseEdT_ENKUlvE_clEvENKUlvE8_clEvEUlfE_EEvSA_T1_T2_EUlP25hiprandStatePhilox4_32_10E_ZNS1_27distribution_nullary_kernelIbf15HIP_vector_typeIdLj2EES7_SJ_SE_EEvSA_SG_RKT3_T4_EUlifE_EEvlNS_15PhiloxCudaStateESF_SG_
		.amdhsa_group_segment_fixed_size 0
		.amdhsa_private_segment_fixed_size 0
		.amdhsa_kernarg_size 328
		.amdhsa_user_sgpr_count 15
		.amdhsa_user_sgpr_dispatch_ptr 0
		.amdhsa_user_sgpr_queue_ptr 0
		.amdhsa_user_sgpr_kernarg_segment_ptr 1
		.amdhsa_user_sgpr_dispatch_id 0
		.amdhsa_user_sgpr_private_segment_size 0
		.amdhsa_wavefront_size32 1
		.amdhsa_uses_dynamic_stack 0
		.amdhsa_enable_private_segment 0
		.amdhsa_system_sgpr_workgroup_id_x 1
		.amdhsa_system_sgpr_workgroup_id_y 0
		.amdhsa_system_sgpr_workgroup_id_z 0
		.amdhsa_system_sgpr_workgroup_info 0
		.amdhsa_system_vgpr_workitem_id 0
		.amdhsa_next_free_vgpr 43
		.amdhsa_next_free_sgpr 23
		.amdhsa_reserve_vcc 1
		.amdhsa_float_round_mode_32 0
		.amdhsa_float_round_mode_16_64 0
		.amdhsa_float_denorm_mode_32 3
		.amdhsa_float_denorm_mode_16_64 3
		.amdhsa_dx10_clamp 1
		.amdhsa_ieee_mode 1
		.amdhsa_fp16_overflow 0
		.amdhsa_workgroup_processor_mode 1
		.amdhsa_memory_ordered 1
		.amdhsa_forward_progress 0
		.amdhsa_shared_vgpr_count 0
		.amdhsa_exception_fp_ieee_invalid_op 0
		.amdhsa_exception_fp_denorm_src 0
		.amdhsa_exception_fp_ieee_div_zero 0
		.amdhsa_exception_fp_ieee_overflow 0
		.amdhsa_exception_fp_ieee_underflow 0
		.amdhsa_exception_fp_ieee_inexact 0
		.amdhsa_exception_int_div_zero 0
	.end_amdhsa_kernel
	.section	.text._ZN2at6native12_GLOBAL__N_143distribution_elementwise_grid_stride_kernelIfLi4EZNS0_9templates4cuda21uniform_and_transformIbfPNS_17CUDAGeneratorImplEZZZNS4_16bernoulli_kernelIS7_EEvRNS_18TensorIteratorBaseEdT_ENKUlvE_clEvENKUlvE8_clEvEUlfE_EEvSA_T1_T2_EUlP25hiprandStatePhilox4_32_10E_ZNS1_27distribution_nullary_kernelIbf15HIP_vector_typeIdLj2EES7_SJ_SE_EEvSA_SG_RKT3_T4_EUlifE_EEvlNS_15PhiloxCudaStateESF_SG_,"axG",@progbits,_ZN2at6native12_GLOBAL__N_143distribution_elementwise_grid_stride_kernelIfLi4EZNS0_9templates4cuda21uniform_and_transformIbfPNS_17CUDAGeneratorImplEZZZNS4_16bernoulli_kernelIS7_EEvRNS_18TensorIteratorBaseEdT_ENKUlvE_clEvENKUlvE8_clEvEUlfE_EEvSA_T1_T2_EUlP25hiprandStatePhilox4_32_10E_ZNS1_27distribution_nullary_kernelIbf15HIP_vector_typeIdLj2EES7_SJ_SE_EEvSA_SG_RKT3_T4_EUlifE_EEvlNS_15PhiloxCudaStateESF_SG_,comdat
.Lfunc_end157:
	.size	_ZN2at6native12_GLOBAL__N_143distribution_elementwise_grid_stride_kernelIfLi4EZNS0_9templates4cuda21uniform_and_transformIbfPNS_17CUDAGeneratorImplEZZZNS4_16bernoulli_kernelIS7_EEvRNS_18TensorIteratorBaseEdT_ENKUlvE_clEvENKUlvE8_clEvEUlfE_EEvSA_T1_T2_EUlP25hiprandStatePhilox4_32_10E_ZNS1_27distribution_nullary_kernelIbf15HIP_vector_typeIdLj2EES7_SJ_SE_EEvSA_SG_RKT3_T4_EUlifE_EEvlNS_15PhiloxCudaStateESF_SG_, .Lfunc_end157-_ZN2at6native12_GLOBAL__N_143distribution_elementwise_grid_stride_kernelIfLi4EZNS0_9templates4cuda21uniform_and_transformIbfPNS_17CUDAGeneratorImplEZZZNS4_16bernoulli_kernelIS7_EEvRNS_18TensorIteratorBaseEdT_ENKUlvE_clEvENKUlvE8_clEvEUlfE_EEvSA_T1_T2_EUlP25hiprandStatePhilox4_32_10E_ZNS1_27distribution_nullary_kernelIbf15HIP_vector_typeIdLj2EES7_SJ_SE_EEvSA_SG_RKT3_T4_EUlifE_EEvlNS_15PhiloxCudaStateESF_SG_
                                        ; -- End function
	.section	.AMDGPU.csdata,"",@progbits
; Kernel info:
; codeLenInByte = 2760
; NumSgprs: 25
; NumVgprs: 43
; ScratchSize: 0
; MemoryBound: 0
; FloatMode: 240
; IeeeMode: 1
; LDSByteSize: 0 bytes/workgroup (compile time only)
; SGPRBlocks: 3
; VGPRBlocks: 5
; NumSGPRsForWavesPerEU: 25
; NumVGPRsForWavesPerEU: 43
; Occupancy: 16
; WaveLimiterHint : 0
; COMPUTE_PGM_RSRC2:SCRATCH_EN: 0
; COMPUTE_PGM_RSRC2:USER_SGPR: 15
; COMPUTE_PGM_RSRC2:TRAP_HANDLER: 0
; COMPUTE_PGM_RSRC2:TGID_X_EN: 1
; COMPUTE_PGM_RSRC2:TGID_Y_EN: 0
; COMPUTE_PGM_RSRC2:TGID_Z_EN: 0
; COMPUTE_PGM_RSRC2:TIDIG_COMP_CNT: 0
	.section	.text._ZN2at6native12_GLOBAL__N_143distribution_elementwise_grid_stride_kernelIfLi4EZNS0_9templates4cuda21uniform_and_transformIbfPNS_17CUDAGeneratorImplEZZZNS4_16bernoulli_kernelIS7_EEvRNS_18TensorIteratorBaseEdT_ENKUlvE_clEvENKUlvE8_clEvEUlfE_EEvSA_T1_T2_EUlP25hiprandStatePhilox4_32_10E_ZNS1_27distribution_nullary_kernelIbf15HIP_vector_typeIdLj2EES7_SJ_SE_EEvSA_SG_RKT3_T4_EUlifE0_EEvlNS_15PhiloxCudaStateESF_SG_,"axG",@progbits,_ZN2at6native12_GLOBAL__N_143distribution_elementwise_grid_stride_kernelIfLi4EZNS0_9templates4cuda21uniform_and_transformIbfPNS_17CUDAGeneratorImplEZZZNS4_16bernoulli_kernelIS7_EEvRNS_18TensorIteratorBaseEdT_ENKUlvE_clEvENKUlvE8_clEvEUlfE_EEvSA_T1_T2_EUlP25hiprandStatePhilox4_32_10E_ZNS1_27distribution_nullary_kernelIbf15HIP_vector_typeIdLj2EES7_SJ_SE_EEvSA_SG_RKT3_T4_EUlifE0_EEvlNS_15PhiloxCudaStateESF_SG_,comdat
	.globl	_ZN2at6native12_GLOBAL__N_143distribution_elementwise_grid_stride_kernelIfLi4EZNS0_9templates4cuda21uniform_and_transformIbfPNS_17CUDAGeneratorImplEZZZNS4_16bernoulli_kernelIS7_EEvRNS_18TensorIteratorBaseEdT_ENKUlvE_clEvENKUlvE8_clEvEUlfE_EEvSA_T1_T2_EUlP25hiprandStatePhilox4_32_10E_ZNS1_27distribution_nullary_kernelIbf15HIP_vector_typeIdLj2EES7_SJ_SE_EEvSA_SG_RKT3_T4_EUlifE0_EEvlNS_15PhiloxCudaStateESF_SG_ ; -- Begin function _ZN2at6native12_GLOBAL__N_143distribution_elementwise_grid_stride_kernelIfLi4EZNS0_9templates4cuda21uniform_and_transformIbfPNS_17CUDAGeneratorImplEZZZNS4_16bernoulli_kernelIS7_EEvRNS_18TensorIteratorBaseEdT_ENKUlvE_clEvENKUlvE8_clEvEUlfE_EEvSA_T1_T2_EUlP25hiprandStatePhilox4_32_10E_ZNS1_27distribution_nullary_kernelIbf15HIP_vector_typeIdLj2EES7_SJ_SE_EEvSA_SG_RKT3_T4_EUlifE0_EEvlNS_15PhiloxCudaStateESF_SG_
	.p2align	8
	.type	_ZN2at6native12_GLOBAL__N_143distribution_elementwise_grid_stride_kernelIfLi4EZNS0_9templates4cuda21uniform_and_transformIbfPNS_17CUDAGeneratorImplEZZZNS4_16bernoulli_kernelIS7_EEvRNS_18TensorIteratorBaseEdT_ENKUlvE_clEvENKUlvE8_clEvEUlfE_EEvSA_T1_T2_EUlP25hiprandStatePhilox4_32_10E_ZNS1_27distribution_nullary_kernelIbf15HIP_vector_typeIdLj2EES7_SJ_SE_EEvSA_SG_RKT3_T4_EUlifE0_EEvlNS_15PhiloxCudaStateESF_SG_,@function
_ZN2at6native12_GLOBAL__N_143distribution_elementwise_grid_stride_kernelIfLi4EZNS0_9templates4cuda21uniform_and_transformIbfPNS_17CUDAGeneratorImplEZZZNS4_16bernoulli_kernelIS7_EEvRNS_18TensorIteratorBaseEdT_ENKUlvE_clEvENKUlvE8_clEvEUlfE_EEvSA_T1_T2_EUlP25hiprandStatePhilox4_32_10E_ZNS1_27distribution_nullary_kernelIbf15HIP_vector_typeIdLj2EES7_SJ_SE_EEvSA_SG_RKT3_T4_EUlifE0_EEvlNS_15PhiloxCudaStateESF_SG_: ; @_ZN2at6native12_GLOBAL__N_143distribution_elementwise_grid_stride_kernelIfLi4EZNS0_9templates4cuda21uniform_and_transformIbfPNS_17CUDAGeneratorImplEZZZNS4_16bernoulli_kernelIS7_EEvRNS_18TensorIteratorBaseEdT_ENKUlvE_clEvENKUlvE8_clEvEUlfE_EEvSA_T1_T2_EUlP25hiprandStatePhilox4_32_10E_ZNS1_27distribution_nullary_kernelIbf15HIP_vector_typeIdLj2EES7_SJ_SE_EEvSA_SG_RKT3_T4_EUlifE0_EEvlNS_15PhiloxCudaStateESF_SG_
; %bb.0:
	s_clause 0x2
	s_load_b64 s[4:5], s[0:1], 0x10
	s_load_b128 s[16:19], s[0:1], 0x0
	s_load_b32 s2, s[0:1], 0x20
	s_waitcnt lgkmcnt(0)
	v_dual_mov_b32 v2, s4 :: v_dual_mov_b32 v3, s5
	v_dual_mov_b32 v11, s18 :: v_dual_mov_b32 v12, s19
	s_bitcmp0_b32 s2, 0
	s_mov_b32 s2, 0
	s_cbranch_scc1 .LBB158_2
; %bb.1:
	v_dual_mov_b32 v1, s4 :: v_dual_mov_b32 v2, s5
	v_dual_mov_b32 v4, s18 :: v_dual_mov_b32 v5, s19
	s_load_b64 s[4:5], s[0:1], 0x18
	flat_load_b64 v[2:3], v[1:2]
	flat_load_b64 v[11:12], v[4:5]
	s_waitcnt vmcnt(1) lgkmcnt(0)
	v_add_co_u32 v2, vcc_lo, v2, s4
	v_add_co_ci_u32_e32 v3, vcc_lo, s5, v3, vcc_lo
.LBB158_2:
	s_clause 0x1
	s_load_b32 s3, s[0:1], 0x154
	s_load_b32 s4, s[0:1], 0x148
	s_waitcnt lgkmcnt(0)
	s_and_b32 s5, s3, 0xffff
	s_add_u32 s6, s16, -1
	s_mul_i32 s24, s4, s5
	s_addc_u32 s3, s17, -1
	s_lshl_b32 s25, s24, 2
	s_cmp_lg_u64 s[2:3], 0
	s_cbranch_scc0 .LBB158_49
; %bb.3:
	v_cvt_f32_ubyte0_e32 v1, 0
	v_cvt_f32_u32_e32 v4, s25
	s_sub_u32 s8, 0, s25
	s_subb_u32 s9, 0, 0
	s_delay_alu instid0(VALU_DEP_1) | instskip(NEXT) | instid1(VALU_DEP_1)
	v_fmamk_f32 v1, v1, 0x4f800000, v4
	v_rcp_f32_e32 v1, v1
	s_waitcnt_depctr 0xfff
	v_mul_f32_e32 v1, 0x5f7ffffc, v1
	s_delay_alu instid0(VALU_DEP_1) | instskip(NEXT) | instid1(VALU_DEP_1)
	v_mul_f32_e32 v4, 0x2f800000, v1
	v_trunc_f32_e32 v4, v4
	s_delay_alu instid0(VALU_DEP_1) | instskip(SKIP_1) | instid1(VALU_DEP_2)
	v_fmamk_f32 v1, v4, 0xcf800000, v1
	v_cvt_u32_f32_e32 v4, v4
	v_cvt_u32_f32_e32 v1, v1
	s_delay_alu instid0(VALU_DEP_2) | instskip(NEXT) | instid1(VALU_DEP_2)
	v_readfirstlane_b32 s2, v4
	v_readfirstlane_b32 s7, v1
	s_delay_alu instid0(VALU_DEP_2) | instskip(NEXT) | instid1(VALU_DEP_1)
	s_mul_i32 s10, s8, s2
	s_mul_hi_u32 s12, s8, s7
	s_mul_i32 s11, s9, s7
	s_add_i32 s10, s12, s10
	s_mul_i32 s13, s8, s7
	s_add_i32 s10, s10, s11
	s_mul_hi_u32 s12, s7, s13
	s_mul_hi_u32 s14, s2, s13
	s_mul_i32 s11, s2, s13
	s_mul_hi_u32 s13, s7, s10
	s_mul_i32 s7, s7, s10
	s_mul_hi_u32 s18, s2, s10
	s_add_u32 s7, s12, s7
	s_addc_u32 s12, 0, s13
	s_add_u32 s7, s7, s11
	s_mul_i32 s10, s2, s10
	s_addc_u32 s7, s12, s14
	s_addc_u32 s11, s18, 0
	s_add_u32 s7, s7, s10
	s_addc_u32 s10, 0, s11
	v_add_co_u32 v1, s7, v1, s7
	s_delay_alu instid0(VALU_DEP_1) | instskip(SKIP_1) | instid1(VALU_DEP_1)
	s_cmp_lg_u32 s7, 0
	s_addc_u32 s2, s2, s10
	v_readfirstlane_b32 s7, v1
	s_mul_i32 s10, s8, s2
	s_delay_alu instid0(VALU_DEP_1)
	s_mul_hi_u32 s11, s8, s7
	s_mul_i32 s9, s9, s7
	s_add_i32 s10, s11, s10
	s_mul_i32 s8, s8, s7
	s_add_i32 s10, s10, s9
	s_mul_hi_u32 s11, s2, s8
	s_mul_i32 s12, s2, s8
	s_mul_hi_u32 s8, s7, s8
	s_mul_hi_u32 s13, s7, s10
	s_mul_i32 s7, s7, s10
	s_mul_hi_u32 s9, s2, s10
	s_add_u32 s7, s8, s7
	s_addc_u32 s8, 0, s13
	s_add_u32 s7, s7, s12
	s_mul_i32 s10, s2, s10
	s_addc_u32 s7, s8, s11
	s_addc_u32 s8, s9, 0
	s_add_u32 s7, s7, s10
	s_addc_u32 s8, 0, s8
	v_add_co_u32 v1, s7, v1, s7
	s_delay_alu instid0(VALU_DEP_1) | instskip(SKIP_2) | instid1(VALU_DEP_1)
	s_cmp_lg_u32 s7, 0
	s_addc_u32 s7, s2, s8
	s_ashr_i32 s8, s3, 31
	v_readfirstlane_b32 s10, v1
	s_add_u32 s2, s6, s8
	s_mov_b32 s9, s8
	s_addc_u32 s3, s3, s8
	s_delay_alu instid0(SALU_CYCLE_1) | instskip(NEXT) | instid1(SALU_CYCLE_1)
	s_xor_b64 s[2:3], s[2:3], s[8:9]
	s_mul_i32 s12, s2, s7
	s_mul_hi_u32 s13, s2, s10
	s_mul_hi_u32 s11, s2, s7
	;; [unrolled: 1-line block ×3, first 2 shown]
	s_mul_i32 s10, s3, s10
	s_add_u32 s12, s13, s12
	s_addc_u32 s11, 0, s11
	s_mul_hi_u32 s14, s3, s7
	s_add_u32 s10, s12, s10
	s_mul_i32 s7, s3, s7
	s_addc_u32 s10, s11, s18
	s_addc_u32 s11, s14, 0
	s_add_u32 s7, s10, s7
	s_addc_u32 s10, 0, s11
	s_mul_i32 s12, s25, s7
	s_add_u32 s11, s7, 1
	v_sub_co_u32 v1, s2, s2, s12
	s_mul_hi_u32 s12, s25, s7
	s_addc_u32 s13, s10, 0
	s_mul_i32 s14, s25, s10
	s_delay_alu instid0(VALU_DEP_1)
	v_sub_co_u32 v4, s18, v1, s25
	s_add_u32 s19, s7, 2
	s_addc_u32 s20, s10, 0
	s_add_i32 s12, s12, s14
	s_cmp_lg_u32 s2, 0
	v_readfirstlane_b32 s2, v4
	s_subb_u32 s3, s3, s12
	s_cmp_lg_u32 s18, 0
	s_subb_u32 s12, s3, 0
	s_delay_alu instid0(VALU_DEP_1) | instskip(SKIP_4) | instid1(SALU_CYCLE_1)
	s_cmp_ge_u32 s2, s25
	s_cselect_b32 s2, -1, 0
	s_cmp_eq_u32 s12, 0
	v_readfirstlane_b32 s12, v1
	s_cselect_b32 s2, s2, -1
	s_cmp_lg_u32 s2, 0
	s_cselect_b32 s2, s19, s11
	s_cselect_b32 s11, s20, s13
	s_cmp_ge_u32 s12, s25
	s_cselect_b32 s12, -1, 0
	s_cmp_eq_u32 s3, 0
	s_cselect_b32 s3, s12, -1
	s_delay_alu instid0(SALU_CYCLE_1) | instskip(SKIP_2) | instid1(SALU_CYCLE_1)
	s_cmp_lg_u32 s3, 0
	s_cselect_b32 s3, s11, s10
	s_cselect_b32 s2, s2, s7
	s_xor_b64 s[2:3], s[2:3], s[8:9]
	s_delay_alu instid0(SALU_CYCLE_1)
	s_sub_u32 s2, s2, s8
	s_subb_u32 s3, s3, s8
	s_cbranch_execnz .LBB158_5
.LBB158_4:
	v_cvt_f32_u32_e32 v1, s25
	s_sub_i32 s3, 0, s25
	s_delay_alu instid0(VALU_DEP_1) | instskip(SKIP_2) | instid1(VALU_DEP_1)
	v_rcp_iflag_f32_e32 v1, v1
	s_waitcnt_depctr 0xfff
	v_mul_f32_e32 v1, 0x4f7ffffe, v1
	v_cvt_u32_f32_e32 v1, v1
	s_delay_alu instid0(VALU_DEP_1) | instskip(NEXT) | instid1(VALU_DEP_1)
	v_readfirstlane_b32 s2, v1
	s_mul_i32 s3, s3, s2
	s_delay_alu instid0(SALU_CYCLE_1) | instskip(NEXT) | instid1(SALU_CYCLE_1)
	s_mul_hi_u32 s3, s2, s3
	s_add_i32 s2, s2, s3
	s_delay_alu instid0(SALU_CYCLE_1) | instskip(NEXT) | instid1(SALU_CYCLE_1)
	s_mul_hi_u32 s2, s6, s2
	s_mul_i32 s3, s2, s25
	s_delay_alu instid0(SALU_CYCLE_1)
	s_sub_i32 s3, s6, s3
	s_add_i32 s6, s2, 1
	s_sub_i32 s7, s3, s25
	s_cmp_ge_u32 s3, s25
	s_cselect_b32 s2, s6, s2
	s_cselect_b32 s3, s7, s3
	s_add_i32 s6, s2, 1
	s_cmp_ge_u32 s3, s25
	s_mov_b32 s3, 0
	s_cselect_b32 s2, s6, s2
.LBB158_5:
	v_mov_b32_e32 v1, 0
	s_add_u32 s2, s2, 1
	s_addc_u32 s3, s3, 0
	s_mul_hi_u32 s6, s24, s2
	s_mul_i32 s3, s24, s3
	v_mad_u64_u32 v[13:14], null, s5, s15, v[0:1]
	s_mul_hi_u32 s4, s4, s5
	s_add_i32 s3, s6, s3
	s_mul_i32 s4, s4, s2
	s_mul_i32 s2, s24, s2
	s_add_i32 s3, s3, s4
	s_mov_b32 s4, exec_lo
	s_lshl_b64 s[2:3], s[2:3], 2
	s_delay_alu instid0(SALU_CYCLE_1)
	v_cmpx_gt_i64_e64 s[2:3], v[13:14]
	s_cbranch_execz .LBB158_48
; %bb.6:
	v_alignbit_b32 v17, v3, v2, 2
	v_mad_u64_u32 v[4:5], null, 0xcd9e8d57, v13, 0
	v_lshrrev_b32_e32 v18, 2, v3
	s_waitcnt vmcnt(0)
	v_dual_mov_b32 v9, v12 :: v_dual_add_nc_u32 v28, 0x8ff34781, v11
	v_mad_u64_u32 v[0:1], null, 0xd2511f53, v17, 0
	v_add_co_u32 v20, null, 0x9e3779b9, v11
	v_xor3_b32 v3, v11, v5, v18
	s_delay_alu instid0(VALU_DEP_4) | instskip(SKIP_2) | instid1(VALU_DEP_4)
	v_add_co_u32 v19, null, 0xbb67ae85, v9
	v_add_co_u32 v21, null, 0x3c6ef372, v11
	v_xor_b32_e32 v1, v1, v12
	v_mad_u64_u32 v[5:6], null, 0xd2511f53, v3, 0
	v_add_co_u32 v22, null, 0x76cf5d0a, v9
	s_delay_alu instid0(VALU_DEP_3) | instskip(SKIP_2) | instid1(VALU_DEP_3)
	v_xor_b32_e32 v1, v1, v14
	v_add_co_u32 v23, null, 0x32370b8f, v9
	v_add_co_u32 v24, null, 0xdaa66d2b, v11
	v_mad_u64_u32 v[7:8], null, 0xcd9e8d57, v1, 0
	v_xor3_b32 v3, v19, v6, v0
	v_add_co_u32 v25, null, 0x78dde6e4, v11
	v_add_co_u32 v26, null, 0xed9eba14, v9
	s_delay_alu instid0(VALU_DEP_3) | instskip(SKIP_3) | instid1(VALU_DEP_3)
	v_mad_u64_u32 v[0:1], null, 0xcd9e8d57, v3, 0
	v_xor3_b32 v6, v20, v8, v4
	v_dual_mov_b32 v40, v14 :: v_dual_and_b32 v27, 3, v2
	v_add_co_u32 v29, null, 0xa9066899, v9
	v_mad_u64_u32 v[3:4], null, 0xd2511f53, v6, 0
	v_xor3_b32 v1, v21, v1, v7
	v_add_co_u32 v30, null, 0x1715609d, v11
	s_clause 0x1
	s_load_b64 s[20:21], s[0:1], 0xf4
	s_load_b128 s[12:15], s[0:1], 0x138
	v_add_co_u32 v32, null, 0xb54cda56, v11
	s_delay_alu instid0(VALU_DEP_4) | instskip(SKIP_2) | instid1(VALU_DEP_3)
	v_xor3_b32 v8, v22, v4, v5
	v_mad_u64_u32 v[4:5], null, 0xd2511f53, v1, 0
	v_add_co_u32 v33, null, 0x646e171e, v9
	v_mad_u64_u32 v[6:7], null, 0xcd9e8d57, v8, 0
	s_load_b256 s[4:11], s[0:1], 0x30
	v_add_co_u32 v31, null, 0x5384540f, v11
	s_delay_alu instid0(VALU_DEP_4) | instskip(SKIP_1) | instid1(VALU_DEP_4)
	v_xor3_b32 v3, v23, v5, v3
	v_add_co_u32 v35, null, 0x1fd5c5a3, v9
	v_xor3_b32 v5, v24, v7, v0
	v_add_co_u32 v34, null, 0xf1bbcdc8, v11
	s_delay_alu instid0(VALU_DEP_4) | instskip(NEXT) | instid1(VALU_DEP_3)
	v_mad_u64_u32 v[0:1], null, 0xcd9e8d57, v3, 0
	v_mad_u64_u32 v[7:8], null, 0xd2511f53, v5, 0
	s_waitcnt lgkmcnt(0)
	v_cvt_f32_f64_e32 v36, s[14:15]
	v_add_co_u32 v37, null, 0xdb3d7428, v9
	s_add_u32 s18, s0, 48
	s_delay_alu instid0(VALU_DEP_4) | instskip(SKIP_1) | instid1(VALU_DEP_4)
	v_xor3_b32 v3, v25, v1, v6
	s_addc_u32 s19, s1, 0
	v_xor3_b32 v5, v26, v8, v4
	s_add_i32 s22, s4, -1
	v_dual_mov_b32 v39, v13 :: v_dual_add_nc_u32 v38, 0x96a522ad, v12
	v_mad_u64_u32 v[1:2], null, 0xd2511f53, v3, 0
	s_delay_alu instid0(VALU_DEP_3) | instskip(SKIP_4) | instid1(VALU_DEP_2)
	v_mad_u64_u32 v[3:4], null, 0xcd9e8d57, v5, 0
	s_cmp_gt_u32 s22, 1
	s_mov_b32 s26, 0
	s_cselect_b32 s11, -1, 0
	s_cmp_lg_u32 s4, 0
	v_xor3_b32 v2, v29, v2, v7
	s_cselect_b32 s27, -1, 0
	s_delay_alu instid0(VALU_DEP_2) | instskip(SKIP_3) | instid1(VALU_DEP_2)
	v_xor3_b32 v0, v30, v4, v0
	s_add_u32 s0, s0, 0xf4
	s_addc_u32 s1, s1, 0
	v_mad_u64_u32 v[4:5], null, 0xcd9e8d57, v2, 0
	v_mad_u64_u32 v[6:7], null, 0xd2511f53, v0, 0
	s_min_u32 s14, s22, 15
	s_cmp_gt_u32 s4, 1
	s_cselect_b32 s4, -1, 0
	s_delay_alu instid0(VALU_DEP_2) | instskip(SKIP_1) | instid1(VALU_DEP_2)
	v_xor3_b32 v2, v32, v5, v3
	s_add_i32 s14, s14, 1
	v_xor3_b32 v5, v33, v7, v1
	s_and_b32 s28, s14, 3
	s_cmp_lg_u32 s22, 2
	v_mad_u64_u32 v[0:1], null, 0xd2511f53, v2, 0
	s_delay_alu instid0(VALU_DEP_2) | instskip(SKIP_3) | instid1(VALU_DEP_2)
	v_mad_u64_u32 v[2:3], null, 0xcd9e8d57, v5, 0
	s_cselect_b32 s29, -1, 0
	s_and_b32 s30, s14, 28
	s_cmp_lg_u32 s28, 0
	v_xor3_b32 v1, v35, v1, v6
	s_cselect_b32 s31, -1, 0
	s_delay_alu instid0(VALU_DEP_2) | instskip(NEXT) | instid1(VALU_DEP_2)
	v_xor3_b32 v3, v31, v3, v4
	v_mad_u64_u32 v[4:5], null, 0xcd9e8d57, v1, 0
	s_delay_alu instid0(VALU_DEP_2) | instskip(NEXT) | instid1(VALU_DEP_2)
	v_mad_u64_u32 v[6:7], null, 0xd2511f53, v3, 0
	v_xor3_b32 v1, v34, v5, v2
	s_delay_alu instid0(VALU_DEP_2) | instskip(NEXT) | instid1(VALU_DEP_2)
	v_xor3_b32 v0, v37, v7, v0
	v_mad_u64_u32 v[7:8], null, 0xd2511f53, v1, 0
	s_delay_alu instid0(VALU_DEP_2) | instskip(NEXT) | instid1(VALU_DEP_2)
	v_mad_u64_u32 v[1:2], null, 0xcd9e8d57, v0, 0
	v_mov_b32_e32 v3, v7
	s_delay_alu instid0(VALU_DEP_2) | instskip(NEXT) | instid1(VALU_DEP_4)
	v_xor3_b32 v0, v2, v4, v28
	v_xor3_b32 v2, v8, v6, v38
	s_branch .LBB158_9
.LBB158_7:                              ;   in Loop: Header=BB158_9 Depth=1
	v_lshrrev_b32_e32 v0, 11, v3
	v_cvt_f64_u32_e32 v[2:3], v2
	s_delay_alu instid0(VALU_DEP_2) | instskip(NEXT) | instid1(VALU_DEP_1)
	v_cvt_f64_u32_e32 v[7:8], v0
	v_ldexp_f64 v[7:8], v[7:8], 32
	s_delay_alu instid0(VALU_DEP_1) | instskip(NEXT) | instid1(VALU_DEP_1)
	v_add_f64 v[2:3], v[7:8], v[2:3]
	v_fma_f64 v[2:3], 0x3ca00000, v[2:3], 0x3ca00000
	s_delay_alu instid0(VALU_DEP_1) | instskip(NEXT) | instid1(VALU_DEP_1)
	v_cvt_f32_f64_e32 v0, v[2:3]
	v_cmp_gt_f32_e32 vcc_lo, v36, v0
	v_cndmask_b32_e64 v0, 0, 1, vcc_lo
	global_store_b8 v1, v0, s[12:13]
.LBB158_8:                              ;   in Loop: Header=BB158_9 Depth=1
	s_or_b32 exec_lo, exec_lo, s33
	v_add_co_u32 v13, vcc_lo, v13, s25
	v_add_co_ci_u32_e32 v14, vcc_lo, 0, v14, vcc_lo
	v_mov_b32_e32 v7, v15
	v_dual_mov_b32 v0, v4 :: v_dual_mov_b32 v1, v5
	s_delay_alu instid0(VALU_DEP_3) | instskip(NEXT) | instid1(VALU_DEP_3)
	v_cmp_le_i64_e32 vcc_lo, s[2:3], v[13:14]
	v_dual_mov_b32 v2, v6 :: v_dual_mov_b32 v3, v7
	s_waitcnt_vscnt null, 0x0
	s_barrier
	buffer_gl0_inv
	s_or_b32 s26, vcc_lo, s26
	s_delay_alu instid0(SALU_CYCLE_1)
	s_and_not1_b32 exec_lo, exec_lo, s26
	s_cbranch_execz .LBB158_48
.LBB158_9:                              ; =>This Loop Header: Depth=1
                                        ;     Child Loop BB158_24 Depth 2
                                        ;     Child Loop BB158_29 Depth 2
	;; [unrolled: 1-line block ×4, first 2 shown]
	v_add_co_u32 v17, vcc_lo, v17, 1
	s_delay_alu instid0(VALU_DEP_1) | instskip(SKIP_2) | instid1(VALU_DEP_1)
	v_cndmask_b32_e64 v4, 0, 1, vcc_lo
	v_add_co_ci_u32_e32 v18, vcc_lo, 0, v18, vcc_lo
	s_mov_b32 s14, exec_lo
	v_cmp_eq_u32_e32 vcc_lo, 0, v18
	s_delay_alu instid0(VALU_DEP_3) | instskip(NEXT) | instid1(VALU_DEP_1)
	v_cndmask_b32_e32 v4, 0, v4, vcc_lo
	v_add_nc_u32_e32 v39, v4, v39
	s_delay_alu instid0(VALU_DEP_1) | instskip(SKIP_2) | instid1(VALU_DEP_2)
	v_cmp_eq_u32_e32 vcc_lo, 0, v39
	v_cndmask_b32_e32 v4, 0, v4, vcc_lo
	v_mad_u64_u32 v[6:7], null, 0xcd9e8d57, v39, 0
	v_add_nc_u32_e32 v40, v4, v40
	v_mad_u64_u32 v[4:5], null, 0xd2511f53, v17, 0
	s_delay_alu instid0(VALU_DEP_3) | instskip(NEXT) | instid1(VALU_DEP_2)
	v_xor3_b32 v9, v7, v11, v18
	v_xor_b32_e32 v5, v5, v12
	s_delay_alu instid0(VALU_DEP_2) | instskip(NEXT) | instid1(VALU_DEP_2)
	v_mad_u64_u32 v[7:8], null, 0xd2511f53, v9, 0
	v_xor_b32_e32 v5, v40, v5
	s_delay_alu instid0(VALU_DEP_2) | instskip(NEXT) | instid1(VALU_DEP_2)
	v_xor3_b32 v8, v19, v8, v4
	v_mad_u64_u32 v[9:10], null, 0xcd9e8d57, v5, 0
	s_delay_alu instid0(VALU_DEP_2) | instskip(NEXT) | instid1(VALU_DEP_2)
	v_mad_u64_u32 v[4:5], null, 0xcd9e8d57, v8, 0
	v_xor3_b32 v6, v20, v10, v6
	s_delay_alu instid0(VALU_DEP_2) | instskip(NEXT) | instid1(VALU_DEP_2)
	v_xor3_b32 v8, v21, v5, v9
	v_mad_u64_u32 v[15:16], null, 0xd2511f53, v6, 0
	s_delay_alu instid0(VALU_DEP_2) | instskip(NEXT) | instid1(VALU_DEP_2)
	v_mad_u64_u32 v[5:6], null, 0xd2511f53, v8, 0
	v_xor3_b32 v9, v22, v16, v7
	s_delay_alu instid0(VALU_DEP_2) | instskip(NEXT) | instid1(VALU_DEP_2)
	v_xor3_b32 v6, v23, v6, v15
	v_mad_u64_u32 v[7:8], null, 0xcd9e8d57, v9, 0
	s_delay_alu instid0(VALU_DEP_1) | instskip(NEXT) | instid1(VALU_DEP_3)
	v_xor3_b32 v4, v24, v8, v4
	v_mad_u64_u32 v[8:9], null, 0xcd9e8d57, v6, 0
	s_delay_alu instid0(VALU_DEP_2) | instskip(NEXT) | instid1(VALU_DEP_2)
	v_mad_u64_u32 v[15:16], null, 0xd2511f53, v4, 0
	v_xor3_b32 v6, v25, v9, v7
	s_delay_alu instid0(VALU_DEP_2) | instskip(NEXT) | instid1(VALU_DEP_2)
	v_xor3_b32 v9, v26, v16, v5
	v_mad_u64_u32 v[4:5], null, 0xd2511f53, v6, 0
	s_delay_alu instid0(VALU_DEP_2) | instskip(NEXT) | instid1(VALU_DEP_2)
	v_mad_u64_u32 v[6:7], null, 0xcd9e8d57, v9, 0
	v_xor3_b32 v5, v29, v5, v15
	s_delay_alu instid0(VALU_DEP_2) | instskip(NEXT) | instid1(VALU_DEP_2)
	;; [unrolled: 6-line block ×6, first 2 shown]
	v_xor3_b32 v4, v6, v7, v28
	v_mov_b32_e32 v6, v10
	v_cmpx_lt_i32_e32 1, v27
	s_xor_b32 s14, exec_lo, s14
	s_cbranch_execnz .LBB158_12
; %bb.10:                               ;   in Loop: Header=BB158_9 Depth=1
	s_and_not1_saveexec_b32 s14, s14
	s_cbranch_execnz .LBB158_17
.LBB158_11:                             ;   in Loop: Header=BB158_9 Depth=1
	s_or_b32 exec_lo, exec_lo, s14
	s_delay_alu instid0(SALU_CYCLE_1)
	s_mov_b32 s33, exec_lo
	v_cmpx_gt_i64_e64 s[16:17], v[13:14]
	s_cbranch_execnz .LBB158_20
	s_branch .LBB158_34
.LBB158_12:                             ;   in Loop: Header=BB158_9 Depth=1
	s_mov_b32 s15, exec_lo
	v_cmpx_lt_i32_e32 2, v27
	s_xor_b32 s15, exec_lo, s15
; %bb.13:                               ;   in Loop: Header=BB158_9 Depth=1
	v_dual_mov_b32 v7, v3 :: v_dual_mov_b32 v8, v4
	v_mov_b32_e32 v9, v5
	s_delay_alu instid0(VALU_DEP_2) | instskip(NEXT) | instid1(VALU_DEP_2)
	v_dual_mov_b32 v0, v7 :: v_dual_mov_b32 v1, v8
	v_dual_mov_b32 v2, v9 :: v_dual_mov_b32 v3, v10
; %bb.14:                               ;   in Loop: Header=BB158_9 Depth=1
	s_and_not1_saveexec_b32 s15, s15
; %bb.15:                               ;   in Loop: Header=BB158_9 Depth=1
	s_delay_alu instid0(VALU_DEP_1)
	v_dual_mov_b32 v0, v2 :: v_dual_mov_b32 v1, v3
	v_dual_mov_b32 v2, v4 :: v_dual_mov_b32 v3, v5
; %bb.16:                               ;   in Loop: Header=BB158_9 Depth=1
	s_or_b32 exec_lo, exec_lo, s15
	s_and_not1_saveexec_b32 s14, s14
	s_cbranch_execz .LBB158_11
.LBB158_17:                             ;   in Loop: Header=BB158_9 Depth=1
	s_mov_b32 s15, exec_lo
	v_cmpx_eq_u32_e32 1, v27
; %bb.18:                               ;   in Loop: Header=BB158_9 Depth=1
	v_dual_mov_b32 v0, v1 :: v_dual_mov_b32 v1, v2
	v_dual_mov_b32 v2, v3 :: v_dual_mov_b32 v3, v4
; %bb.19:                               ;   in Loop: Header=BB158_9 Depth=1
	s_or_b32 exec_lo, exec_lo, s15
	s_delay_alu instid0(SALU_CYCLE_1) | instskip(NEXT) | instid1(SALU_CYCLE_1)
	s_or_b32 exec_lo, exec_lo, s14
	s_mov_b32 s33, exec_lo
	v_cmpx_gt_i64_e64 s[16:17], v[13:14]
	s_cbranch_execz .LBB158_34
.LBB158_20:                             ;   in Loop: Header=BB158_9 Depth=1
	s_and_not1_b32 vcc_lo, exec_lo, s11
	s_cbranch_vccnz .LBB158_26
; %bb.21:                               ;   in Loop: Header=BB158_9 Depth=1
	v_mov_b32_e32 v7, 0
	s_and_not1_b32 vcc_lo, exec_lo, s27
	s_cbranch_vccnz .LBB158_30
; %bb.22:                               ;   in Loop: Header=BB158_9 Depth=1
	s_and_not1_b32 vcc_lo, exec_lo, s29
	s_mov_b32 s14, 0
	s_cbranch_vccnz .LBB158_27
; %bb.23:                               ;   in Loop: Header=BB158_9 Depth=1
	v_dual_mov_b32 v7, 0 :: v_dual_mov_b32 v8, v13
	s_mov_b32 s34, 0
	s_mov_b64 s[14:15], s[18:19]
	s_mov_b64 s[22:23], s[0:1]
.LBB158_24:                             ;   Parent Loop BB158_9 Depth=1
                                        ; =>  This Inner Loop Header: Depth=2
	s_clause 0x1
	s_load_b256 s[36:43], s[14:15], 0x4
	s_load_b128 s[44:47], s[14:15], 0x24
	s_load_b128 s[48:51], s[22:23], 0x0
	s_add_u32 s14, s14, 48
	s_addc_u32 s15, s15, 0
	s_add_i32 s34, s34, 4
	s_add_u32 s22, s22, 16
	s_addc_u32 s23, s23, 0
	s_cmp_lg_u32 s30, s34
	s_waitcnt lgkmcnt(0)
	v_mul_hi_u32 v9, s37, v8
	s_delay_alu instid0(VALU_DEP_1) | instskip(NEXT) | instid1(VALU_DEP_1)
	v_add_nc_u32_e32 v9, v8, v9
	v_lshrrev_b32_e32 v9, s38, v9
	s_delay_alu instid0(VALU_DEP_1) | instskip(SKIP_1) | instid1(VALU_DEP_2)
	v_mul_hi_u32 v10, s40, v9
	v_mul_lo_u32 v42, v9, s36
	v_add_nc_u32_e32 v10, v9, v10
	s_delay_alu instid0(VALU_DEP_2) | instskip(NEXT) | instid1(VALU_DEP_2)
	v_sub_nc_u32_e32 v42, v8, v42
	v_lshrrev_b32_e32 v10, s41, v10
	s_delay_alu instid0(VALU_DEP_2) | instskip(NEXT) | instid1(VALU_DEP_2)
	v_mul_lo_u32 v42, v42, s48
	v_mul_hi_u32 v16, s43, v10
	v_mul_lo_u32 v43, v10, s39
	s_delay_alu instid0(VALU_DEP_2) | instskip(NEXT) | instid1(VALU_DEP_2)
	v_add_nc_u32_e32 v16, v10, v16
	v_sub_nc_u32_e32 v9, v9, v43
	s_delay_alu instid0(VALU_DEP_2) | instskip(NEXT) | instid1(VALU_DEP_2)
	v_lshrrev_b32_e32 v16, s44, v16
	v_mul_lo_u32 v9, v9, s49
	s_delay_alu instid0(VALU_DEP_2) | instskip(NEXT) | instid1(VALU_DEP_2)
	v_mul_hi_u32 v41, s46, v16
	v_add3_u32 v7, v42, v7, v9
	s_delay_alu instid0(VALU_DEP_2) | instskip(NEXT) | instid1(VALU_DEP_1)
	v_add_nc_u32_e32 v41, v16, v41
	v_lshrrev_b32_e32 v8, s47, v41
	v_mul_lo_u32 v41, v16, s42
	s_delay_alu instid0(VALU_DEP_2) | instskip(NEXT) | instid1(VALU_DEP_2)
	v_mul_lo_u32 v44, v8, s45
	v_sub_nc_u32_e32 v10, v10, v41
	s_delay_alu instid0(VALU_DEP_2) | instskip(NEXT) | instid1(VALU_DEP_2)
	v_sub_nc_u32_e32 v16, v16, v44
	v_mul_lo_u32 v10, v10, s50
	s_delay_alu instid0(VALU_DEP_2) | instskip(NEXT) | instid1(VALU_DEP_1)
	v_mul_lo_u32 v16, v16, s51
	v_add3_u32 v7, v10, v7, v16
	s_cbranch_scc1 .LBB158_24
; %bb.25:                               ;   in Loop: Header=BB158_9 Depth=1
	s_mov_b32 s14, s30
	s_and_not1_b32 vcc_lo, exec_lo, s31
	s_cbranch_vccz .LBB158_28
	s_branch .LBB158_30
.LBB158_26:                             ;   in Loop: Header=BB158_9 Depth=1
                                        ; implicit-def: $vgpr7
	s_branch .LBB158_31
.LBB158_27:                             ;   in Loop: Header=BB158_9 Depth=1
	v_mov_b32_e32 v8, v13
	s_and_not1_b32 vcc_lo, exec_lo, s31
	s_cbranch_vccnz .LBB158_30
.LBB158_28:                             ;   in Loop: Header=BB158_9 Depth=1
	s_lshl_b32 s15, s14, 2
	s_mul_i32 s22, s14, 12
	s_add_u32 s14, s0, s15
	s_addc_u32 s15, s1, 0
	s_add_u32 s22, s18, s22
	s_addc_u32 s23, s19, 0
	s_mov_b32 s34, s28
	.p2align	6
.LBB158_29:                             ;   Parent Loop BB158_9 Depth=1
                                        ; =>  This Inner Loop Header: Depth=2
	s_clause 0x1
	s_load_b64 s[36:37], s[22:23], 0x4
	s_load_b32 s35, s[22:23], 0xc
	s_add_u32 s22, s22, 12
	s_addc_u32 s23, s23, 0
	s_waitcnt lgkmcnt(0)
	v_mul_hi_u32 v9, s37, v8
	s_load_b32 s37, s[14:15], 0x0
	s_add_u32 s14, s14, 4
	s_addc_u32 s15, s15, 0
	s_add_i32 s34, s34, -1
	s_delay_alu instid0(SALU_CYCLE_1) | instskip(NEXT) | instid1(VALU_DEP_1)
	s_cmp_lg_u32 s34, 0
	v_add_nc_u32_e32 v9, v8, v9
	s_delay_alu instid0(VALU_DEP_1) | instskip(NEXT) | instid1(VALU_DEP_1)
	v_lshrrev_b32_e32 v16, s35, v9
	v_mul_lo_u32 v9, v16, s36
	s_delay_alu instid0(VALU_DEP_1) | instskip(SKIP_1) | instid1(VALU_DEP_1)
	v_sub_nc_u32_e32 v8, v8, v9
	s_waitcnt lgkmcnt(0)
	v_mad_u64_u32 v[9:10], null, v8, s37, v[7:8]
	s_delay_alu instid0(VALU_DEP_1)
	v_dual_mov_b32 v8, v16 :: v_dual_mov_b32 v7, v9
	s_cbranch_scc1 .LBB158_29
.LBB158_30:                             ;   in Loop: Header=BB158_9 Depth=1
	s_cbranch_execnz .LBB158_33
.LBB158_31:                             ;   in Loop: Header=BB158_9 Depth=1
	v_mul_hi_u32 v7, v13, s6
	s_and_not1_b32 vcc_lo, exec_lo, s4
	s_delay_alu instid0(VALU_DEP_1) | instskip(NEXT) | instid1(VALU_DEP_1)
	v_add_nc_u32_e32 v7, v7, v13
	v_lshrrev_b32_e32 v8, s7, v7
	s_delay_alu instid0(VALU_DEP_1) | instskip(NEXT) | instid1(VALU_DEP_1)
	v_mul_lo_u32 v7, v8, s5
	v_sub_nc_u32_e32 v7, v13, v7
	s_delay_alu instid0(VALU_DEP_1)
	v_mul_lo_u32 v7, v7, s20
	s_cbranch_vccnz .LBB158_33
; %bb.32:                               ;   in Loop: Header=BB158_9 Depth=1
	v_mul_hi_u32 v9, s9, v8
	s_delay_alu instid0(VALU_DEP_1) | instskip(NEXT) | instid1(VALU_DEP_1)
	v_add_nc_u32_e32 v9, v8, v9
	v_lshrrev_b32_e32 v9, s10, v9
	s_delay_alu instid0(VALU_DEP_1) | instskip(NEXT) | instid1(VALU_DEP_1)
	v_mul_lo_u32 v9, v9, s8
	v_sub_nc_u32_e32 v10, v8, v9
	s_delay_alu instid0(VALU_DEP_1) | instskip(NEXT) | instid1(VALU_DEP_1)
	v_mad_u64_u32 v[8:9], null, v10, s21, v[7:8]
	v_mov_b32_e32 v7, v8
.LBB158_33:                             ;   in Loop: Header=BB158_9 Depth=1
	v_lshrrev_b32_e32 v1, 11, v1
	s_delay_alu instid0(VALU_DEP_1) | instskip(SKIP_1) | instid1(VALU_DEP_2)
	v_cvt_f64_u32_e32 v[8:9], v1
	v_cvt_f64_u32_e32 v[0:1], v0
	v_ldexp_f64 v[8:9], v[8:9], 32
	s_delay_alu instid0(VALU_DEP_1) | instskip(NEXT) | instid1(VALU_DEP_1)
	v_add_f64 v[0:1], v[8:9], v[0:1]
	v_fma_f64 v[0:1], 0x3ca00000, v[0:1], 0x3ca00000
	s_delay_alu instid0(VALU_DEP_1) | instskip(NEXT) | instid1(VALU_DEP_1)
	v_cvt_f32_f64_e32 v0, v[0:1]
	v_cmp_gt_f32_e32 vcc_lo, v36, v0
	v_cndmask_b32_e64 v0, 0, 1, vcc_lo
	global_store_b8 v7, v0, s[12:13]
.LBB158_34:                             ;   in Loop: Header=BB158_9 Depth=1
	s_or_b32 exec_lo, exec_lo, s33
	v_add_co_u32 v0, vcc_lo, v13, s24
	v_add_co_ci_u32_e32 v1, vcc_lo, 0, v14, vcc_lo
	s_mov_b32 s33, exec_lo
	s_delay_alu instid0(VALU_DEP_1)
	v_cmpx_gt_i64_e64 s[16:17], v[0:1]
	s_cbranch_execz .LBB158_8
; %bb.35:                               ;   in Loop: Header=BB158_9 Depth=1
	s_and_not1_b32 vcc_lo, exec_lo, s11
	s_cbranch_vccnz .LBB158_41
; %bb.36:                               ;   in Loop: Header=BB158_9 Depth=1
	v_mov_b32_e32 v1, 0
	s_and_not1_b32 vcc_lo, exec_lo, s27
	s_cbranch_vccnz .LBB158_45
; %bb.37:                               ;   in Loop: Header=BB158_9 Depth=1
	s_and_not1_b32 vcc_lo, exec_lo, s29
	s_mov_b32 s14, 0
	s_cbranch_vccnz .LBB158_42
; %bb.38:                               ;   in Loop: Header=BB158_9 Depth=1
	v_mov_b32_e32 v1, 0
	v_mov_b32_e32 v7, v0
	s_mov_b32 s34, 0
	s_mov_b64 s[14:15], s[18:19]
	s_mov_b64 s[22:23], s[0:1]
.LBB158_39:                             ;   Parent Loop BB158_9 Depth=1
                                        ; =>  This Inner Loop Header: Depth=2
	s_clause 0x1
	s_load_b256 s[36:43], s[14:15], 0x4
	s_load_b128 s[44:47], s[14:15], 0x24
	s_load_b128 s[48:51], s[22:23], 0x0
	s_add_u32 s14, s14, 48
	s_addc_u32 s15, s15, 0
	s_add_i32 s34, s34, 4
	s_add_u32 s22, s22, 16
	s_addc_u32 s23, s23, 0
	s_cmp_eq_u32 s30, s34
	s_waitcnt lgkmcnt(0)
	v_mul_hi_u32 v8, s37, v7
	s_delay_alu instid0(VALU_DEP_1) | instskip(NEXT) | instid1(VALU_DEP_1)
	v_add_nc_u32_e32 v8, v7, v8
	v_lshrrev_b32_e32 v8, s38, v8
	s_delay_alu instid0(VALU_DEP_1) | instskip(SKIP_1) | instid1(VALU_DEP_2)
	v_mul_hi_u32 v9, s40, v8
	v_mul_lo_u32 v41, v8, s36
	v_add_nc_u32_e32 v9, v8, v9
	s_delay_alu instid0(VALU_DEP_2) | instskip(NEXT) | instid1(VALU_DEP_2)
	v_sub_nc_u32_e32 v41, v7, v41
	v_lshrrev_b32_e32 v9, s41, v9
	s_delay_alu instid0(VALU_DEP_2) | instskip(NEXT) | instid1(VALU_DEP_2)
	v_mul_lo_u32 v41, v41, s48
	v_mul_hi_u32 v10, s43, v9
	v_mul_lo_u32 v42, v9, s39
	s_delay_alu instid0(VALU_DEP_2) | instskip(NEXT) | instid1(VALU_DEP_2)
	v_add_nc_u32_e32 v10, v9, v10
	v_sub_nc_u32_e32 v8, v8, v42
	s_delay_alu instid0(VALU_DEP_2) | instskip(NEXT) | instid1(VALU_DEP_2)
	v_lshrrev_b32_e32 v10, s44, v10
	v_mul_lo_u32 v8, v8, s49
	s_delay_alu instid0(VALU_DEP_2) | instskip(NEXT) | instid1(VALU_DEP_2)
	v_mul_hi_u32 v16, s46, v10
	v_add3_u32 v1, v41, v1, v8
	s_delay_alu instid0(VALU_DEP_2) | instskip(NEXT) | instid1(VALU_DEP_1)
	v_add_nc_u32_e32 v16, v10, v16
	v_lshrrev_b32_e32 v7, s47, v16
	v_mul_lo_u32 v16, v10, s42
	s_delay_alu instid0(VALU_DEP_2) | instskip(NEXT) | instid1(VALU_DEP_2)
	v_mul_lo_u32 v43, v7, s45
	v_sub_nc_u32_e32 v9, v9, v16
	s_delay_alu instid0(VALU_DEP_2) | instskip(NEXT) | instid1(VALU_DEP_2)
	v_sub_nc_u32_e32 v10, v10, v43
	v_mul_lo_u32 v9, v9, s50
	s_delay_alu instid0(VALU_DEP_2) | instskip(NEXT) | instid1(VALU_DEP_1)
	v_mul_lo_u32 v10, v10, s51
	v_add3_u32 v1, v9, v1, v10
	s_cbranch_scc0 .LBB158_39
; %bb.40:                               ;   in Loop: Header=BB158_9 Depth=1
	s_mov_b32 s14, s30
	s_and_not1_b32 vcc_lo, exec_lo, s31
	s_cbranch_vccz .LBB158_43
	s_branch .LBB158_45
.LBB158_41:                             ;   in Loop: Header=BB158_9 Depth=1
                                        ; implicit-def: $vgpr1
	s_branch .LBB158_46
.LBB158_42:                             ;   in Loop: Header=BB158_9 Depth=1
	v_mov_b32_e32 v7, v0
	s_and_not1_b32 vcc_lo, exec_lo, s31
	s_cbranch_vccnz .LBB158_45
.LBB158_43:                             ;   in Loop: Header=BB158_9 Depth=1
	s_lshl_b32 s15, s14, 2
	s_mul_i32 s22, s14, 12
	s_add_u32 s14, s0, s15
	s_addc_u32 s15, s1, 0
	s_add_u32 s22, s18, s22
	s_addc_u32 s23, s19, 0
	s_mov_b32 s34, s28
	.p2align	6
.LBB158_44:                             ;   Parent Loop BB158_9 Depth=1
                                        ; =>  This Inner Loop Header: Depth=2
	s_clause 0x1
	s_load_b64 s[36:37], s[22:23], 0x4
	s_load_b32 s35, s[22:23], 0xc
	s_add_u32 s22, s22, 12
	s_addc_u32 s23, s23, 0
	s_waitcnt lgkmcnt(0)
	v_mul_hi_u32 v8, s37, v7
	s_load_b32 s37, s[14:15], 0x0
	s_add_u32 s14, s14, 4
	s_addc_u32 s15, s15, 0
	s_add_i32 s34, s34, -1
	s_delay_alu instid0(SALU_CYCLE_1) | instskip(NEXT) | instid1(VALU_DEP_1)
	s_cmp_lg_u32 s34, 0
	v_add_nc_u32_e32 v8, v7, v8
	s_delay_alu instid0(VALU_DEP_1) | instskip(NEXT) | instid1(VALU_DEP_1)
	v_lshrrev_b32_e32 v10, s35, v8
	v_mul_lo_u32 v8, v10, s36
	s_delay_alu instid0(VALU_DEP_1) | instskip(SKIP_1) | instid1(VALU_DEP_1)
	v_sub_nc_u32_e32 v7, v7, v8
	s_waitcnt lgkmcnt(0)
	v_mad_u64_u32 v[8:9], null, v7, s37, v[1:2]
	v_mov_b32_e32 v7, v10
	s_delay_alu instid0(VALU_DEP_2)
	v_mov_b32_e32 v1, v8
	s_cbranch_scc1 .LBB158_44
.LBB158_45:                             ;   in Loop: Header=BB158_9 Depth=1
	s_cbranch_execnz .LBB158_7
.LBB158_46:                             ;   in Loop: Header=BB158_9 Depth=1
	v_mul_hi_u32 v1, v0, s6
	s_and_not1_b32 vcc_lo, exec_lo, s4
	s_delay_alu instid0(VALU_DEP_1) | instskip(NEXT) | instid1(VALU_DEP_1)
	v_add_nc_u32_e32 v1, v1, v0
	v_lshrrev_b32_e32 v7, s7, v1
	s_delay_alu instid0(VALU_DEP_1) | instskip(NEXT) | instid1(VALU_DEP_1)
	v_mul_lo_u32 v1, v7, s5
	v_sub_nc_u32_e32 v0, v0, v1
	s_delay_alu instid0(VALU_DEP_1)
	v_mul_lo_u32 v1, v0, s20
	s_cbranch_vccnz .LBB158_7
; %bb.47:                               ;   in Loop: Header=BB158_9 Depth=1
	v_mul_hi_u32 v0, s9, v7
	s_delay_alu instid0(VALU_DEP_1) | instskip(NEXT) | instid1(VALU_DEP_1)
	v_add_nc_u32_e32 v0, v7, v0
	v_lshrrev_b32_e32 v0, s10, v0
	s_delay_alu instid0(VALU_DEP_1) | instskip(NEXT) | instid1(VALU_DEP_1)
	v_mul_lo_u32 v0, v0, s8
	v_sub_nc_u32_e32 v0, v7, v0
	s_delay_alu instid0(VALU_DEP_1) | instskip(NEXT) | instid1(VALU_DEP_1)
	v_mad_u64_u32 v[7:8], null, v0, s21, v[1:2]
	v_mov_b32_e32 v1, v7
	s_branch .LBB158_7
.LBB158_48:
	s_endpgm
.LBB158_49:
                                        ; implicit-def: $sgpr2_sgpr3
	s_branch .LBB158_4
	.section	.rodata,"a",@progbits
	.p2align	6, 0x0
	.amdhsa_kernel _ZN2at6native12_GLOBAL__N_143distribution_elementwise_grid_stride_kernelIfLi4EZNS0_9templates4cuda21uniform_and_transformIbfPNS_17CUDAGeneratorImplEZZZNS4_16bernoulli_kernelIS7_EEvRNS_18TensorIteratorBaseEdT_ENKUlvE_clEvENKUlvE8_clEvEUlfE_EEvSA_T1_T2_EUlP25hiprandStatePhilox4_32_10E_ZNS1_27distribution_nullary_kernelIbf15HIP_vector_typeIdLj2EES7_SJ_SE_EEvSA_SG_RKT3_T4_EUlifE0_EEvlNS_15PhiloxCudaStateESF_SG_
		.amdhsa_group_segment_fixed_size 0
		.amdhsa_private_segment_fixed_size 0
		.amdhsa_kernarg_size 584
		.amdhsa_user_sgpr_count 15
		.amdhsa_user_sgpr_dispatch_ptr 0
		.amdhsa_user_sgpr_queue_ptr 0
		.amdhsa_user_sgpr_kernarg_segment_ptr 1
		.amdhsa_user_sgpr_dispatch_id 0
		.amdhsa_user_sgpr_private_segment_size 0
		.amdhsa_wavefront_size32 1
		.amdhsa_uses_dynamic_stack 0
		.amdhsa_enable_private_segment 0
		.amdhsa_system_sgpr_workgroup_id_x 1
		.amdhsa_system_sgpr_workgroup_id_y 0
		.amdhsa_system_sgpr_workgroup_id_z 0
		.amdhsa_system_sgpr_workgroup_info 0
		.amdhsa_system_vgpr_workitem_id 0
		.amdhsa_next_free_vgpr 45
		.amdhsa_next_free_sgpr 52
		.amdhsa_reserve_vcc 1
		.amdhsa_float_round_mode_32 0
		.amdhsa_float_round_mode_16_64 0
		.amdhsa_float_denorm_mode_32 3
		.amdhsa_float_denorm_mode_16_64 3
		.amdhsa_dx10_clamp 1
		.amdhsa_ieee_mode 1
		.amdhsa_fp16_overflow 0
		.amdhsa_workgroup_processor_mode 1
		.amdhsa_memory_ordered 1
		.amdhsa_forward_progress 0
		.amdhsa_shared_vgpr_count 0
		.amdhsa_exception_fp_ieee_invalid_op 0
		.amdhsa_exception_fp_denorm_src 0
		.amdhsa_exception_fp_ieee_div_zero 0
		.amdhsa_exception_fp_ieee_overflow 0
		.amdhsa_exception_fp_ieee_underflow 0
		.amdhsa_exception_fp_ieee_inexact 0
		.amdhsa_exception_int_div_zero 0
	.end_amdhsa_kernel
	.section	.text._ZN2at6native12_GLOBAL__N_143distribution_elementwise_grid_stride_kernelIfLi4EZNS0_9templates4cuda21uniform_and_transformIbfPNS_17CUDAGeneratorImplEZZZNS4_16bernoulli_kernelIS7_EEvRNS_18TensorIteratorBaseEdT_ENKUlvE_clEvENKUlvE8_clEvEUlfE_EEvSA_T1_T2_EUlP25hiprandStatePhilox4_32_10E_ZNS1_27distribution_nullary_kernelIbf15HIP_vector_typeIdLj2EES7_SJ_SE_EEvSA_SG_RKT3_T4_EUlifE0_EEvlNS_15PhiloxCudaStateESF_SG_,"axG",@progbits,_ZN2at6native12_GLOBAL__N_143distribution_elementwise_grid_stride_kernelIfLi4EZNS0_9templates4cuda21uniform_and_transformIbfPNS_17CUDAGeneratorImplEZZZNS4_16bernoulli_kernelIS7_EEvRNS_18TensorIteratorBaseEdT_ENKUlvE_clEvENKUlvE8_clEvEUlfE_EEvSA_T1_T2_EUlP25hiprandStatePhilox4_32_10E_ZNS1_27distribution_nullary_kernelIbf15HIP_vector_typeIdLj2EES7_SJ_SE_EEvSA_SG_RKT3_T4_EUlifE0_EEvlNS_15PhiloxCudaStateESF_SG_,comdat
.Lfunc_end158:
	.size	_ZN2at6native12_GLOBAL__N_143distribution_elementwise_grid_stride_kernelIfLi4EZNS0_9templates4cuda21uniform_and_transformIbfPNS_17CUDAGeneratorImplEZZZNS4_16bernoulli_kernelIS7_EEvRNS_18TensorIteratorBaseEdT_ENKUlvE_clEvENKUlvE8_clEvEUlfE_EEvSA_T1_T2_EUlP25hiprandStatePhilox4_32_10E_ZNS1_27distribution_nullary_kernelIbf15HIP_vector_typeIdLj2EES7_SJ_SE_EEvSA_SG_RKT3_T4_EUlifE0_EEvlNS_15PhiloxCudaStateESF_SG_, .Lfunc_end158-_ZN2at6native12_GLOBAL__N_143distribution_elementwise_grid_stride_kernelIfLi4EZNS0_9templates4cuda21uniform_and_transformIbfPNS_17CUDAGeneratorImplEZZZNS4_16bernoulli_kernelIS7_EEvRNS_18TensorIteratorBaseEdT_ENKUlvE_clEvENKUlvE8_clEvEUlfE_EEvSA_T1_T2_EUlP25hiprandStatePhilox4_32_10E_ZNS1_27distribution_nullary_kernelIbf15HIP_vector_typeIdLj2EES7_SJ_SE_EEvSA_SG_RKT3_T4_EUlifE0_EEvlNS_15PhiloxCudaStateESF_SG_
                                        ; -- End function
	.section	.AMDGPU.csdata,"",@progbits
; Kernel info:
; codeLenInByte = 3960
; NumSgprs: 54
; NumVgprs: 45
; ScratchSize: 0
; MemoryBound: 0
; FloatMode: 240
; IeeeMode: 1
; LDSByteSize: 0 bytes/workgroup (compile time only)
; SGPRBlocks: 6
; VGPRBlocks: 5
; NumSGPRsForWavesPerEU: 54
; NumVGPRsForWavesPerEU: 45
; Occupancy: 16
; WaveLimiterHint : 1
; COMPUTE_PGM_RSRC2:SCRATCH_EN: 0
; COMPUTE_PGM_RSRC2:USER_SGPR: 15
; COMPUTE_PGM_RSRC2:TRAP_HANDLER: 0
; COMPUTE_PGM_RSRC2:TGID_X_EN: 1
; COMPUTE_PGM_RSRC2:TGID_Y_EN: 0
; COMPUTE_PGM_RSRC2:TGID_Z_EN: 0
; COMPUTE_PGM_RSRC2:TIDIG_COMP_CNT: 0
	.section	.text._ZN2at6native12_GLOBAL__N_143distribution_elementwise_grid_stride_kernelIfLi4EZNS0_9templates4cuda21uniform_and_transformIbfPNS_17CUDAGeneratorImplEZZZNS4_16bernoulli_kernelIS7_EEvRNS_18TensorIteratorBaseEdT_ENKUlvE_clEvENKUlvE8_clEvEUlfE_EEvSA_T1_T2_EUlP25hiprandStatePhilox4_32_10E0_ZNS1_27distribution_nullary_kernelIbf15HIP_vector_typeIfLj4EES7_SJ_SE_EEvSA_SG_RKT3_T4_EUlifE_EEvlNS_15PhiloxCudaStateESF_SG_,"axG",@progbits,_ZN2at6native12_GLOBAL__N_143distribution_elementwise_grid_stride_kernelIfLi4EZNS0_9templates4cuda21uniform_and_transformIbfPNS_17CUDAGeneratorImplEZZZNS4_16bernoulli_kernelIS7_EEvRNS_18TensorIteratorBaseEdT_ENKUlvE_clEvENKUlvE8_clEvEUlfE_EEvSA_T1_T2_EUlP25hiprandStatePhilox4_32_10E0_ZNS1_27distribution_nullary_kernelIbf15HIP_vector_typeIfLj4EES7_SJ_SE_EEvSA_SG_RKT3_T4_EUlifE_EEvlNS_15PhiloxCudaStateESF_SG_,comdat
	.globl	_ZN2at6native12_GLOBAL__N_143distribution_elementwise_grid_stride_kernelIfLi4EZNS0_9templates4cuda21uniform_and_transformIbfPNS_17CUDAGeneratorImplEZZZNS4_16bernoulli_kernelIS7_EEvRNS_18TensorIteratorBaseEdT_ENKUlvE_clEvENKUlvE8_clEvEUlfE_EEvSA_T1_T2_EUlP25hiprandStatePhilox4_32_10E0_ZNS1_27distribution_nullary_kernelIbf15HIP_vector_typeIfLj4EES7_SJ_SE_EEvSA_SG_RKT3_T4_EUlifE_EEvlNS_15PhiloxCudaStateESF_SG_ ; -- Begin function _ZN2at6native12_GLOBAL__N_143distribution_elementwise_grid_stride_kernelIfLi4EZNS0_9templates4cuda21uniform_and_transformIbfPNS_17CUDAGeneratorImplEZZZNS4_16bernoulli_kernelIS7_EEvRNS_18TensorIteratorBaseEdT_ENKUlvE_clEvENKUlvE8_clEvEUlfE_EEvSA_T1_T2_EUlP25hiprandStatePhilox4_32_10E0_ZNS1_27distribution_nullary_kernelIbf15HIP_vector_typeIfLj4EES7_SJ_SE_EEvSA_SG_RKT3_T4_EUlifE_EEvlNS_15PhiloxCudaStateESF_SG_
	.p2align	8
	.type	_ZN2at6native12_GLOBAL__N_143distribution_elementwise_grid_stride_kernelIfLi4EZNS0_9templates4cuda21uniform_and_transformIbfPNS_17CUDAGeneratorImplEZZZNS4_16bernoulli_kernelIS7_EEvRNS_18TensorIteratorBaseEdT_ENKUlvE_clEvENKUlvE8_clEvEUlfE_EEvSA_T1_T2_EUlP25hiprandStatePhilox4_32_10E0_ZNS1_27distribution_nullary_kernelIbf15HIP_vector_typeIfLj4EES7_SJ_SE_EEvSA_SG_RKT3_T4_EUlifE_EEvlNS_15PhiloxCudaStateESF_SG_,@function
_ZN2at6native12_GLOBAL__N_143distribution_elementwise_grid_stride_kernelIfLi4EZNS0_9templates4cuda21uniform_and_transformIbfPNS_17CUDAGeneratorImplEZZZNS4_16bernoulli_kernelIS7_EEvRNS_18TensorIteratorBaseEdT_ENKUlvE_clEvENKUlvE8_clEvEUlfE_EEvSA_T1_T2_EUlP25hiprandStatePhilox4_32_10E0_ZNS1_27distribution_nullary_kernelIbf15HIP_vector_typeIfLj4EES7_SJ_SE_EEvSA_SG_RKT3_T4_EUlifE_EEvlNS_15PhiloxCudaStateESF_SG_: ; @_ZN2at6native12_GLOBAL__N_143distribution_elementwise_grid_stride_kernelIfLi4EZNS0_9templates4cuda21uniform_and_transformIbfPNS_17CUDAGeneratorImplEZZZNS4_16bernoulli_kernelIS7_EEvRNS_18TensorIteratorBaseEdT_ENKUlvE_clEvENKUlvE8_clEvEUlfE_EEvSA_T1_T2_EUlP25hiprandStatePhilox4_32_10E0_ZNS1_27distribution_nullary_kernelIbf15HIP_vector_typeIfLj4EES7_SJ_SE_EEvSA_SG_RKT3_T4_EUlifE_EEvlNS_15PhiloxCudaStateESF_SG_
; %bb.0:
	s_clause 0x2
	s_load_b64 s[8:9], s[0:1], 0x10
	s_load_b128 s[4:7], s[0:1], 0x0
	s_load_b32 s2, s[0:1], 0x20
	s_waitcnt lgkmcnt(0)
	v_dual_mov_b32 v2, s8 :: v_dual_mov_b32 v3, s9
	v_dual_mov_b32 v12, s7 :: v_dual_mov_b32 v11, s6
	s_bitcmp0_b32 s2, 0
	s_mov_b32 s2, 0
	s_cbranch_scc1 .LBB159_2
; %bb.1:
	v_dual_mov_b32 v1, s8 :: v_dual_mov_b32 v2, s9
	v_dual_mov_b32 v4, s6 :: v_dual_mov_b32 v5, s7
	s_load_b64 s[6:7], s[0:1], 0x18
	flat_load_b64 v[2:3], v[1:2]
	flat_load_b64 v[11:12], v[4:5]
	s_waitcnt vmcnt(1) lgkmcnt(0)
	v_add_co_u32 v2, vcc_lo, v2, s6
	v_add_co_ci_u32_e32 v3, vcc_lo, s7, v3, vcc_lo
.LBB159_2:
	s_clause 0x1
	s_load_b32 s3, s[0:1], 0x54
	s_load_b32 s11, s[0:1], 0x48
	s_waitcnt lgkmcnt(0)
	s_and_b32 s10, s3, 0xffff
	s_add_u32 s6, s4, -1
	s_mul_i32 s8, s11, s10
	s_addc_u32 s3, s5, -1
	s_lshl_b32 s9, s8, 2
	s_cmp_lg_u64 s[2:3], 0
	s_cbranch_scc0 .LBB159_27
; %bb.3:
	v_cvt_f32_ubyte0_e32 v1, 0
	v_cvt_f32_u32_e32 v4, s9
	s_sub_u32 s12, 0, s9
	s_subb_u32 s13, 0, 0
	s_delay_alu instid0(VALU_DEP_1) | instskip(NEXT) | instid1(VALU_DEP_1)
	v_fmamk_f32 v1, v1, 0x4f800000, v4
	v_rcp_f32_e32 v1, v1
	s_waitcnt_depctr 0xfff
	v_mul_f32_e32 v1, 0x5f7ffffc, v1
	s_delay_alu instid0(VALU_DEP_1) | instskip(NEXT) | instid1(VALU_DEP_1)
	v_mul_f32_e32 v4, 0x2f800000, v1
	v_trunc_f32_e32 v4, v4
	s_delay_alu instid0(VALU_DEP_1) | instskip(SKIP_1) | instid1(VALU_DEP_2)
	v_fmamk_f32 v1, v4, 0xcf800000, v1
	v_cvt_u32_f32_e32 v4, v4
	v_cvt_u32_f32_e32 v1, v1
	s_delay_alu instid0(VALU_DEP_2) | instskip(NEXT) | instid1(VALU_DEP_2)
	v_readfirstlane_b32 s2, v4
	v_readfirstlane_b32 s7, v1
	s_delay_alu instid0(VALU_DEP_2) | instskip(NEXT) | instid1(VALU_DEP_1)
	s_mul_i32 s14, s12, s2
	s_mul_hi_u32 s17, s12, s7
	s_mul_i32 s16, s13, s7
	s_add_i32 s14, s17, s14
	s_mul_i32 s18, s12, s7
	s_add_i32 s14, s14, s16
	s_mul_hi_u32 s17, s7, s18
	s_mul_hi_u32 s19, s2, s18
	s_mul_i32 s16, s2, s18
	s_mul_hi_u32 s18, s7, s14
	s_mul_i32 s7, s7, s14
	s_mul_hi_u32 s20, s2, s14
	s_add_u32 s7, s17, s7
	s_addc_u32 s17, 0, s18
	s_add_u32 s7, s7, s16
	s_mul_i32 s14, s2, s14
	s_addc_u32 s7, s17, s19
	s_addc_u32 s16, s20, 0
	s_add_u32 s7, s7, s14
	s_addc_u32 s14, 0, s16
	v_add_co_u32 v1, s7, v1, s7
	s_delay_alu instid0(VALU_DEP_1) | instskip(SKIP_1) | instid1(VALU_DEP_1)
	s_cmp_lg_u32 s7, 0
	s_addc_u32 s2, s2, s14
	v_readfirstlane_b32 s7, v1
	s_mul_i32 s14, s12, s2
	s_delay_alu instid0(VALU_DEP_1)
	s_mul_hi_u32 s16, s12, s7
	s_mul_i32 s13, s13, s7
	s_add_i32 s14, s16, s14
	s_mul_i32 s12, s12, s7
	s_add_i32 s14, s14, s13
	s_mul_hi_u32 s16, s2, s12
	s_mul_i32 s17, s2, s12
	s_mul_hi_u32 s12, s7, s12
	s_mul_hi_u32 s18, s7, s14
	s_mul_i32 s7, s7, s14
	s_mul_hi_u32 s13, s2, s14
	s_add_u32 s7, s12, s7
	s_addc_u32 s12, 0, s18
	s_add_u32 s7, s7, s17
	s_mul_i32 s14, s2, s14
	s_addc_u32 s7, s12, s16
	s_addc_u32 s12, s13, 0
	s_add_u32 s7, s7, s14
	s_addc_u32 s12, 0, s12
	v_add_co_u32 v1, s7, v1, s7
	s_delay_alu instid0(VALU_DEP_1) | instskip(SKIP_2) | instid1(VALU_DEP_1)
	s_cmp_lg_u32 s7, 0
	s_addc_u32 s7, s2, s12
	s_ashr_i32 s12, s3, 31
	v_readfirstlane_b32 s14, v1
	s_add_u32 s2, s6, s12
	s_mov_b32 s13, s12
	s_addc_u32 s3, s3, s12
	s_delay_alu instid0(SALU_CYCLE_1) | instskip(NEXT) | instid1(SALU_CYCLE_1)
	s_xor_b64 s[2:3], s[2:3], s[12:13]
	s_mul_i32 s17, s2, s7
	s_mul_hi_u32 s18, s2, s14
	s_mul_hi_u32 s16, s2, s7
	;; [unrolled: 1-line block ×3, first 2 shown]
	s_mul_i32 s14, s3, s14
	s_add_u32 s17, s18, s17
	s_addc_u32 s16, 0, s16
	s_mul_hi_u32 s19, s3, s7
	s_add_u32 s14, s17, s14
	s_mul_i32 s7, s3, s7
	s_addc_u32 s14, s16, s20
	s_addc_u32 s16, s19, 0
	s_add_u32 s7, s14, s7
	s_addc_u32 s14, 0, s16
	s_mul_i32 s17, s9, s7
	s_add_u32 s16, s7, 1
	v_sub_co_u32 v1, s2, s2, s17
	s_mul_hi_u32 s17, s9, s7
	s_addc_u32 s18, s14, 0
	s_mul_i32 s19, s9, s14
	s_delay_alu instid0(VALU_DEP_1)
	v_sub_co_u32 v4, s20, v1, s9
	s_add_u32 s21, s7, 2
	s_addc_u32 s22, s14, 0
	s_add_i32 s17, s17, s19
	s_cmp_lg_u32 s2, 0
	v_readfirstlane_b32 s2, v4
	s_subb_u32 s3, s3, s17
	s_cmp_lg_u32 s20, 0
	s_subb_u32 s17, s3, 0
	s_delay_alu instid0(VALU_DEP_1) | instskip(SKIP_4) | instid1(SALU_CYCLE_1)
	s_cmp_ge_u32 s2, s9
	s_cselect_b32 s2, -1, 0
	s_cmp_eq_u32 s17, 0
	v_readfirstlane_b32 s17, v1
	s_cselect_b32 s2, s2, -1
	s_cmp_lg_u32 s2, 0
	s_cselect_b32 s2, s21, s16
	s_cselect_b32 s16, s22, s18
	s_cmp_ge_u32 s17, s9
	s_cselect_b32 s17, -1, 0
	s_cmp_eq_u32 s3, 0
	s_cselect_b32 s3, s17, -1
	s_delay_alu instid0(SALU_CYCLE_1) | instskip(SKIP_2) | instid1(SALU_CYCLE_1)
	s_cmp_lg_u32 s3, 0
	s_cselect_b32 s3, s16, s14
	s_cselect_b32 s2, s2, s7
	s_xor_b64 s[2:3], s[2:3], s[12:13]
	s_delay_alu instid0(SALU_CYCLE_1)
	s_sub_u32 s2, s2, s12
	s_subb_u32 s3, s3, s12
	s_cbranch_execnz .LBB159_5
.LBB159_4:
	v_cvt_f32_u32_e32 v1, s9
	s_sub_i32 s3, 0, s9
	s_delay_alu instid0(VALU_DEP_1) | instskip(SKIP_2) | instid1(VALU_DEP_1)
	v_rcp_iflag_f32_e32 v1, v1
	s_waitcnt_depctr 0xfff
	v_mul_f32_e32 v1, 0x4f7ffffe, v1
	v_cvt_u32_f32_e32 v1, v1
	s_delay_alu instid0(VALU_DEP_1) | instskip(NEXT) | instid1(VALU_DEP_1)
	v_readfirstlane_b32 s2, v1
	s_mul_i32 s3, s3, s2
	s_delay_alu instid0(SALU_CYCLE_1) | instskip(NEXT) | instid1(SALU_CYCLE_1)
	s_mul_hi_u32 s3, s2, s3
	s_add_i32 s2, s2, s3
	s_delay_alu instid0(SALU_CYCLE_1) | instskip(NEXT) | instid1(SALU_CYCLE_1)
	s_mul_hi_u32 s2, s6, s2
	s_mul_i32 s3, s2, s9
	s_delay_alu instid0(SALU_CYCLE_1)
	s_sub_i32 s3, s6, s3
	s_add_i32 s6, s2, 1
	s_sub_i32 s7, s3, s9
	s_cmp_ge_u32 s3, s9
	s_cselect_b32 s2, s6, s2
	s_cselect_b32 s3, s7, s3
	s_add_i32 s6, s2, 1
	s_cmp_ge_u32 s3, s9
	s_mov_b32 s3, 0
	s_cselect_b32 s2, s6, s2
.LBB159_5:
	v_mov_b32_e32 v1, 0
	s_add_u32 s2, s2, 1
	s_addc_u32 s3, s3, 0
	s_mul_hi_u32 s6, s8, s2
	s_mul_i32 s3, s8, s3
	v_mad_u64_u32 v[13:14], null, s10, s15, v[0:1]
	s_mul_hi_u32 s7, s11, s10
	s_add_i32 s3, s6, s3
	s_mul_i32 s7, s7, s2
	s_mul_i32 s2, s8, s2
	s_add_i32 s3, s3, s7
	s_mov_b32 s6, exec_lo
	s_lshl_b64 s[2:3], s[2:3], 2
	s_delay_alu instid0(SALU_CYCLE_1)
	v_cmpx_gt_i64_e64 s[2:3], v[13:14]
	s_cbranch_execz .LBB159_26
; %bb.6:
	v_alignbit_b32 v17, v3, v2, 2
	v_mad_u64_u32 v[6:7], null, 0xcd9e8d57, v13, 0
	v_lshrrev_b32_e32 v18, 2, v3
	s_waitcnt vmcnt(0)
	v_dual_mov_b32 v15, v12 :: v_dual_add_nc_u32 v28, 0x8ff34781, v11
	v_mad_u64_u32 v[4:5], null, 0xd2511f53, v17, 0
	v_add_co_u32 v20, null, 0x9e3779b9, v11
	v_xor3_b32 v3, v11, v7, v18
	s_delay_alu instid0(VALU_DEP_4) | instskip(SKIP_2) | instid1(VALU_DEP_4)
	v_add_co_u32 v19, null, 0xbb67ae85, v15
	v_add_co_u32 v21, null, 0x3c6ef372, v11
	v_xor_b32_e32 v1, v5, v12
	v_mad_u64_u32 v[7:8], null, 0xd2511f53, v3, 0
	v_add_co_u32 v22, null, 0x76cf5d0a, v15
	s_delay_alu instid0(VALU_DEP_3) | instskip(SKIP_2) | instid1(VALU_DEP_3)
	v_xor_b32_e32 v1, v1, v14
	v_add_co_u32 v23, null, 0x32370b8f, v15
	v_add_co_u32 v24, null, 0xdaa66d2b, v11
	v_mad_u64_u32 v[9:10], null, 0xcd9e8d57, v1, 0
	v_xor3_b32 v1, v19, v8, v4
	v_add_co_u32 v25, null, 0x78dde6e4, v11
	v_add_co_u32 v26, null, 0xed9eba14, v15
	s_delay_alu instid0(VALU_DEP_3) | instskip(SKIP_3) | instid1(VALU_DEP_3)
	v_mad_u64_u32 v[3:4], null, 0xcd9e8d57, v1, 0
	v_xor3_b32 v8, v20, v10, v6
	v_dual_mov_b32 v38, v13 :: v_dual_and_b32 v27, 3, v2
	v_add_co_u32 v29, null, 0xa9066899, v15
	v_mad_u64_u32 v[5:6], null, 0xd2511f53, v8, 0
	v_xor3_b32 v1, v21, v4, v9
	v_add_co_u32 v30, null, 0x1715609d, v11
	s_clause 0x2
	s_load_b64 s[6:7], s[0:1], 0x30
	s_load_b32 s14, s[0:1], 0x38
	s_load_b64 s[12:13], s[0:1], 0x40
	v_add_co_u32 v33, null, 0xb54cda56, v11
	v_xor3_b32 v4, v22, v6, v7
	v_mad_u64_u32 v[6:7], null, 0xd2511f53, v1, 0
	v_add_co_u32 v35, null, 0x646e171e, v15
	s_delay_alu instid0(VALU_DEP_3) | instskip(SKIP_1) | instid1(VALU_DEP_4)
	v_mad_u64_u32 v[8:9], null, 0xcd9e8d57, v4, 0
	v_add_co_u32 v36, null, 0x1fd5c5a3, v15
	v_xor3_b32 v1, v23, v7, v5
	v_add_co_u32 v32, null, 0x5384540f, v11
	v_add_co_u32 v34, null, 0xf1bbcdc8, v11
	v_xor3_b32 v5, v24, v9, v3
	s_delay_alu instid0(VALU_DEP_4)
	v_mad_u64_u32 v[3:4], null, 0xcd9e8d57, v1, 0
	s_waitcnt lgkmcnt(0)
	v_cvt_f32_f64_e32 v37, s[12:13]
	s_mul_i32 s16, s11, 3
	v_mad_u64_u32 v[9:10], null, 0xd2511f53, v5, 0
	s_add_i32 s18, s15, s11
	s_add_i32 s12, s15, s16
	s_delay_alu instid0(VALU_DEP_3) | instskip(SKIP_2) | instid1(VALU_DEP_3)
	v_xor3_b32 v4, v25, v4, v8
	v_add_co_u32 v39, null, 0xdb3d7428, v15
	s_lshl_b32 s17, s11, 1
	v_xor3_b32 v6, v26, v10, v6
	s_delay_alu instid0(VALU_DEP_3) | instskip(SKIP_1) | instid1(VALU_DEP_3)
	v_mad_u64_u32 v[1:2], null, 0xd2511f53, v4, 0
	v_dual_mov_b32 v44, v14 :: v_dual_add_nc_u32 v31, 0x96a522ad, v12
	v_mad_u64_u32 v[4:5], null, 0xcd9e8d57, v6, 0
	s_mul_i32 s11, s11, s14
	s_mov_b32 s0, 0
	s_delay_alu instid0(VALU_DEP_3) | instskip(SKIP_3) | instid1(VALU_DEP_2)
	v_xor3_b32 v6, v29, v2, v9
	s_mul_i32 s11, s11, s10
	s_lshl_b32 s1, s8, 1
	s_lshl_b32 s11, s11, 2
	v_xor3_b32 v7, v30, v5, v3
	v_mad_u64_u32 v[2:3], null, 0xcd9e8d57, v6, 0
	s_delay_alu instid0(VALU_DEP_2) | instskip(NEXT) | instid1(VALU_DEP_2)
	v_mad_u64_u32 v[5:6], null, 0xd2511f53, v7, 0
	v_xor3_b32 v8, v33, v3, v4
	v_mad_u64_u32 v[3:4], null, s15, s10, v[0:1]
	s_add_i32 s15, s15, s17
	s_delay_alu instid0(VALU_DEP_3) | instskip(NEXT) | instid1(VALU_DEP_3)
	v_xor3_b32 v1, v35, v6, v1
	v_mad_u64_u32 v[6:7], null, 0xd2511f53, v8, 0
	s_delay_alu instid0(VALU_DEP_2) | instskip(NEXT) | instid1(VALU_DEP_4)
	v_mad_u64_u32 v[8:9], null, 0xcd9e8d57, v1, 0
	v_mul_lo_u32 v40, s14, v3
	s_delay_alu instid0(VALU_DEP_3) | instskip(NEXT) | instid1(VALU_DEP_3)
	v_xor3_b32 v1, v36, v7, v5
	v_xor3_b32 v2, v32, v9, v2
	s_delay_alu instid0(VALU_DEP_2) | instskip(SKIP_1) | instid1(VALU_DEP_3)
	v_mad_u64_u32 v[4:5], null, 0xcd9e8d57, v1, 0
	v_mad_u64_u32 v[15:16], null, s18, s10, v[0:1]
	;; [unrolled: 1-line block ×4, first 2 shown]
	s_delay_alu instid0(VALU_DEP_4) | instskip(SKIP_1) | instid1(VALU_DEP_4)
	v_xor3_b32 v1, v34, v5, v8
	s_mov_b32 s12, 0
	v_mul_lo_u32 v43, s14, v15
	s_delay_alu instid0(VALU_DEP_4) | instskip(NEXT) | instid1(VALU_DEP_3)
	v_xor3_b32 v8, v39, v10, v6
	v_mad_u64_u32 v[5:6], null, s15, s10, v[0:1]
	v_mad_u64_u32 v[6:7], null, 0xd2511f53, v1, 0
	s_delay_alu instid0(VALU_DEP_3) | instskip(SKIP_2) | instid1(VALU_DEP_4)
	v_mad_u64_u32 v[1:2], null, 0xcd9e8d57, v8, 0
	v_mul_lo_u32 v41, s14, v41
	s_mul_i32 s10, s8, 3
	v_mul_lo_u32 v42, s14, v5
	s_delay_alu instid0(VALU_DEP_4) | instskip(NEXT) | instid1(VALU_DEP_4)
	v_mov_b32_e32 v3, v6
	v_xor3_b32 v0, v2, v4, v28
	v_xor3_b32 v2, v7, v9, v31
	s_branch .LBB159_8
.LBB159_7:                              ;   in Loop: Header=BB159_8 Depth=1
	s_or_b32 exec_lo, exec_lo, s13
	v_add_co_u32 v13, vcc_lo, v13, s9
	v_add_co_ci_u32_e32 v14, vcc_lo, 0, v14, vcc_lo
	v_mov_b32_e32 v7, v15
	v_dual_mov_b32 v0, v4 :: v_dual_mov_b32 v1, v5
	s_delay_alu instid0(VALU_DEP_3) | instskip(NEXT) | instid1(VALU_DEP_3)
	v_cmp_le_i64_e32 vcc_lo, s[2:3], v[13:14]
	v_dual_mov_b32 v2, v6 :: v_dual_mov_b32 v3, v7
	s_add_i32 s12, s12, s11
	s_waitcnt_vscnt null, 0x0
	s_barrier
	s_or_b32 s0, vcc_lo, s0
	buffer_gl0_inv
	s_and_not1_b32 exec_lo, exec_lo, s0
	s_cbranch_execz .LBB159_26
.LBB159_8:                              ; =>This Inner Loop Header: Depth=1
	v_add_co_u32 v17, vcc_lo, v17, 1
	s_delay_alu instid0(VALU_DEP_1) | instskip(SKIP_2) | instid1(VALU_DEP_1)
	v_cndmask_b32_e64 v4, 0, 1, vcc_lo
	v_add_co_ci_u32_e32 v18, vcc_lo, 0, v18, vcc_lo
	s_mov_b32 s13, exec_lo
	v_cmp_eq_u32_e32 vcc_lo, 0, v18
	s_delay_alu instid0(VALU_DEP_3) | instskip(NEXT) | instid1(VALU_DEP_1)
	v_cndmask_b32_e32 v4, 0, v4, vcc_lo
	v_add_nc_u32_e32 v38, v4, v38
	s_delay_alu instid0(VALU_DEP_1) | instskip(SKIP_2) | instid1(VALU_DEP_2)
	v_cmp_eq_u32_e32 vcc_lo, 0, v38
	v_mad_u64_u32 v[6:7], null, 0xcd9e8d57, v38, 0
	v_cndmask_b32_e32 v4, 0, v4, vcc_lo
	v_xor3_b32 v9, v7, v11, v18
	s_delay_alu instid0(VALU_DEP_2) | instskip(SKIP_1) | instid1(VALU_DEP_3)
	v_add_nc_u32_e32 v44, v4, v44
	v_mad_u64_u32 v[4:5], null, 0xd2511f53, v17, 0
	v_mad_u64_u32 v[7:8], null, 0xd2511f53, v9, 0
	s_delay_alu instid0(VALU_DEP_2) | instskip(NEXT) | instid1(VALU_DEP_2)
	v_xor_b32_e32 v5, v5, v12
	v_xor3_b32 v8, v19, v8, v4
	s_delay_alu instid0(VALU_DEP_2) | instskip(NEXT) | instid1(VALU_DEP_1)
	v_xor_b32_e32 v5, v44, v5
	v_mad_u64_u32 v[9:10], null, 0xcd9e8d57, v5, 0
	s_delay_alu instid0(VALU_DEP_3) | instskip(NEXT) | instid1(VALU_DEP_2)
	v_mad_u64_u32 v[4:5], null, 0xcd9e8d57, v8, 0
	v_xor3_b32 v6, v20, v10, v6
	s_delay_alu instid0(VALU_DEP_2) | instskip(NEXT) | instid1(VALU_DEP_2)
	v_xor3_b32 v8, v21, v5, v9
	v_mad_u64_u32 v[15:16], null, 0xd2511f53, v6, 0
	s_delay_alu instid0(VALU_DEP_2) | instskip(NEXT) | instid1(VALU_DEP_2)
	v_mad_u64_u32 v[5:6], null, 0xd2511f53, v8, 0
	v_xor3_b32 v9, v22, v16, v7
	s_delay_alu instid0(VALU_DEP_2) | instskip(NEXT) | instid1(VALU_DEP_2)
	v_xor3_b32 v6, v23, v6, v15
	v_mad_u64_u32 v[7:8], null, 0xcd9e8d57, v9, 0
	s_delay_alu instid0(VALU_DEP_1) | instskip(NEXT) | instid1(VALU_DEP_3)
	v_xor3_b32 v4, v24, v8, v4
	v_mad_u64_u32 v[8:9], null, 0xcd9e8d57, v6, 0
	s_delay_alu instid0(VALU_DEP_2) | instskip(NEXT) | instid1(VALU_DEP_2)
	v_mad_u64_u32 v[15:16], null, 0xd2511f53, v4, 0
	v_xor3_b32 v6, v25, v9, v7
	s_delay_alu instid0(VALU_DEP_2) | instskip(NEXT) | instid1(VALU_DEP_2)
	v_xor3_b32 v9, v26, v16, v5
	v_mad_u64_u32 v[4:5], null, 0xd2511f53, v6, 0
	s_delay_alu instid0(VALU_DEP_2) | instskip(NEXT) | instid1(VALU_DEP_2)
	v_mad_u64_u32 v[6:7], null, 0xcd9e8d57, v9, 0
	v_xor3_b32 v5, v29, v5, v15
	s_delay_alu instid0(VALU_DEP_2) | instskip(NEXT) | instid1(VALU_DEP_2)
	;; [unrolled: 6-line block ×6, first 2 shown]
	v_xor3_b32 v4, v6, v7, v28
	v_mov_b32_e32 v6, v10
	v_cmpx_lt_i32_e32 1, v27
	s_xor_b32 s13, exec_lo, s13
	s_cbranch_execnz .LBB159_18
; %bb.9:                                ;   in Loop: Header=BB159_8 Depth=1
	s_and_not1_saveexec_b32 s13, s13
	s_cbranch_execnz .LBB159_23
.LBB159_10:                             ;   in Loop: Header=BB159_8 Depth=1
	s_or_b32 exec_lo, exec_lo, s13
	s_delay_alu instid0(SALU_CYCLE_1)
	s_mov_b32 s13, exec_lo
	v_cmpx_gt_i64_e64 s[4:5], v[13:14]
	s_cbranch_execz .LBB159_12
.LBB159_11:                             ;   in Loop: Header=BB159_8 Depth=1
	v_add_nc_u32_e32 v7, s12, v40
	v_cvt_f32_u32_e32 v0, v0
	s_delay_alu instid0(VALU_DEP_2) | instskip(NEXT) | instid1(VALU_DEP_2)
	v_ashrrev_i32_e32 v8, 31, v7
	v_fmaak_f32 v0, 0x2f800000, v0, 0x2f800000
	v_add_co_u32 v7, vcc_lo, s6, v7
	s_delay_alu instid0(VALU_DEP_3) | instskip(NEXT) | instid1(VALU_DEP_3)
	v_add_co_ci_u32_e32 v8, vcc_lo, s7, v8, vcc_lo
	v_cmp_lt_f32_e32 vcc_lo, v0, v37
	v_cndmask_b32_e64 v0, 0, 1, vcc_lo
	global_store_b8 v[7:8], v0, off
.LBB159_12:                             ;   in Loop: Header=BB159_8 Depth=1
	s_or_b32 exec_lo, exec_lo, s13
	v_add_co_u32 v7, vcc_lo, s8, v13
	v_add_co_ci_u32_e32 v8, vcc_lo, 0, v14, vcc_lo
	s_mov_b32 s13, exec_lo
	s_delay_alu instid0(VALU_DEP_1)
	v_cmpx_gt_i64_e64 s[4:5], v[7:8]
	s_cbranch_execz .LBB159_14
; %bb.13:                               ;   in Loop: Header=BB159_8 Depth=1
	v_add_nc_u32_e32 v0, s12, v43
	v_cvt_f32_u32_e32 v1, v1
	s_delay_alu instid0(VALU_DEP_2) | instskip(NEXT) | instid1(VALU_DEP_2)
	v_ashrrev_i32_e32 v7, 31, v0
	v_fmaak_f32 v8, 0x2f800000, v1, 0x2f800000
	v_add_co_u32 v0, vcc_lo, s6, v0
	s_delay_alu instid0(VALU_DEP_3) | instskip(NEXT) | instid1(VALU_DEP_3)
	v_add_co_ci_u32_e32 v1, vcc_lo, s7, v7, vcc_lo
	v_cmp_lt_f32_e32 vcc_lo, v8, v37
	v_cndmask_b32_e64 v7, 0, 1, vcc_lo
	global_store_b8 v[0:1], v7, off
.LBB159_14:                             ;   in Loop: Header=BB159_8 Depth=1
	s_or_b32 exec_lo, exec_lo, s13
	v_add_co_u32 v0, vcc_lo, s1, v13
	v_add_co_ci_u32_e32 v1, vcc_lo, 0, v14, vcc_lo
	s_mov_b32 s13, exec_lo
	s_delay_alu instid0(VALU_DEP_1)
	v_cmpx_gt_i64_e64 s[4:5], v[0:1]
	s_cbranch_execz .LBB159_16
; %bb.15:                               ;   in Loop: Header=BB159_8 Depth=1
	v_cvt_f32_u32_e32 v1, v2
	s_delay_alu instid0(VALU_DEP_1) | instskip(NEXT) | instid1(VALU_DEP_1)
	v_dual_fmaak_f32 v7, 0x2f800000, v1, 0x2f800000 :: v_dual_add_nc_u32 v0, s12, v42
	v_ashrrev_i32_e32 v2, 31, v0
	v_add_co_u32 v0, vcc_lo, s6, v0
	s_delay_alu instid0(VALU_DEP_2) | instskip(NEXT) | instid1(VALU_DEP_4)
	v_add_co_ci_u32_e32 v1, vcc_lo, s7, v2, vcc_lo
	v_cmp_lt_f32_e32 vcc_lo, v7, v37
	v_cndmask_b32_e64 v2, 0, 1, vcc_lo
	global_store_b8 v[0:1], v2, off
.LBB159_16:                             ;   in Loop: Header=BB159_8 Depth=1
	s_or_b32 exec_lo, exec_lo, s13
	v_add_co_u32 v0, vcc_lo, s10, v13
	v_add_co_ci_u32_e32 v1, vcc_lo, 0, v14, vcc_lo
	s_mov_b32 s13, exec_lo
	s_delay_alu instid0(VALU_DEP_1)
	v_cmpx_gt_i64_e64 s[4:5], v[0:1]
	s_cbranch_execz .LBB159_7
; %bb.17:                               ;   in Loop: Header=BB159_8 Depth=1
	v_add_nc_u32_e32 v0, s12, v41
	v_cvt_f32_u32_e32 v1, v3
	s_delay_alu instid0(VALU_DEP_2) | instskip(NEXT) | instid1(VALU_DEP_2)
	v_ashrrev_i32_e32 v2, 31, v0
	v_fmaak_f32 v3, 0x2f800000, v1, 0x2f800000
	v_add_co_u32 v0, vcc_lo, s6, v0
	s_delay_alu instid0(VALU_DEP_3) | instskip(NEXT) | instid1(VALU_DEP_3)
	v_add_co_ci_u32_e32 v1, vcc_lo, s7, v2, vcc_lo
	v_cmp_lt_f32_e32 vcc_lo, v3, v37
	v_cndmask_b32_e64 v2, 0, 1, vcc_lo
	global_store_b8 v[0:1], v2, off
	s_branch .LBB159_7
.LBB159_18:                             ;   in Loop: Header=BB159_8 Depth=1
	s_mov_b32 s14, exec_lo
	v_cmpx_lt_i32_e32 2, v27
	s_xor_b32 s14, exec_lo, s14
; %bb.19:                               ;   in Loop: Header=BB159_8 Depth=1
	v_dual_mov_b32 v7, v3 :: v_dual_mov_b32 v8, v4
	v_mov_b32_e32 v9, v5
	s_delay_alu instid0(VALU_DEP_2) | instskip(NEXT) | instid1(VALU_DEP_2)
	v_dual_mov_b32 v0, v7 :: v_dual_mov_b32 v1, v8
	v_dual_mov_b32 v2, v9 :: v_dual_mov_b32 v3, v10
; %bb.20:                               ;   in Loop: Header=BB159_8 Depth=1
	s_and_not1_saveexec_b32 s14, s14
; %bb.21:                               ;   in Loop: Header=BB159_8 Depth=1
	s_delay_alu instid0(VALU_DEP_1)
	v_dual_mov_b32 v0, v2 :: v_dual_mov_b32 v1, v3
	v_dual_mov_b32 v2, v4 :: v_dual_mov_b32 v3, v5
; %bb.22:                               ;   in Loop: Header=BB159_8 Depth=1
	s_or_b32 exec_lo, exec_lo, s14
	s_and_not1_saveexec_b32 s13, s13
	s_cbranch_execz .LBB159_10
.LBB159_23:                             ;   in Loop: Header=BB159_8 Depth=1
	s_mov_b32 s14, exec_lo
	v_cmpx_eq_u32_e32 1, v27
; %bb.24:                               ;   in Loop: Header=BB159_8 Depth=1
	v_dual_mov_b32 v0, v1 :: v_dual_mov_b32 v1, v2
	v_dual_mov_b32 v2, v3 :: v_dual_mov_b32 v3, v4
; %bb.25:                               ;   in Loop: Header=BB159_8 Depth=1
	s_or_b32 exec_lo, exec_lo, s14
	s_delay_alu instid0(SALU_CYCLE_1) | instskip(NEXT) | instid1(SALU_CYCLE_1)
	s_or_b32 exec_lo, exec_lo, s13
	s_mov_b32 s13, exec_lo
	v_cmpx_gt_i64_e64 s[4:5], v[13:14]
	s_cbranch_execnz .LBB159_11
	s_branch .LBB159_12
.LBB159_26:
	s_endpgm
.LBB159_27:
                                        ; implicit-def: $sgpr2_sgpr3
	s_branch .LBB159_4
	.section	.rodata,"a",@progbits
	.p2align	6, 0x0
	.amdhsa_kernel _ZN2at6native12_GLOBAL__N_143distribution_elementwise_grid_stride_kernelIfLi4EZNS0_9templates4cuda21uniform_and_transformIbfPNS_17CUDAGeneratorImplEZZZNS4_16bernoulli_kernelIS7_EEvRNS_18TensorIteratorBaseEdT_ENKUlvE_clEvENKUlvE8_clEvEUlfE_EEvSA_T1_T2_EUlP25hiprandStatePhilox4_32_10E0_ZNS1_27distribution_nullary_kernelIbf15HIP_vector_typeIfLj4EES7_SJ_SE_EEvSA_SG_RKT3_T4_EUlifE_EEvlNS_15PhiloxCudaStateESF_SG_
		.amdhsa_group_segment_fixed_size 0
		.amdhsa_private_segment_fixed_size 0
		.amdhsa_kernarg_size 328
		.amdhsa_user_sgpr_count 15
		.amdhsa_user_sgpr_dispatch_ptr 0
		.amdhsa_user_sgpr_queue_ptr 0
		.amdhsa_user_sgpr_kernarg_segment_ptr 1
		.amdhsa_user_sgpr_dispatch_id 0
		.amdhsa_user_sgpr_private_segment_size 0
		.amdhsa_wavefront_size32 1
		.amdhsa_uses_dynamic_stack 0
		.amdhsa_enable_private_segment 0
		.amdhsa_system_sgpr_workgroup_id_x 1
		.amdhsa_system_sgpr_workgroup_id_y 0
		.amdhsa_system_sgpr_workgroup_id_z 0
		.amdhsa_system_sgpr_workgroup_info 0
		.amdhsa_system_vgpr_workitem_id 0
		.amdhsa_next_free_vgpr 45
		.amdhsa_next_free_sgpr 23
		.amdhsa_reserve_vcc 1
		.amdhsa_float_round_mode_32 0
		.amdhsa_float_round_mode_16_64 0
		.amdhsa_float_denorm_mode_32 3
		.amdhsa_float_denorm_mode_16_64 3
		.amdhsa_dx10_clamp 1
		.amdhsa_ieee_mode 1
		.amdhsa_fp16_overflow 0
		.amdhsa_workgroup_processor_mode 1
		.amdhsa_memory_ordered 1
		.amdhsa_forward_progress 0
		.amdhsa_shared_vgpr_count 0
		.amdhsa_exception_fp_ieee_invalid_op 0
		.amdhsa_exception_fp_denorm_src 0
		.amdhsa_exception_fp_ieee_div_zero 0
		.amdhsa_exception_fp_ieee_overflow 0
		.amdhsa_exception_fp_ieee_underflow 0
		.amdhsa_exception_fp_ieee_inexact 0
		.amdhsa_exception_int_div_zero 0
	.end_amdhsa_kernel
	.section	.text._ZN2at6native12_GLOBAL__N_143distribution_elementwise_grid_stride_kernelIfLi4EZNS0_9templates4cuda21uniform_and_transformIbfPNS_17CUDAGeneratorImplEZZZNS4_16bernoulli_kernelIS7_EEvRNS_18TensorIteratorBaseEdT_ENKUlvE_clEvENKUlvE8_clEvEUlfE_EEvSA_T1_T2_EUlP25hiprandStatePhilox4_32_10E0_ZNS1_27distribution_nullary_kernelIbf15HIP_vector_typeIfLj4EES7_SJ_SE_EEvSA_SG_RKT3_T4_EUlifE_EEvlNS_15PhiloxCudaStateESF_SG_,"axG",@progbits,_ZN2at6native12_GLOBAL__N_143distribution_elementwise_grid_stride_kernelIfLi4EZNS0_9templates4cuda21uniform_and_transformIbfPNS_17CUDAGeneratorImplEZZZNS4_16bernoulli_kernelIS7_EEvRNS_18TensorIteratorBaseEdT_ENKUlvE_clEvENKUlvE8_clEvEUlfE_EEvSA_T1_T2_EUlP25hiprandStatePhilox4_32_10E0_ZNS1_27distribution_nullary_kernelIbf15HIP_vector_typeIfLj4EES7_SJ_SE_EEvSA_SG_RKT3_T4_EUlifE_EEvlNS_15PhiloxCudaStateESF_SG_,comdat
.Lfunc_end159:
	.size	_ZN2at6native12_GLOBAL__N_143distribution_elementwise_grid_stride_kernelIfLi4EZNS0_9templates4cuda21uniform_and_transformIbfPNS_17CUDAGeneratorImplEZZZNS4_16bernoulli_kernelIS7_EEvRNS_18TensorIteratorBaseEdT_ENKUlvE_clEvENKUlvE8_clEvEUlfE_EEvSA_T1_T2_EUlP25hiprandStatePhilox4_32_10E0_ZNS1_27distribution_nullary_kernelIbf15HIP_vector_typeIfLj4EES7_SJ_SE_EEvSA_SG_RKT3_T4_EUlifE_EEvlNS_15PhiloxCudaStateESF_SG_, .Lfunc_end159-_ZN2at6native12_GLOBAL__N_143distribution_elementwise_grid_stride_kernelIfLi4EZNS0_9templates4cuda21uniform_and_transformIbfPNS_17CUDAGeneratorImplEZZZNS4_16bernoulli_kernelIS7_EEvRNS_18TensorIteratorBaseEdT_ENKUlvE_clEvENKUlvE8_clEvEUlfE_EEvSA_T1_T2_EUlP25hiprandStatePhilox4_32_10E0_ZNS1_27distribution_nullary_kernelIbf15HIP_vector_typeIfLj4EES7_SJ_SE_EEvSA_SG_RKT3_T4_EUlifE_EEvlNS_15PhiloxCudaStateESF_SG_
                                        ; -- End function
	.section	.AMDGPU.csdata,"",@progbits
; Kernel info:
; codeLenInByte = 2928
; NumSgprs: 25
; NumVgprs: 45
; ScratchSize: 0
; MemoryBound: 0
; FloatMode: 240
; IeeeMode: 1
; LDSByteSize: 0 bytes/workgroup (compile time only)
; SGPRBlocks: 3
; VGPRBlocks: 5
; NumSGPRsForWavesPerEU: 25
; NumVGPRsForWavesPerEU: 45
; Occupancy: 16
; WaveLimiterHint : 0
; COMPUTE_PGM_RSRC2:SCRATCH_EN: 0
; COMPUTE_PGM_RSRC2:USER_SGPR: 15
; COMPUTE_PGM_RSRC2:TRAP_HANDLER: 0
; COMPUTE_PGM_RSRC2:TGID_X_EN: 1
; COMPUTE_PGM_RSRC2:TGID_Y_EN: 0
; COMPUTE_PGM_RSRC2:TGID_Z_EN: 0
; COMPUTE_PGM_RSRC2:TIDIG_COMP_CNT: 0
	.section	.text._ZN2at6native12_GLOBAL__N_143distribution_elementwise_grid_stride_kernelIfLi4EZNS0_9templates4cuda21uniform_and_transformIbfPNS_17CUDAGeneratorImplEZZZNS4_16bernoulli_kernelIS7_EEvRNS_18TensorIteratorBaseEdT_ENKUlvE_clEvENKUlvE8_clEvEUlfE_EEvSA_T1_T2_EUlP25hiprandStatePhilox4_32_10E0_ZNS1_27distribution_nullary_kernelIbf15HIP_vector_typeIfLj4EES7_SJ_SE_EEvSA_SG_RKT3_T4_EUlifE0_EEvlNS_15PhiloxCudaStateESF_SG_,"axG",@progbits,_ZN2at6native12_GLOBAL__N_143distribution_elementwise_grid_stride_kernelIfLi4EZNS0_9templates4cuda21uniform_and_transformIbfPNS_17CUDAGeneratorImplEZZZNS4_16bernoulli_kernelIS7_EEvRNS_18TensorIteratorBaseEdT_ENKUlvE_clEvENKUlvE8_clEvEUlfE_EEvSA_T1_T2_EUlP25hiprandStatePhilox4_32_10E0_ZNS1_27distribution_nullary_kernelIbf15HIP_vector_typeIfLj4EES7_SJ_SE_EEvSA_SG_RKT3_T4_EUlifE0_EEvlNS_15PhiloxCudaStateESF_SG_,comdat
	.globl	_ZN2at6native12_GLOBAL__N_143distribution_elementwise_grid_stride_kernelIfLi4EZNS0_9templates4cuda21uniform_and_transformIbfPNS_17CUDAGeneratorImplEZZZNS4_16bernoulli_kernelIS7_EEvRNS_18TensorIteratorBaseEdT_ENKUlvE_clEvENKUlvE8_clEvEUlfE_EEvSA_T1_T2_EUlP25hiprandStatePhilox4_32_10E0_ZNS1_27distribution_nullary_kernelIbf15HIP_vector_typeIfLj4EES7_SJ_SE_EEvSA_SG_RKT3_T4_EUlifE0_EEvlNS_15PhiloxCudaStateESF_SG_ ; -- Begin function _ZN2at6native12_GLOBAL__N_143distribution_elementwise_grid_stride_kernelIfLi4EZNS0_9templates4cuda21uniform_and_transformIbfPNS_17CUDAGeneratorImplEZZZNS4_16bernoulli_kernelIS7_EEvRNS_18TensorIteratorBaseEdT_ENKUlvE_clEvENKUlvE8_clEvEUlfE_EEvSA_T1_T2_EUlP25hiprandStatePhilox4_32_10E0_ZNS1_27distribution_nullary_kernelIbf15HIP_vector_typeIfLj4EES7_SJ_SE_EEvSA_SG_RKT3_T4_EUlifE0_EEvlNS_15PhiloxCudaStateESF_SG_
	.p2align	8
	.type	_ZN2at6native12_GLOBAL__N_143distribution_elementwise_grid_stride_kernelIfLi4EZNS0_9templates4cuda21uniform_and_transformIbfPNS_17CUDAGeneratorImplEZZZNS4_16bernoulli_kernelIS7_EEvRNS_18TensorIteratorBaseEdT_ENKUlvE_clEvENKUlvE8_clEvEUlfE_EEvSA_T1_T2_EUlP25hiprandStatePhilox4_32_10E0_ZNS1_27distribution_nullary_kernelIbf15HIP_vector_typeIfLj4EES7_SJ_SE_EEvSA_SG_RKT3_T4_EUlifE0_EEvlNS_15PhiloxCudaStateESF_SG_,@function
_ZN2at6native12_GLOBAL__N_143distribution_elementwise_grid_stride_kernelIfLi4EZNS0_9templates4cuda21uniform_and_transformIbfPNS_17CUDAGeneratorImplEZZZNS4_16bernoulli_kernelIS7_EEvRNS_18TensorIteratorBaseEdT_ENKUlvE_clEvENKUlvE8_clEvEUlfE_EEvSA_T1_T2_EUlP25hiprandStatePhilox4_32_10E0_ZNS1_27distribution_nullary_kernelIbf15HIP_vector_typeIfLj4EES7_SJ_SE_EEvSA_SG_RKT3_T4_EUlifE0_EEvlNS_15PhiloxCudaStateESF_SG_: ; @_ZN2at6native12_GLOBAL__N_143distribution_elementwise_grid_stride_kernelIfLi4EZNS0_9templates4cuda21uniform_and_transformIbfPNS_17CUDAGeneratorImplEZZZNS4_16bernoulli_kernelIS7_EEvRNS_18TensorIteratorBaseEdT_ENKUlvE_clEvENKUlvE8_clEvEUlfE_EEvSA_T1_T2_EUlP25hiprandStatePhilox4_32_10E0_ZNS1_27distribution_nullary_kernelIbf15HIP_vector_typeIfLj4EES7_SJ_SE_EEvSA_SG_RKT3_T4_EUlifE0_EEvlNS_15PhiloxCudaStateESF_SG_
; %bb.0:
	s_clause 0x2
	s_load_b64 s[4:5], s[0:1], 0x10
	s_load_b128 s[16:19], s[0:1], 0x0
	s_load_b32 s2, s[0:1], 0x20
	s_waitcnt lgkmcnt(0)
	v_dual_mov_b32 v2, s4 :: v_dual_mov_b32 v3, s5
	v_dual_mov_b32 v11, s18 :: v_dual_mov_b32 v12, s19
	s_bitcmp0_b32 s2, 0
	s_mov_b32 s2, 0
	s_cbranch_scc1 .LBB160_2
; %bb.1:
	v_dual_mov_b32 v1, s4 :: v_dual_mov_b32 v2, s5
	v_dual_mov_b32 v4, s18 :: v_dual_mov_b32 v5, s19
	s_load_b64 s[4:5], s[0:1], 0x18
	flat_load_b64 v[2:3], v[1:2]
	flat_load_b64 v[11:12], v[4:5]
	s_waitcnt vmcnt(1) lgkmcnt(0)
	v_add_co_u32 v2, vcc_lo, v2, s4
	v_add_co_ci_u32_e32 v3, vcc_lo, s5, v3, vcc_lo
.LBB160_2:
	s_clause 0x1
	s_load_b32 s3, s[0:1], 0x154
	s_load_b32 s4, s[0:1], 0x148
	s_waitcnt lgkmcnt(0)
	s_and_b32 s5, s3, 0xffff
	s_add_u32 s6, s16, -1
	s_mul_i32 s24, s4, s5
	s_addc_u32 s3, s17, -1
	s_lshl_b32 s25, s24, 2
	s_cmp_lg_u64 s[2:3], 0
	s_cbranch_scc0 .LBB160_79
; %bb.3:
	v_cvt_f32_ubyte0_e32 v1, 0
	v_cvt_f32_u32_e32 v4, s25
	s_sub_u32 s8, 0, s25
	s_subb_u32 s9, 0, 0
	s_delay_alu instid0(VALU_DEP_1) | instskip(NEXT) | instid1(VALU_DEP_1)
	v_fmamk_f32 v1, v1, 0x4f800000, v4
	v_rcp_f32_e32 v1, v1
	s_waitcnt_depctr 0xfff
	v_mul_f32_e32 v1, 0x5f7ffffc, v1
	s_delay_alu instid0(VALU_DEP_1) | instskip(NEXT) | instid1(VALU_DEP_1)
	v_mul_f32_e32 v4, 0x2f800000, v1
	v_trunc_f32_e32 v4, v4
	s_delay_alu instid0(VALU_DEP_1) | instskip(SKIP_1) | instid1(VALU_DEP_2)
	v_fmamk_f32 v1, v4, 0xcf800000, v1
	v_cvt_u32_f32_e32 v4, v4
	v_cvt_u32_f32_e32 v1, v1
	s_delay_alu instid0(VALU_DEP_2) | instskip(NEXT) | instid1(VALU_DEP_2)
	v_readfirstlane_b32 s2, v4
	v_readfirstlane_b32 s7, v1
	s_delay_alu instid0(VALU_DEP_2) | instskip(NEXT) | instid1(VALU_DEP_1)
	s_mul_i32 s10, s8, s2
	s_mul_hi_u32 s12, s8, s7
	s_mul_i32 s11, s9, s7
	s_add_i32 s10, s12, s10
	s_mul_i32 s13, s8, s7
	s_add_i32 s10, s10, s11
	s_mul_hi_u32 s12, s7, s13
	s_mul_hi_u32 s14, s2, s13
	s_mul_i32 s11, s2, s13
	s_mul_hi_u32 s13, s7, s10
	s_mul_i32 s7, s7, s10
	s_mul_hi_u32 s18, s2, s10
	s_add_u32 s7, s12, s7
	s_addc_u32 s12, 0, s13
	s_add_u32 s7, s7, s11
	s_mul_i32 s10, s2, s10
	s_addc_u32 s7, s12, s14
	s_addc_u32 s11, s18, 0
	s_add_u32 s7, s7, s10
	s_addc_u32 s10, 0, s11
	v_add_co_u32 v1, s7, v1, s7
	s_delay_alu instid0(VALU_DEP_1) | instskip(SKIP_1) | instid1(VALU_DEP_1)
	s_cmp_lg_u32 s7, 0
	s_addc_u32 s2, s2, s10
	v_readfirstlane_b32 s7, v1
	s_mul_i32 s10, s8, s2
	s_delay_alu instid0(VALU_DEP_1)
	s_mul_hi_u32 s11, s8, s7
	s_mul_i32 s9, s9, s7
	s_add_i32 s10, s11, s10
	s_mul_i32 s8, s8, s7
	s_add_i32 s10, s10, s9
	s_mul_hi_u32 s11, s2, s8
	s_mul_i32 s12, s2, s8
	s_mul_hi_u32 s8, s7, s8
	s_mul_hi_u32 s13, s7, s10
	s_mul_i32 s7, s7, s10
	s_mul_hi_u32 s9, s2, s10
	s_add_u32 s7, s8, s7
	s_addc_u32 s8, 0, s13
	s_add_u32 s7, s7, s12
	s_mul_i32 s10, s2, s10
	s_addc_u32 s7, s8, s11
	s_addc_u32 s8, s9, 0
	s_add_u32 s7, s7, s10
	s_addc_u32 s8, 0, s8
	v_add_co_u32 v1, s7, v1, s7
	s_delay_alu instid0(VALU_DEP_1) | instskip(SKIP_2) | instid1(VALU_DEP_1)
	s_cmp_lg_u32 s7, 0
	s_addc_u32 s7, s2, s8
	s_ashr_i32 s8, s3, 31
	v_readfirstlane_b32 s10, v1
	s_add_u32 s2, s6, s8
	s_mov_b32 s9, s8
	s_addc_u32 s3, s3, s8
	s_delay_alu instid0(SALU_CYCLE_1) | instskip(NEXT) | instid1(SALU_CYCLE_1)
	s_xor_b64 s[2:3], s[2:3], s[8:9]
	s_mul_i32 s12, s2, s7
	s_mul_hi_u32 s13, s2, s10
	s_mul_hi_u32 s11, s2, s7
	;; [unrolled: 1-line block ×3, first 2 shown]
	s_mul_i32 s10, s3, s10
	s_add_u32 s12, s13, s12
	s_addc_u32 s11, 0, s11
	s_mul_hi_u32 s14, s3, s7
	s_add_u32 s10, s12, s10
	s_mul_i32 s7, s3, s7
	s_addc_u32 s10, s11, s18
	s_addc_u32 s11, s14, 0
	s_add_u32 s7, s10, s7
	s_addc_u32 s10, 0, s11
	s_mul_i32 s12, s25, s7
	s_add_u32 s11, s7, 1
	v_sub_co_u32 v1, s2, s2, s12
	s_mul_hi_u32 s12, s25, s7
	s_addc_u32 s13, s10, 0
	s_mul_i32 s14, s25, s10
	s_delay_alu instid0(VALU_DEP_1)
	v_sub_co_u32 v4, s18, v1, s25
	s_add_u32 s19, s7, 2
	s_addc_u32 s20, s10, 0
	s_add_i32 s12, s12, s14
	s_cmp_lg_u32 s2, 0
	v_readfirstlane_b32 s2, v4
	s_subb_u32 s3, s3, s12
	s_cmp_lg_u32 s18, 0
	s_subb_u32 s12, s3, 0
	s_delay_alu instid0(VALU_DEP_1) | instskip(SKIP_4) | instid1(SALU_CYCLE_1)
	s_cmp_ge_u32 s2, s25
	s_cselect_b32 s2, -1, 0
	s_cmp_eq_u32 s12, 0
	v_readfirstlane_b32 s12, v1
	s_cselect_b32 s2, s2, -1
	s_cmp_lg_u32 s2, 0
	s_cselect_b32 s2, s19, s11
	s_cselect_b32 s11, s20, s13
	s_cmp_ge_u32 s12, s25
	s_cselect_b32 s12, -1, 0
	s_cmp_eq_u32 s3, 0
	s_cselect_b32 s3, s12, -1
	s_delay_alu instid0(SALU_CYCLE_1) | instskip(SKIP_2) | instid1(SALU_CYCLE_1)
	s_cmp_lg_u32 s3, 0
	s_cselect_b32 s3, s11, s10
	s_cselect_b32 s2, s2, s7
	s_xor_b64 s[2:3], s[2:3], s[8:9]
	s_delay_alu instid0(SALU_CYCLE_1)
	s_sub_u32 s2, s2, s8
	s_subb_u32 s3, s3, s8
	s_cbranch_execnz .LBB160_5
.LBB160_4:
	v_cvt_f32_u32_e32 v1, s25
	s_sub_i32 s3, 0, s25
	s_delay_alu instid0(VALU_DEP_1) | instskip(SKIP_2) | instid1(VALU_DEP_1)
	v_rcp_iflag_f32_e32 v1, v1
	s_waitcnt_depctr 0xfff
	v_mul_f32_e32 v1, 0x4f7ffffe, v1
	v_cvt_u32_f32_e32 v1, v1
	s_delay_alu instid0(VALU_DEP_1) | instskip(NEXT) | instid1(VALU_DEP_1)
	v_readfirstlane_b32 s2, v1
	s_mul_i32 s3, s3, s2
	s_delay_alu instid0(SALU_CYCLE_1) | instskip(NEXT) | instid1(SALU_CYCLE_1)
	s_mul_hi_u32 s3, s2, s3
	s_add_i32 s2, s2, s3
	s_delay_alu instid0(SALU_CYCLE_1) | instskip(NEXT) | instid1(SALU_CYCLE_1)
	s_mul_hi_u32 s2, s6, s2
	s_mul_i32 s3, s2, s25
	s_delay_alu instid0(SALU_CYCLE_1)
	s_sub_i32 s3, s6, s3
	s_add_i32 s6, s2, 1
	s_sub_i32 s7, s3, s25
	s_cmp_ge_u32 s3, s25
	s_cselect_b32 s2, s6, s2
	s_cselect_b32 s3, s7, s3
	s_add_i32 s6, s2, 1
	s_cmp_ge_u32 s3, s25
	s_mov_b32 s3, 0
	s_cselect_b32 s2, s6, s2
.LBB160_5:
	v_mov_b32_e32 v1, 0
	s_add_u32 s2, s2, 1
	s_addc_u32 s3, s3, 0
	s_mul_hi_u32 s6, s24, s2
	s_mul_i32 s3, s24, s3
	v_mad_u64_u32 v[13:14], null, s5, s15, v[0:1]
	s_mul_hi_u32 s4, s4, s5
	s_add_i32 s3, s6, s3
	s_mul_i32 s4, s4, s2
	s_mul_i32 s2, s24, s2
	s_add_i32 s3, s3, s4
	s_mov_b32 s4, exec_lo
	s_lshl_b64 s[2:3], s[2:3], 2
	s_delay_alu instid0(SALU_CYCLE_1)
	v_cmpx_gt_i64_e64 s[2:3], v[13:14]
	s_cbranch_execz .LBB160_78
; %bb.6:
	v_alignbit_b32 v17, v3, v2, 2
	v_mad_u64_u32 v[4:5], null, 0xcd9e8d57, v13, 0
	v_lshrrev_b32_e32 v18, 2, v3
	s_waitcnt vmcnt(0)
	v_dual_mov_b32 v9, v12 :: v_dual_add_nc_u32 v28, 0x8ff34781, v11
	v_mad_u64_u32 v[0:1], null, 0xd2511f53, v17, 0
	v_add_co_u32 v20, null, 0x9e3779b9, v11
	v_xor3_b32 v3, v11, v5, v18
	s_delay_alu instid0(VALU_DEP_4) | instskip(SKIP_2) | instid1(VALU_DEP_4)
	v_add_co_u32 v19, null, 0xbb67ae85, v9
	v_add_co_u32 v21, null, 0x3c6ef372, v11
	v_xor_b32_e32 v1, v1, v12
	v_mad_u64_u32 v[5:6], null, 0xd2511f53, v3, 0
	v_add_co_u32 v22, null, 0x76cf5d0a, v9
	s_delay_alu instid0(VALU_DEP_3) | instskip(SKIP_2) | instid1(VALU_DEP_3)
	v_xor_b32_e32 v1, v1, v14
	v_add_co_u32 v23, null, 0x32370b8f, v9
	v_add_co_u32 v24, null, 0xdaa66d2b, v11
	v_mad_u64_u32 v[7:8], null, 0xcd9e8d57, v1, 0
	v_xor3_b32 v3, v19, v6, v0
	v_dual_mov_b32 v36, v13 :: v_dual_and_b32 v25, 3, v2
	v_add_co_u32 v26, null, 0x78dde6e4, v11
	s_delay_alu instid0(VALU_DEP_3) | instskip(SKIP_3) | instid1(VALU_DEP_3)
	v_mad_u64_u32 v[0:1], null, 0xcd9e8d57, v3, 0
	v_xor3_b32 v6, v20, v8, v4
	v_add_co_u32 v27, null, 0xed9eba14, v9
	v_add_co_u32 v31, null, 0xa9066899, v9
	v_mad_u64_u32 v[3:4], null, 0xd2511f53, v6, 0
	v_xor3_b32 v1, v21, v1, v7
	v_add_co_u32 v32, null, 0x1715609d, v11
	s_clause 0x1
	s_load_b64 s[20:21], s[0:1], 0xf4
	s_load_b128 s[12:15], s[0:1], 0x138
	v_add_co_u32 v33, null, 0xb54cda56, v11
	s_delay_alu instid0(VALU_DEP_4) | instskip(SKIP_2) | instid1(VALU_DEP_3)
	v_xor3_b32 v8, v22, v4, v5
	v_mad_u64_u32 v[4:5], null, 0xd2511f53, v1, 0
	v_add_co_u32 v34, null, 0x646e171e, v9
	v_mad_u64_u32 v[6:7], null, 0xcd9e8d57, v8, 0
	s_load_b256 s[4:11], s[0:1], 0x30
	v_add_co_u32 v30, null, 0x5384540f, v11
	s_delay_alu instid0(VALU_DEP_4) | instskip(SKIP_1) | instid1(VALU_DEP_4)
	v_xor3_b32 v3, v23, v5, v3
	v_add_co_u32 v37, null, 0x1fd5c5a3, v9
	v_xor3_b32 v5, v24, v7, v0
	v_add_co_u32 v35, null, 0xf1bbcdc8, v11
	s_delay_alu instid0(VALU_DEP_4) | instskip(NEXT) | instid1(VALU_DEP_3)
	v_mad_u64_u32 v[0:1], null, 0xcd9e8d57, v3, 0
	v_mad_u64_u32 v[2:3], null, 0xd2511f53, v5, 0
	s_waitcnt lgkmcnt(0)
	v_cvt_f32_f64_e32 v38, s[14:15]
	v_add_co_u32 v39, null, 0xdb3d7428, v9
	s_add_u32 s18, s0, 48
	s_delay_alu instid0(VALU_DEP_4) | instskip(SKIP_1) | instid1(VALU_DEP_4)
	v_xor3_b32 v1, v26, v1, v6
	s_addc_u32 s19, s1, 0
	v_xor3_b32 v7, v27, v3, v4
	s_add_i32 s22, s4, -1
	v_dual_mov_b32 v40, v14 :: v_dual_add_nc_u32 v29, 0x96a522ad, v12
	v_mad_u64_u32 v[3:4], null, 0xd2511f53, v1, 0
	s_delay_alu instid0(VALU_DEP_3) | instskip(SKIP_4) | instid1(VALU_DEP_2)
	v_mad_u64_u32 v[5:6], null, 0xcd9e8d57, v7, 0
	s_cmp_gt_u32 s22, 1
	s_mov_b32 s26, 0
	s_cselect_b32 s11, -1, 0
	s_cmp_lg_u32 s4, 0
	v_xor3_b32 v2, v31, v4, v2
	s_cselect_b32 s27, -1, 0
	s_delay_alu instid0(VALU_DEP_2) | instskip(SKIP_3) | instid1(VALU_DEP_2)
	v_xor3_b32 v4, v32, v6, v0
	s_add_u32 s0, s0, 0xf4
	s_addc_u32 s1, s1, 0
	v_mad_u64_u32 v[0:1], null, 0xcd9e8d57, v2, 0
	v_mad_u64_u32 v[6:7], null, 0xd2511f53, v4, 0
	s_min_u32 s14, s22, 15
	s_cmp_gt_u32 s4, 1
	s_mul_i32 s33, s24, 3
	s_cselect_b32 s4, -1, 0
	s_delay_alu instid0(VALU_DEP_2) | instskip(SKIP_1) | instid1(VALU_DEP_2)
	v_xor3_b32 v4, v33, v1, v5
	s_add_i32 s14, s14, 1
	v_xor3_b32 v5, v34, v7, v3
	s_lshl_b32 s28, s24, 1
	s_and_b32 s29, s14, 3
	v_mad_u64_u32 v[1:2], null, 0xd2511f53, v4, 0
	s_delay_alu instid0(VALU_DEP_2) | instskip(SKIP_3) | instid1(VALU_DEP_2)
	v_mad_u64_u32 v[3:4], null, 0xcd9e8d57, v5, 0
	s_cmp_lg_u32 s22, 2
	s_cselect_b32 s30, -1, 0
	s_and_b32 s31, s14, 28
	v_xor3_b32 v2, v37, v2, v6
	s_cmp_lg_u32 s29, 0
	s_delay_alu instid0(VALU_DEP_2) | instskip(SKIP_1) | instid1(VALU_DEP_2)
	v_xor3_b32 v0, v30, v4, v0
	s_cselect_b32 s34, -1, 0
	v_mad_u64_u32 v[4:5], null, 0xcd9e8d57, v2, 0
	s_delay_alu instid0(VALU_DEP_2) | instskip(NEXT) | instid1(VALU_DEP_2)
	v_mad_u64_u32 v[6:7], null, 0xd2511f53, v0, 0
	v_xor3_b32 v0, v35, v5, v3
	s_delay_alu instid0(VALU_DEP_2) | instskip(NEXT) | instid1(VALU_DEP_2)
	v_xor3_b32 v3, v39, v7, v1
	v_mad_u64_u32 v[7:8], null, 0xd2511f53, v0, 0
	s_delay_alu instid0(VALU_DEP_2) | instskip(NEXT) | instid1(VALU_DEP_2)
	v_mad_u64_u32 v[1:2], null, 0xcd9e8d57, v3, 0
	v_mov_b32_e32 v3, v7
	s_delay_alu instid0(VALU_DEP_2) | instskip(NEXT) | instid1(VALU_DEP_4)
	v_xor3_b32 v0, v2, v4, v28
	v_xor3_b32 v2, v8, v6, v29
	s_branch .LBB160_9
.LBB160_7:                              ;   in Loop: Header=BB160_9 Depth=1
	v_cvt_f32_u32_e32 v0, v3
	s_delay_alu instid0(VALU_DEP_1) | instskip(NEXT) | instid1(VALU_DEP_1)
	v_fmaak_f32 v0, 0x2f800000, v0, 0x2f800000
	v_cmp_lt_f32_e32 vcc_lo, v0, v38
	v_cndmask_b32_e64 v0, 0, 1, vcc_lo
	global_store_b8 v1, v0, s[12:13]
.LBB160_8:                              ;   in Loop: Header=BB160_9 Depth=1
	s_or_b32 exec_lo, exec_lo, s35
	v_add_co_u32 v13, vcc_lo, v13, s25
	v_add_co_ci_u32_e32 v14, vcc_lo, 0, v14, vcc_lo
	v_mov_b32_e32 v7, v15
	v_dual_mov_b32 v0, v4 :: v_dual_mov_b32 v1, v5
	s_delay_alu instid0(VALU_DEP_3) | instskip(NEXT) | instid1(VALU_DEP_3)
	v_cmp_le_i64_e32 vcc_lo, s[2:3], v[13:14]
	v_dual_mov_b32 v2, v6 :: v_dual_mov_b32 v3, v7
	s_waitcnt_vscnt null, 0x0
	s_barrier
	buffer_gl0_inv
	s_or_b32 s26, vcc_lo, s26
	s_delay_alu instid0(SALU_CYCLE_1)
	s_and_not1_b32 exec_lo, exec_lo, s26
	s_cbranch_execz .LBB160_78
.LBB160_9:                              ; =>This Loop Header: Depth=1
                                        ;     Child Loop BB160_24 Depth 2
                                        ;     Child Loop BB160_29 Depth 2
	;; [unrolled: 1-line block ×8, first 2 shown]
	v_add_co_u32 v17, vcc_lo, v17, 1
	s_delay_alu instid0(VALU_DEP_1) | instskip(SKIP_2) | instid1(VALU_DEP_1)
	v_cndmask_b32_e64 v4, 0, 1, vcc_lo
	v_add_co_ci_u32_e32 v18, vcc_lo, 0, v18, vcc_lo
	s_mov_b32 s14, exec_lo
	v_cmp_eq_u32_e32 vcc_lo, 0, v18
	s_delay_alu instid0(VALU_DEP_3) | instskip(NEXT) | instid1(VALU_DEP_1)
	v_cndmask_b32_e32 v4, 0, v4, vcc_lo
	v_add_nc_u32_e32 v36, v4, v36
	s_delay_alu instid0(VALU_DEP_1) | instskip(SKIP_2) | instid1(VALU_DEP_2)
	v_cmp_eq_u32_e32 vcc_lo, 0, v36
	v_mad_u64_u32 v[6:7], null, 0xcd9e8d57, v36, 0
	v_cndmask_b32_e32 v4, 0, v4, vcc_lo
	v_xor3_b32 v9, v7, v11, v18
	s_delay_alu instid0(VALU_DEP_2) | instskip(SKIP_1) | instid1(VALU_DEP_3)
	v_add_nc_u32_e32 v40, v4, v40
	v_mad_u64_u32 v[4:5], null, 0xd2511f53, v17, 0
	v_mad_u64_u32 v[7:8], null, 0xd2511f53, v9, 0
	s_delay_alu instid0(VALU_DEP_2) | instskip(NEXT) | instid1(VALU_DEP_2)
	v_xor_b32_e32 v5, v5, v12
	v_xor3_b32 v8, v19, v8, v4
	s_delay_alu instid0(VALU_DEP_2) | instskip(NEXT) | instid1(VALU_DEP_1)
	v_xor_b32_e32 v5, v40, v5
	v_mad_u64_u32 v[9:10], null, 0xcd9e8d57, v5, 0
	s_delay_alu instid0(VALU_DEP_3) | instskip(NEXT) | instid1(VALU_DEP_2)
	v_mad_u64_u32 v[4:5], null, 0xcd9e8d57, v8, 0
	v_xor3_b32 v6, v20, v10, v6
	s_delay_alu instid0(VALU_DEP_2) | instskip(NEXT) | instid1(VALU_DEP_2)
	v_xor3_b32 v8, v21, v5, v9
	v_mad_u64_u32 v[15:16], null, 0xd2511f53, v6, 0
	s_delay_alu instid0(VALU_DEP_2) | instskip(NEXT) | instid1(VALU_DEP_2)
	v_mad_u64_u32 v[5:6], null, 0xd2511f53, v8, 0
	v_xor3_b32 v9, v22, v16, v7
	s_delay_alu instid0(VALU_DEP_2) | instskip(NEXT) | instid1(VALU_DEP_2)
	v_xor3_b32 v6, v23, v6, v15
	v_mad_u64_u32 v[7:8], null, 0xcd9e8d57, v9, 0
	s_delay_alu instid0(VALU_DEP_1) | instskip(NEXT) | instid1(VALU_DEP_3)
	v_xor3_b32 v4, v24, v8, v4
	v_mad_u64_u32 v[8:9], null, 0xcd9e8d57, v6, 0
	s_delay_alu instid0(VALU_DEP_2) | instskip(NEXT) | instid1(VALU_DEP_2)
	v_mad_u64_u32 v[15:16], null, 0xd2511f53, v4, 0
	v_xor3_b32 v6, v26, v9, v7
	s_delay_alu instid0(VALU_DEP_2) | instskip(NEXT) | instid1(VALU_DEP_2)
	v_xor3_b32 v9, v27, v16, v5
	v_mad_u64_u32 v[4:5], null, 0xd2511f53, v6, 0
	s_delay_alu instid0(VALU_DEP_2) | instskip(NEXT) | instid1(VALU_DEP_2)
	v_mad_u64_u32 v[6:7], null, 0xcd9e8d57, v9, 0
	v_xor3_b32 v5, v31, v5, v15
	s_delay_alu instid0(VALU_DEP_2) | instskip(NEXT) | instid1(VALU_DEP_2)
	;; [unrolled: 6-line block ×6, first 2 shown]
	v_xor3_b32 v4, v6, v7, v28
	v_mov_b32_e32 v6, v10
	v_cmpx_lt_i32_e32 1, v25
	s_xor_b32 s14, exec_lo, s14
	s_cbranch_execnz .LBB160_12
; %bb.10:                               ;   in Loop: Header=BB160_9 Depth=1
	s_and_not1_saveexec_b32 s14, s14
	s_cbranch_execnz .LBB160_17
.LBB160_11:                             ;   in Loop: Header=BB160_9 Depth=1
	s_or_b32 exec_lo, exec_lo, s14
	s_delay_alu instid0(SALU_CYCLE_1)
	s_mov_b32 s35, exec_lo
	v_cmpx_gt_i64_e64 s[16:17], v[13:14]
	s_cbranch_execnz .LBB160_20
	s_branch .LBB160_34
.LBB160_12:                             ;   in Loop: Header=BB160_9 Depth=1
	s_mov_b32 s15, exec_lo
	v_cmpx_lt_i32_e32 2, v25
	s_xor_b32 s15, exec_lo, s15
; %bb.13:                               ;   in Loop: Header=BB160_9 Depth=1
	v_dual_mov_b32 v7, v3 :: v_dual_mov_b32 v8, v4
	v_mov_b32_e32 v9, v5
	s_delay_alu instid0(VALU_DEP_2) | instskip(NEXT) | instid1(VALU_DEP_2)
	v_dual_mov_b32 v0, v7 :: v_dual_mov_b32 v1, v8
	v_dual_mov_b32 v2, v9 :: v_dual_mov_b32 v3, v10
; %bb.14:                               ;   in Loop: Header=BB160_9 Depth=1
	s_and_not1_saveexec_b32 s15, s15
; %bb.15:                               ;   in Loop: Header=BB160_9 Depth=1
	s_delay_alu instid0(VALU_DEP_1)
	v_dual_mov_b32 v0, v2 :: v_dual_mov_b32 v1, v3
	v_dual_mov_b32 v2, v4 :: v_dual_mov_b32 v3, v5
; %bb.16:                               ;   in Loop: Header=BB160_9 Depth=1
	s_or_b32 exec_lo, exec_lo, s15
	s_and_not1_saveexec_b32 s14, s14
	s_cbranch_execz .LBB160_11
.LBB160_17:                             ;   in Loop: Header=BB160_9 Depth=1
	s_mov_b32 s15, exec_lo
	v_cmpx_eq_u32_e32 1, v25
; %bb.18:                               ;   in Loop: Header=BB160_9 Depth=1
	v_dual_mov_b32 v0, v1 :: v_dual_mov_b32 v1, v2
	v_dual_mov_b32 v2, v3 :: v_dual_mov_b32 v3, v4
; %bb.19:                               ;   in Loop: Header=BB160_9 Depth=1
	s_or_b32 exec_lo, exec_lo, s15
	s_delay_alu instid0(SALU_CYCLE_1) | instskip(NEXT) | instid1(SALU_CYCLE_1)
	s_or_b32 exec_lo, exec_lo, s14
	s_mov_b32 s35, exec_lo
	v_cmpx_gt_i64_e64 s[16:17], v[13:14]
	s_cbranch_execz .LBB160_34
.LBB160_20:                             ;   in Loop: Header=BB160_9 Depth=1
	s_and_not1_b32 vcc_lo, exec_lo, s11
	s_cbranch_vccnz .LBB160_26
; %bb.21:                               ;   in Loop: Header=BB160_9 Depth=1
	v_mov_b32_e32 v7, 0
	s_and_not1_b32 vcc_lo, exec_lo, s27
	s_cbranch_vccnz .LBB160_30
; %bb.22:                               ;   in Loop: Header=BB160_9 Depth=1
	s_and_not1_b32 vcc_lo, exec_lo, s30
	s_mov_b32 s14, 0
	s_cbranch_vccnz .LBB160_27
; %bb.23:                               ;   in Loop: Header=BB160_9 Depth=1
	v_dual_mov_b32 v7, 0 :: v_dual_mov_b32 v8, v13
	s_mov_b32 s36, 0
	s_mov_b64 s[14:15], s[18:19]
	s_mov_b64 s[22:23], s[0:1]
.LBB160_24:                             ;   Parent Loop BB160_9 Depth=1
                                        ; =>  This Inner Loop Header: Depth=2
	s_clause 0x1
	s_load_b256 s[40:47], s[14:15], 0x4
	s_load_b128 s[48:51], s[14:15], 0x24
	s_load_b128 s[52:55], s[22:23], 0x0
	s_add_u32 s14, s14, 48
	s_addc_u32 s15, s15, 0
	s_add_i32 s36, s36, 4
	s_add_u32 s22, s22, 16
	s_addc_u32 s23, s23, 0
	s_cmp_lg_u32 s31, s36
	s_waitcnt lgkmcnt(0)
	v_mul_hi_u32 v9, s41, v8
	s_delay_alu instid0(VALU_DEP_1) | instskip(NEXT) | instid1(VALU_DEP_1)
	v_add_nc_u32_e32 v9, v8, v9
	v_lshrrev_b32_e32 v9, s42, v9
	s_delay_alu instid0(VALU_DEP_1) | instskip(SKIP_1) | instid1(VALU_DEP_2)
	v_mul_hi_u32 v10, s44, v9
	v_mul_lo_u32 v42, v9, s40
	v_add_nc_u32_e32 v10, v9, v10
	s_delay_alu instid0(VALU_DEP_2) | instskip(NEXT) | instid1(VALU_DEP_2)
	v_sub_nc_u32_e32 v42, v8, v42
	v_lshrrev_b32_e32 v10, s45, v10
	s_delay_alu instid0(VALU_DEP_2) | instskip(NEXT) | instid1(VALU_DEP_2)
	v_mul_lo_u32 v42, v42, s52
	v_mul_hi_u32 v16, s47, v10
	v_mul_lo_u32 v43, v10, s43
	s_delay_alu instid0(VALU_DEP_2) | instskip(NEXT) | instid1(VALU_DEP_2)
	v_add_nc_u32_e32 v16, v10, v16
	v_sub_nc_u32_e32 v9, v9, v43
	s_delay_alu instid0(VALU_DEP_2) | instskip(NEXT) | instid1(VALU_DEP_2)
	v_lshrrev_b32_e32 v16, s48, v16
	v_mul_lo_u32 v9, v9, s53
	s_delay_alu instid0(VALU_DEP_2) | instskip(NEXT) | instid1(VALU_DEP_2)
	v_mul_hi_u32 v41, s50, v16
	v_add3_u32 v7, v42, v7, v9
	s_delay_alu instid0(VALU_DEP_2) | instskip(NEXT) | instid1(VALU_DEP_1)
	v_add_nc_u32_e32 v41, v16, v41
	v_lshrrev_b32_e32 v8, s51, v41
	v_mul_lo_u32 v41, v16, s46
	s_delay_alu instid0(VALU_DEP_2) | instskip(NEXT) | instid1(VALU_DEP_2)
	v_mul_lo_u32 v44, v8, s49
	v_sub_nc_u32_e32 v10, v10, v41
	s_delay_alu instid0(VALU_DEP_2) | instskip(NEXT) | instid1(VALU_DEP_2)
	v_sub_nc_u32_e32 v16, v16, v44
	v_mul_lo_u32 v10, v10, s54
	s_delay_alu instid0(VALU_DEP_2) | instskip(NEXT) | instid1(VALU_DEP_1)
	v_mul_lo_u32 v16, v16, s55
	v_add3_u32 v7, v10, v7, v16
	s_cbranch_scc1 .LBB160_24
; %bb.25:                               ;   in Loop: Header=BB160_9 Depth=1
	s_mov_b32 s14, s31
	s_and_not1_b32 vcc_lo, exec_lo, s34
	s_cbranch_vccz .LBB160_28
	s_branch .LBB160_30
.LBB160_26:                             ;   in Loop: Header=BB160_9 Depth=1
                                        ; implicit-def: $vgpr7
	s_branch .LBB160_31
.LBB160_27:                             ;   in Loop: Header=BB160_9 Depth=1
	v_mov_b32_e32 v8, v13
	s_and_not1_b32 vcc_lo, exec_lo, s34
	s_cbranch_vccnz .LBB160_30
.LBB160_28:                             ;   in Loop: Header=BB160_9 Depth=1
	s_lshl_b32 s15, s14, 2
	s_mul_i32 s22, s14, 12
	s_add_u32 s14, s0, s15
	s_addc_u32 s15, s1, 0
	s_add_u32 s22, s18, s22
	s_addc_u32 s23, s19, 0
	s_mov_b32 s36, s29
	.p2align	6
.LBB160_29:                             ;   Parent Loop BB160_9 Depth=1
                                        ; =>  This Inner Loop Header: Depth=2
	s_clause 0x1
	s_load_b64 s[38:39], s[22:23], 0x4
	s_load_b32 s37, s[22:23], 0xc
	s_add_u32 s22, s22, 12
	s_addc_u32 s23, s23, 0
	s_waitcnt lgkmcnt(0)
	v_mul_hi_u32 v9, s39, v8
	s_load_b32 s39, s[14:15], 0x0
	s_add_u32 s14, s14, 4
	s_addc_u32 s15, s15, 0
	s_add_i32 s36, s36, -1
	s_delay_alu instid0(SALU_CYCLE_1) | instskip(NEXT) | instid1(VALU_DEP_1)
	s_cmp_lg_u32 s36, 0
	v_add_nc_u32_e32 v9, v8, v9
	s_delay_alu instid0(VALU_DEP_1) | instskip(NEXT) | instid1(VALU_DEP_1)
	v_lshrrev_b32_e32 v16, s37, v9
	v_mul_lo_u32 v9, v16, s38
	s_delay_alu instid0(VALU_DEP_1) | instskip(SKIP_1) | instid1(VALU_DEP_1)
	v_sub_nc_u32_e32 v8, v8, v9
	s_waitcnt lgkmcnt(0)
	v_mad_u64_u32 v[9:10], null, v8, s39, v[7:8]
	s_delay_alu instid0(VALU_DEP_1)
	v_dual_mov_b32 v8, v16 :: v_dual_mov_b32 v7, v9
	s_cbranch_scc1 .LBB160_29
.LBB160_30:                             ;   in Loop: Header=BB160_9 Depth=1
	s_cbranch_execnz .LBB160_33
.LBB160_31:                             ;   in Loop: Header=BB160_9 Depth=1
	v_mul_hi_u32 v7, v13, s6
	s_and_not1_b32 vcc_lo, exec_lo, s4
	s_delay_alu instid0(VALU_DEP_1) | instskip(NEXT) | instid1(VALU_DEP_1)
	v_add_nc_u32_e32 v7, v7, v13
	v_lshrrev_b32_e32 v8, s7, v7
	s_delay_alu instid0(VALU_DEP_1) | instskip(NEXT) | instid1(VALU_DEP_1)
	v_mul_lo_u32 v7, v8, s5
	v_sub_nc_u32_e32 v7, v13, v7
	s_delay_alu instid0(VALU_DEP_1)
	v_mul_lo_u32 v7, v7, s20
	s_cbranch_vccnz .LBB160_33
; %bb.32:                               ;   in Loop: Header=BB160_9 Depth=1
	v_mul_hi_u32 v9, s9, v8
	s_delay_alu instid0(VALU_DEP_1) | instskip(NEXT) | instid1(VALU_DEP_1)
	v_add_nc_u32_e32 v9, v8, v9
	v_lshrrev_b32_e32 v9, s10, v9
	s_delay_alu instid0(VALU_DEP_1) | instskip(NEXT) | instid1(VALU_DEP_1)
	v_mul_lo_u32 v9, v9, s8
	v_sub_nc_u32_e32 v10, v8, v9
	s_delay_alu instid0(VALU_DEP_1) | instskip(NEXT) | instid1(VALU_DEP_1)
	v_mad_u64_u32 v[8:9], null, v10, s21, v[7:8]
	v_mov_b32_e32 v7, v8
.LBB160_33:                             ;   in Loop: Header=BB160_9 Depth=1
	v_cvt_f32_u32_e32 v0, v0
	s_delay_alu instid0(VALU_DEP_1) | instskip(NEXT) | instid1(VALU_DEP_1)
	v_fmaak_f32 v0, 0x2f800000, v0, 0x2f800000
	v_cmp_lt_f32_e32 vcc_lo, v0, v38
	v_cndmask_b32_e64 v0, 0, 1, vcc_lo
	global_store_b8 v7, v0, s[12:13]
.LBB160_34:                             ;   in Loop: Header=BB160_9 Depth=1
	s_or_b32 exec_lo, exec_lo, s35
	v_add_co_u32 v7, vcc_lo, v13, s24
	v_add_co_ci_u32_e32 v8, vcc_lo, 0, v14, vcc_lo
	s_mov_b32 s35, exec_lo
	s_delay_alu instid0(VALU_DEP_1)
	v_cmpx_gt_i64_e64 s[16:17], v[7:8]
	s_cbranch_execz .LBB160_49
; %bb.35:                               ;   in Loop: Header=BB160_9 Depth=1
	s_and_not1_b32 vcc_lo, exec_lo, s11
	s_cbranch_vccnz .LBB160_41
; %bb.36:                               ;   in Loop: Header=BB160_9 Depth=1
	v_mov_b32_e32 v0, 0
	s_and_not1_b32 vcc_lo, exec_lo, s27
	s_cbranch_vccnz .LBB160_45
; %bb.37:                               ;   in Loop: Header=BB160_9 Depth=1
	s_and_not1_b32 vcc_lo, exec_lo, s30
	s_mov_b32 s14, 0
	s_cbranch_vccnz .LBB160_42
; %bb.38:                               ;   in Loop: Header=BB160_9 Depth=1
	v_mov_b32_e32 v0, 0
	v_mov_b32_e32 v8, v7
	s_mov_b32 s36, 0
	s_mov_b64 s[14:15], s[18:19]
	s_mov_b64 s[22:23], s[0:1]
.LBB160_39:                             ;   Parent Loop BB160_9 Depth=1
                                        ; =>  This Inner Loop Header: Depth=2
	s_clause 0x1
	s_load_b256 s[40:47], s[14:15], 0x4
	s_load_b128 s[48:51], s[14:15], 0x24
	s_load_b128 s[52:55], s[22:23], 0x0
	s_add_u32 s14, s14, 48
	s_addc_u32 s15, s15, 0
	s_add_i32 s36, s36, 4
	s_add_u32 s22, s22, 16
	s_addc_u32 s23, s23, 0
	s_cmp_eq_u32 s31, s36
	s_waitcnt lgkmcnt(0)
	v_mul_hi_u32 v9, s41, v8
	s_delay_alu instid0(VALU_DEP_1) | instskip(NEXT) | instid1(VALU_DEP_1)
	v_add_nc_u32_e32 v9, v8, v9
	v_lshrrev_b32_e32 v9, s42, v9
	s_delay_alu instid0(VALU_DEP_1) | instskip(SKIP_1) | instid1(VALU_DEP_2)
	v_mul_hi_u32 v10, s44, v9
	v_mul_lo_u32 v42, v9, s40
	v_add_nc_u32_e32 v10, v9, v10
	s_delay_alu instid0(VALU_DEP_2) | instskip(NEXT) | instid1(VALU_DEP_2)
	v_sub_nc_u32_e32 v42, v8, v42
	v_lshrrev_b32_e32 v10, s45, v10
	s_delay_alu instid0(VALU_DEP_2) | instskip(NEXT) | instid1(VALU_DEP_2)
	v_mul_lo_u32 v42, v42, s52
	v_mul_hi_u32 v16, s47, v10
	v_mul_lo_u32 v43, v10, s43
	s_delay_alu instid0(VALU_DEP_2) | instskip(NEXT) | instid1(VALU_DEP_2)
	v_add_nc_u32_e32 v16, v10, v16
	v_sub_nc_u32_e32 v9, v9, v43
	s_delay_alu instid0(VALU_DEP_2) | instskip(NEXT) | instid1(VALU_DEP_2)
	v_lshrrev_b32_e32 v16, s48, v16
	v_mul_lo_u32 v9, v9, s53
	s_delay_alu instid0(VALU_DEP_2) | instskip(NEXT) | instid1(VALU_DEP_2)
	v_mul_hi_u32 v41, s50, v16
	v_add3_u32 v0, v42, v0, v9
	s_delay_alu instid0(VALU_DEP_2) | instskip(NEXT) | instid1(VALU_DEP_1)
	v_add_nc_u32_e32 v41, v16, v41
	v_lshrrev_b32_e32 v8, s51, v41
	v_mul_lo_u32 v41, v16, s46
	s_delay_alu instid0(VALU_DEP_2) | instskip(NEXT) | instid1(VALU_DEP_2)
	v_mul_lo_u32 v44, v8, s49
	v_sub_nc_u32_e32 v10, v10, v41
	s_delay_alu instid0(VALU_DEP_2) | instskip(NEXT) | instid1(VALU_DEP_2)
	v_sub_nc_u32_e32 v16, v16, v44
	v_mul_lo_u32 v10, v10, s54
	s_delay_alu instid0(VALU_DEP_2) | instskip(NEXT) | instid1(VALU_DEP_1)
	v_mul_lo_u32 v16, v16, s55
	v_add3_u32 v0, v10, v0, v16
	s_cbranch_scc0 .LBB160_39
; %bb.40:                               ;   in Loop: Header=BB160_9 Depth=1
	s_mov_b32 s14, s31
	s_and_not1_b32 vcc_lo, exec_lo, s34
	s_cbranch_vccz .LBB160_43
	s_branch .LBB160_45
.LBB160_41:                             ;   in Loop: Header=BB160_9 Depth=1
                                        ; implicit-def: $vgpr0
	s_branch .LBB160_46
.LBB160_42:                             ;   in Loop: Header=BB160_9 Depth=1
	v_mov_b32_e32 v8, v7
	s_and_not1_b32 vcc_lo, exec_lo, s34
	s_cbranch_vccnz .LBB160_45
.LBB160_43:                             ;   in Loop: Header=BB160_9 Depth=1
	s_lshl_b32 s15, s14, 2
	s_mul_i32 s22, s14, 12
	s_add_u32 s14, s0, s15
	s_addc_u32 s15, s1, 0
	s_add_u32 s22, s18, s22
	s_addc_u32 s23, s19, 0
	s_mov_b32 s36, s29
	.p2align	6
.LBB160_44:                             ;   Parent Loop BB160_9 Depth=1
                                        ; =>  This Inner Loop Header: Depth=2
	s_clause 0x1
	s_load_b64 s[38:39], s[22:23], 0x4
	s_load_b32 s37, s[22:23], 0xc
	s_add_u32 s22, s22, 12
	s_addc_u32 s23, s23, 0
	s_waitcnt lgkmcnt(0)
	v_mul_hi_u32 v9, s39, v8
	s_load_b32 s39, s[14:15], 0x0
	s_add_u32 s14, s14, 4
	s_addc_u32 s15, s15, 0
	s_add_i32 s36, s36, -1
	s_delay_alu instid0(SALU_CYCLE_1) | instskip(NEXT) | instid1(VALU_DEP_1)
	s_cmp_lg_u32 s36, 0
	v_add_nc_u32_e32 v9, v8, v9
	s_delay_alu instid0(VALU_DEP_1) | instskip(NEXT) | instid1(VALU_DEP_1)
	v_lshrrev_b32_e32 v16, s37, v9
	v_mul_lo_u32 v9, v16, s38
	s_delay_alu instid0(VALU_DEP_1) | instskip(SKIP_1) | instid1(VALU_DEP_1)
	v_sub_nc_u32_e32 v8, v8, v9
	s_waitcnt lgkmcnt(0)
	v_mad_u64_u32 v[9:10], null, v8, s39, v[0:1]
	v_mov_b32_e32 v8, v16
	s_delay_alu instid0(VALU_DEP_2)
	v_mov_b32_e32 v0, v9
	s_cbranch_scc1 .LBB160_44
.LBB160_45:                             ;   in Loop: Header=BB160_9 Depth=1
	s_cbranch_execnz .LBB160_48
.LBB160_46:                             ;   in Loop: Header=BB160_9 Depth=1
	v_mul_hi_u32 v0, v7, s6
	s_and_not1_b32 vcc_lo, exec_lo, s4
	s_delay_alu instid0(VALU_DEP_1) | instskip(NEXT) | instid1(VALU_DEP_1)
	v_add_nc_u32_e32 v0, v0, v7
	v_lshrrev_b32_e32 v8, s7, v0
	s_delay_alu instid0(VALU_DEP_1) | instskip(NEXT) | instid1(VALU_DEP_1)
	v_mul_lo_u32 v0, v8, s5
	v_sub_nc_u32_e32 v0, v7, v0
	s_delay_alu instid0(VALU_DEP_1)
	v_mul_lo_u32 v0, v0, s20
	s_cbranch_vccnz .LBB160_48
; %bb.47:                               ;   in Loop: Header=BB160_9 Depth=1
	v_mul_hi_u32 v7, s9, v8
	s_delay_alu instid0(VALU_DEP_1) | instskip(NEXT) | instid1(VALU_DEP_1)
	v_add_nc_u32_e32 v7, v8, v7
	v_lshrrev_b32_e32 v7, s10, v7
	s_delay_alu instid0(VALU_DEP_1) | instskip(NEXT) | instid1(VALU_DEP_1)
	v_mul_lo_u32 v7, v7, s8
	v_sub_nc_u32_e32 v9, v8, v7
	s_delay_alu instid0(VALU_DEP_1) | instskip(NEXT) | instid1(VALU_DEP_1)
	v_mad_u64_u32 v[7:8], null, v9, s21, v[0:1]
	v_mov_b32_e32 v0, v7
.LBB160_48:                             ;   in Loop: Header=BB160_9 Depth=1
	v_cvt_f32_u32_e32 v1, v1
	s_delay_alu instid0(VALU_DEP_1) | instskip(NEXT) | instid1(VALU_DEP_1)
	v_fmaak_f32 v1, 0x2f800000, v1, 0x2f800000
	v_cmp_lt_f32_e32 vcc_lo, v1, v38
	v_cndmask_b32_e64 v1, 0, 1, vcc_lo
	global_store_b8 v0, v1, s[12:13]
.LBB160_49:                             ;   in Loop: Header=BB160_9 Depth=1
	s_or_b32 exec_lo, exec_lo, s35
	v_add_co_u32 v0, vcc_lo, v13, s28
	v_add_co_ci_u32_e32 v1, vcc_lo, 0, v14, vcc_lo
	s_mov_b32 s35, exec_lo
	s_delay_alu instid0(VALU_DEP_1)
	v_cmpx_gt_i64_e64 s[16:17], v[0:1]
	s_cbranch_execz .LBB160_64
; %bb.50:                               ;   in Loop: Header=BB160_9 Depth=1
	s_and_not1_b32 vcc_lo, exec_lo, s11
	s_cbranch_vccnz .LBB160_56
; %bb.51:                               ;   in Loop: Header=BB160_9 Depth=1
	v_mov_b32_e32 v1, 0
	s_and_not1_b32 vcc_lo, exec_lo, s27
	s_cbranch_vccnz .LBB160_60
; %bb.52:                               ;   in Loop: Header=BB160_9 Depth=1
	s_and_not1_b32 vcc_lo, exec_lo, s30
	s_mov_b32 s14, 0
	s_cbranch_vccnz .LBB160_57
; %bb.53:                               ;   in Loop: Header=BB160_9 Depth=1
	v_mov_b32_e32 v1, 0
	v_mov_b32_e32 v7, v0
	s_mov_b32 s36, 0
	s_mov_b64 s[14:15], s[18:19]
	s_mov_b64 s[22:23], s[0:1]
.LBB160_54:                             ;   Parent Loop BB160_9 Depth=1
                                        ; =>  This Inner Loop Header: Depth=2
	s_clause 0x1
	s_load_b256 s[40:47], s[14:15], 0x4
	s_load_b128 s[48:51], s[14:15], 0x24
	s_load_b128 s[52:55], s[22:23], 0x0
	s_add_u32 s14, s14, 48
	s_addc_u32 s15, s15, 0
	s_add_i32 s36, s36, 4
	s_add_u32 s22, s22, 16
	s_addc_u32 s23, s23, 0
	s_cmp_eq_u32 s31, s36
	s_waitcnt lgkmcnt(0)
	v_mul_hi_u32 v8, s41, v7
	s_delay_alu instid0(VALU_DEP_1) | instskip(NEXT) | instid1(VALU_DEP_1)
	v_add_nc_u32_e32 v8, v7, v8
	v_lshrrev_b32_e32 v8, s42, v8
	s_delay_alu instid0(VALU_DEP_1) | instskip(SKIP_1) | instid1(VALU_DEP_2)
	v_mul_hi_u32 v9, s44, v8
	v_mul_lo_u32 v41, v8, s40
	v_add_nc_u32_e32 v9, v8, v9
	s_delay_alu instid0(VALU_DEP_2) | instskip(NEXT) | instid1(VALU_DEP_2)
	v_sub_nc_u32_e32 v41, v7, v41
	v_lshrrev_b32_e32 v9, s45, v9
	s_delay_alu instid0(VALU_DEP_2) | instskip(NEXT) | instid1(VALU_DEP_2)
	v_mul_lo_u32 v41, v41, s52
	v_mul_hi_u32 v10, s47, v9
	v_mul_lo_u32 v42, v9, s43
	s_delay_alu instid0(VALU_DEP_2) | instskip(NEXT) | instid1(VALU_DEP_2)
	v_add_nc_u32_e32 v10, v9, v10
	v_sub_nc_u32_e32 v8, v8, v42
	s_delay_alu instid0(VALU_DEP_2) | instskip(NEXT) | instid1(VALU_DEP_2)
	v_lshrrev_b32_e32 v10, s48, v10
	v_mul_lo_u32 v8, v8, s53
	s_delay_alu instid0(VALU_DEP_2) | instskip(NEXT) | instid1(VALU_DEP_2)
	v_mul_hi_u32 v16, s50, v10
	v_add3_u32 v1, v41, v1, v8
	s_delay_alu instid0(VALU_DEP_2) | instskip(NEXT) | instid1(VALU_DEP_1)
	v_add_nc_u32_e32 v16, v10, v16
	v_lshrrev_b32_e32 v7, s51, v16
	v_mul_lo_u32 v16, v10, s46
	s_delay_alu instid0(VALU_DEP_2) | instskip(NEXT) | instid1(VALU_DEP_2)
	v_mul_lo_u32 v43, v7, s49
	v_sub_nc_u32_e32 v9, v9, v16
	s_delay_alu instid0(VALU_DEP_2) | instskip(NEXT) | instid1(VALU_DEP_2)
	v_sub_nc_u32_e32 v10, v10, v43
	v_mul_lo_u32 v9, v9, s54
	s_delay_alu instid0(VALU_DEP_2) | instskip(NEXT) | instid1(VALU_DEP_1)
	v_mul_lo_u32 v10, v10, s55
	v_add3_u32 v1, v9, v1, v10
	s_cbranch_scc0 .LBB160_54
; %bb.55:                               ;   in Loop: Header=BB160_9 Depth=1
	s_mov_b32 s14, s31
	s_and_not1_b32 vcc_lo, exec_lo, s34
	s_cbranch_vccz .LBB160_58
	s_branch .LBB160_60
.LBB160_56:                             ;   in Loop: Header=BB160_9 Depth=1
                                        ; implicit-def: $vgpr1
	s_branch .LBB160_61
.LBB160_57:                             ;   in Loop: Header=BB160_9 Depth=1
	v_mov_b32_e32 v7, v0
	s_and_not1_b32 vcc_lo, exec_lo, s34
	s_cbranch_vccnz .LBB160_60
.LBB160_58:                             ;   in Loop: Header=BB160_9 Depth=1
	s_lshl_b32 s15, s14, 2
	s_mul_i32 s22, s14, 12
	s_add_u32 s14, s0, s15
	s_addc_u32 s15, s1, 0
	s_add_u32 s22, s18, s22
	s_addc_u32 s23, s19, 0
	s_mov_b32 s36, s29
	.p2align	6
.LBB160_59:                             ;   Parent Loop BB160_9 Depth=1
                                        ; =>  This Inner Loop Header: Depth=2
	s_clause 0x1
	s_load_b64 s[38:39], s[22:23], 0x4
	s_load_b32 s37, s[22:23], 0xc
	s_add_u32 s22, s22, 12
	s_addc_u32 s23, s23, 0
	s_waitcnt lgkmcnt(0)
	v_mul_hi_u32 v8, s39, v7
	s_load_b32 s39, s[14:15], 0x0
	s_add_u32 s14, s14, 4
	s_addc_u32 s15, s15, 0
	s_add_i32 s36, s36, -1
	s_delay_alu instid0(SALU_CYCLE_1) | instskip(NEXT) | instid1(VALU_DEP_1)
	s_cmp_lg_u32 s36, 0
	v_add_nc_u32_e32 v8, v7, v8
	s_delay_alu instid0(VALU_DEP_1) | instskip(NEXT) | instid1(VALU_DEP_1)
	v_lshrrev_b32_e32 v10, s37, v8
	v_mul_lo_u32 v8, v10, s38
	s_delay_alu instid0(VALU_DEP_1) | instskip(SKIP_1) | instid1(VALU_DEP_1)
	v_sub_nc_u32_e32 v7, v7, v8
	s_waitcnt lgkmcnt(0)
	v_mad_u64_u32 v[8:9], null, v7, s39, v[1:2]
	v_mov_b32_e32 v7, v10
	s_delay_alu instid0(VALU_DEP_2)
	v_mov_b32_e32 v1, v8
	s_cbranch_scc1 .LBB160_59
.LBB160_60:                             ;   in Loop: Header=BB160_9 Depth=1
	s_cbranch_execnz .LBB160_63
.LBB160_61:                             ;   in Loop: Header=BB160_9 Depth=1
	v_mul_hi_u32 v1, v0, s6
	s_and_not1_b32 vcc_lo, exec_lo, s4
	s_delay_alu instid0(VALU_DEP_1) | instskip(NEXT) | instid1(VALU_DEP_1)
	v_add_nc_u32_e32 v1, v1, v0
	v_lshrrev_b32_e32 v7, s7, v1
	s_delay_alu instid0(VALU_DEP_1) | instskip(NEXT) | instid1(VALU_DEP_1)
	v_mul_lo_u32 v1, v7, s5
	v_sub_nc_u32_e32 v0, v0, v1
	s_delay_alu instid0(VALU_DEP_1)
	v_mul_lo_u32 v1, v0, s20
	s_cbranch_vccnz .LBB160_63
; %bb.62:                               ;   in Loop: Header=BB160_9 Depth=1
	v_mul_hi_u32 v0, s9, v7
	s_delay_alu instid0(VALU_DEP_1) | instskip(NEXT) | instid1(VALU_DEP_1)
	v_add_nc_u32_e32 v0, v7, v0
	v_lshrrev_b32_e32 v0, s10, v0
	s_delay_alu instid0(VALU_DEP_1) | instskip(NEXT) | instid1(VALU_DEP_1)
	v_mul_lo_u32 v0, v0, s8
	v_sub_nc_u32_e32 v0, v7, v0
	s_delay_alu instid0(VALU_DEP_1) | instskip(NEXT) | instid1(VALU_DEP_1)
	v_mad_u64_u32 v[7:8], null, v0, s21, v[1:2]
	v_mov_b32_e32 v1, v7
.LBB160_63:                             ;   in Loop: Header=BB160_9 Depth=1
	v_cvt_f32_u32_e32 v0, v2
	s_delay_alu instid0(VALU_DEP_1) | instskip(NEXT) | instid1(VALU_DEP_1)
	v_fmaak_f32 v0, 0x2f800000, v0, 0x2f800000
	v_cmp_lt_f32_e32 vcc_lo, v0, v38
	v_cndmask_b32_e64 v0, 0, 1, vcc_lo
	global_store_b8 v1, v0, s[12:13]
.LBB160_64:                             ;   in Loop: Header=BB160_9 Depth=1
	s_or_b32 exec_lo, exec_lo, s35
	v_add_co_u32 v0, vcc_lo, v13, s33
	v_add_co_ci_u32_e32 v1, vcc_lo, 0, v14, vcc_lo
	s_mov_b32 s35, exec_lo
	s_delay_alu instid0(VALU_DEP_1)
	v_cmpx_gt_i64_e64 s[16:17], v[0:1]
	s_cbranch_execz .LBB160_8
; %bb.65:                               ;   in Loop: Header=BB160_9 Depth=1
	s_and_not1_b32 vcc_lo, exec_lo, s11
	s_cbranch_vccnz .LBB160_71
; %bb.66:                               ;   in Loop: Header=BB160_9 Depth=1
	v_mov_b32_e32 v1, 0
	s_and_not1_b32 vcc_lo, exec_lo, s27
	s_cbranch_vccnz .LBB160_75
; %bb.67:                               ;   in Loop: Header=BB160_9 Depth=1
	s_and_not1_b32 vcc_lo, exec_lo, s30
	s_mov_b32 s14, 0
	s_cbranch_vccnz .LBB160_72
; %bb.68:                               ;   in Loop: Header=BB160_9 Depth=1
	v_dual_mov_b32 v1, 0 :: v_dual_mov_b32 v2, v0
	s_mov_b32 s36, 0
	s_mov_b64 s[14:15], s[18:19]
	s_mov_b64 s[22:23], s[0:1]
.LBB160_69:                             ;   Parent Loop BB160_9 Depth=1
                                        ; =>  This Inner Loop Header: Depth=2
	s_clause 0x1
	s_load_b256 s[40:47], s[14:15], 0x4
	s_load_b128 s[48:51], s[14:15], 0x24
	s_load_b128 s[52:55], s[22:23], 0x0
	s_add_u32 s14, s14, 48
	s_addc_u32 s15, s15, 0
	s_add_i32 s36, s36, 4
	s_add_u32 s22, s22, 16
	s_addc_u32 s23, s23, 0
	s_cmp_eq_u32 s31, s36
	s_waitcnt lgkmcnt(0)
	v_mul_hi_u32 v7, s41, v2
	s_delay_alu instid0(VALU_DEP_1) | instskip(NEXT) | instid1(VALU_DEP_1)
	v_add_nc_u32_e32 v7, v2, v7
	v_lshrrev_b32_e32 v7, s42, v7
	s_delay_alu instid0(VALU_DEP_1) | instskip(SKIP_1) | instid1(VALU_DEP_2)
	v_mul_hi_u32 v8, s44, v7
	v_mul_lo_u32 v16, v7, s40
	v_add_nc_u32_e32 v8, v7, v8
	s_delay_alu instid0(VALU_DEP_2) | instskip(NEXT) | instid1(VALU_DEP_2)
	v_sub_nc_u32_e32 v16, v2, v16
	v_lshrrev_b32_e32 v8, s45, v8
	s_delay_alu instid0(VALU_DEP_2) | instskip(NEXT) | instid1(VALU_DEP_2)
	v_mul_lo_u32 v16, v16, s52
	v_mul_hi_u32 v9, s47, v8
	v_mul_lo_u32 v41, v8, s43
	s_delay_alu instid0(VALU_DEP_2) | instskip(NEXT) | instid1(VALU_DEP_2)
	v_add_nc_u32_e32 v9, v8, v9
	v_sub_nc_u32_e32 v7, v7, v41
	s_delay_alu instid0(VALU_DEP_2) | instskip(NEXT) | instid1(VALU_DEP_2)
	v_lshrrev_b32_e32 v9, s48, v9
	v_mul_lo_u32 v7, v7, s53
	s_delay_alu instid0(VALU_DEP_2) | instskip(NEXT) | instid1(VALU_DEP_2)
	v_mul_hi_u32 v10, s50, v9
	v_add3_u32 v1, v16, v1, v7
	s_delay_alu instid0(VALU_DEP_2) | instskip(NEXT) | instid1(VALU_DEP_1)
	v_add_nc_u32_e32 v10, v9, v10
	v_lshrrev_b32_e32 v2, s51, v10
	v_mul_lo_u32 v10, v9, s46
	s_delay_alu instid0(VALU_DEP_2) | instskip(NEXT) | instid1(VALU_DEP_2)
	v_mul_lo_u32 v42, v2, s49
	v_sub_nc_u32_e32 v8, v8, v10
	s_delay_alu instid0(VALU_DEP_2) | instskip(NEXT) | instid1(VALU_DEP_2)
	v_sub_nc_u32_e32 v9, v9, v42
	v_mul_lo_u32 v8, v8, s54
	s_delay_alu instid0(VALU_DEP_2) | instskip(NEXT) | instid1(VALU_DEP_1)
	v_mul_lo_u32 v9, v9, s55
	v_add3_u32 v1, v8, v1, v9
	s_cbranch_scc0 .LBB160_69
; %bb.70:                               ;   in Loop: Header=BB160_9 Depth=1
	s_mov_b32 s14, s31
	s_and_not1_b32 vcc_lo, exec_lo, s34
	s_cbranch_vccz .LBB160_73
	s_branch .LBB160_75
.LBB160_71:                             ;   in Loop: Header=BB160_9 Depth=1
                                        ; implicit-def: $vgpr1
	s_branch .LBB160_76
.LBB160_72:                             ;   in Loop: Header=BB160_9 Depth=1
	v_mov_b32_e32 v2, v0
	s_and_not1_b32 vcc_lo, exec_lo, s34
	s_cbranch_vccnz .LBB160_75
.LBB160_73:                             ;   in Loop: Header=BB160_9 Depth=1
	s_lshl_b32 s15, s14, 2
	s_mul_i32 s22, s14, 12
	s_add_u32 s14, s0, s15
	s_addc_u32 s15, s1, 0
	s_add_u32 s22, s18, s22
	s_addc_u32 s23, s19, 0
	s_mov_b32 s36, s29
	.p2align	6
.LBB160_74:                             ;   Parent Loop BB160_9 Depth=1
                                        ; =>  This Inner Loop Header: Depth=2
	s_clause 0x1
	s_load_b64 s[38:39], s[22:23], 0x4
	s_load_b32 s37, s[22:23], 0xc
	s_add_u32 s22, s22, 12
	s_addc_u32 s23, s23, 0
	s_waitcnt lgkmcnt(0)
	v_mul_hi_u32 v7, s39, v2
	s_load_b32 s39, s[14:15], 0x0
	s_add_u32 s14, s14, 4
	s_addc_u32 s15, s15, 0
	s_add_i32 s36, s36, -1
	s_delay_alu instid0(SALU_CYCLE_1) | instskip(NEXT) | instid1(VALU_DEP_1)
	s_cmp_lg_u32 s36, 0
	v_add_nc_u32_e32 v7, v2, v7
	s_delay_alu instid0(VALU_DEP_1) | instskip(NEXT) | instid1(VALU_DEP_1)
	v_lshrrev_b32_e32 v9, s37, v7
	v_mul_lo_u32 v7, v9, s38
	s_delay_alu instid0(VALU_DEP_1) | instskip(SKIP_1) | instid1(VALU_DEP_1)
	v_sub_nc_u32_e32 v2, v2, v7
	s_waitcnt lgkmcnt(0)
	v_mad_u64_u32 v[7:8], null, v2, s39, v[1:2]
	s_delay_alu instid0(VALU_DEP_1)
	v_dual_mov_b32 v2, v9 :: v_dual_mov_b32 v1, v7
	s_cbranch_scc1 .LBB160_74
.LBB160_75:                             ;   in Loop: Header=BB160_9 Depth=1
	s_cbranch_execnz .LBB160_7
.LBB160_76:                             ;   in Loop: Header=BB160_9 Depth=1
	v_mul_hi_u32 v1, v0, s6
	s_and_not1_b32 vcc_lo, exec_lo, s4
	s_delay_alu instid0(VALU_DEP_1) | instskip(NEXT) | instid1(VALU_DEP_1)
	v_add_nc_u32_e32 v1, v1, v0
	v_lshrrev_b32_e32 v2, s7, v1
	s_delay_alu instid0(VALU_DEP_1) | instskip(NEXT) | instid1(VALU_DEP_1)
	v_mul_lo_u32 v1, v2, s5
	v_sub_nc_u32_e32 v0, v0, v1
	s_delay_alu instid0(VALU_DEP_1)
	v_mul_lo_u32 v1, v0, s20
	s_cbranch_vccnz .LBB160_7
; %bb.77:                               ;   in Loop: Header=BB160_9 Depth=1
	v_mul_hi_u32 v0, s9, v2
	s_delay_alu instid0(VALU_DEP_1) | instskip(NEXT) | instid1(VALU_DEP_1)
	v_add_nc_u32_e32 v0, v2, v0
	v_lshrrev_b32_e32 v0, s10, v0
	s_delay_alu instid0(VALU_DEP_1) | instskip(NEXT) | instid1(VALU_DEP_1)
	v_mul_lo_u32 v0, v0, s8
	v_sub_nc_u32_e32 v0, v2, v0
	s_delay_alu instid0(VALU_DEP_1) | instskip(NEXT) | instid1(VALU_DEP_1)
	v_mad_u64_u32 v[7:8], null, v0, s21, v[1:2]
	v_mov_b32_e32 v1, v7
	s_branch .LBB160_7
.LBB160_78:
	s_endpgm
.LBB160_79:
                                        ; implicit-def: $sgpr2_sgpr3
	s_branch .LBB160_4
	.section	.rodata,"a",@progbits
	.p2align	6, 0x0
	.amdhsa_kernel _ZN2at6native12_GLOBAL__N_143distribution_elementwise_grid_stride_kernelIfLi4EZNS0_9templates4cuda21uniform_and_transformIbfPNS_17CUDAGeneratorImplEZZZNS4_16bernoulli_kernelIS7_EEvRNS_18TensorIteratorBaseEdT_ENKUlvE_clEvENKUlvE8_clEvEUlfE_EEvSA_T1_T2_EUlP25hiprandStatePhilox4_32_10E0_ZNS1_27distribution_nullary_kernelIbf15HIP_vector_typeIfLj4EES7_SJ_SE_EEvSA_SG_RKT3_T4_EUlifE0_EEvlNS_15PhiloxCudaStateESF_SG_
		.amdhsa_group_segment_fixed_size 0
		.amdhsa_private_segment_fixed_size 0
		.amdhsa_kernarg_size 584
		.amdhsa_user_sgpr_count 15
		.amdhsa_user_sgpr_dispatch_ptr 0
		.amdhsa_user_sgpr_queue_ptr 0
		.amdhsa_user_sgpr_kernarg_segment_ptr 1
		.amdhsa_user_sgpr_dispatch_id 0
		.amdhsa_user_sgpr_private_segment_size 0
		.amdhsa_wavefront_size32 1
		.amdhsa_uses_dynamic_stack 0
		.amdhsa_enable_private_segment 0
		.amdhsa_system_sgpr_workgroup_id_x 1
		.amdhsa_system_sgpr_workgroup_id_y 0
		.amdhsa_system_sgpr_workgroup_id_z 0
		.amdhsa_system_sgpr_workgroup_info 0
		.amdhsa_system_vgpr_workitem_id 0
		.amdhsa_next_free_vgpr 45
		.amdhsa_next_free_sgpr 56
		.amdhsa_reserve_vcc 1
		.amdhsa_float_round_mode_32 0
		.amdhsa_float_round_mode_16_64 0
		.amdhsa_float_denorm_mode_32 3
		.amdhsa_float_denorm_mode_16_64 3
		.amdhsa_dx10_clamp 1
		.amdhsa_ieee_mode 1
		.amdhsa_fp16_overflow 0
		.amdhsa_workgroup_processor_mode 1
		.amdhsa_memory_ordered 1
		.amdhsa_forward_progress 0
		.amdhsa_shared_vgpr_count 0
		.amdhsa_exception_fp_ieee_invalid_op 0
		.amdhsa_exception_fp_denorm_src 0
		.amdhsa_exception_fp_ieee_div_zero 0
		.amdhsa_exception_fp_ieee_overflow 0
		.amdhsa_exception_fp_ieee_underflow 0
		.amdhsa_exception_fp_ieee_inexact 0
		.amdhsa_exception_int_div_zero 0
	.end_amdhsa_kernel
	.section	.text._ZN2at6native12_GLOBAL__N_143distribution_elementwise_grid_stride_kernelIfLi4EZNS0_9templates4cuda21uniform_and_transformIbfPNS_17CUDAGeneratorImplEZZZNS4_16bernoulli_kernelIS7_EEvRNS_18TensorIteratorBaseEdT_ENKUlvE_clEvENKUlvE8_clEvEUlfE_EEvSA_T1_T2_EUlP25hiprandStatePhilox4_32_10E0_ZNS1_27distribution_nullary_kernelIbf15HIP_vector_typeIfLj4EES7_SJ_SE_EEvSA_SG_RKT3_T4_EUlifE0_EEvlNS_15PhiloxCudaStateESF_SG_,"axG",@progbits,_ZN2at6native12_GLOBAL__N_143distribution_elementwise_grid_stride_kernelIfLi4EZNS0_9templates4cuda21uniform_and_transformIbfPNS_17CUDAGeneratorImplEZZZNS4_16bernoulli_kernelIS7_EEvRNS_18TensorIteratorBaseEdT_ENKUlvE_clEvENKUlvE8_clEvEUlfE_EEvSA_T1_T2_EUlP25hiprandStatePhilox4_32_10E0_ZNS1_27distribution_nullary_kernelIbf15HIP_vector_typeIfLj4EES7_SJ_SE_EEvSA_SG_RKT3_T4_EUlifE0_EEvlNS_15PhiloxCudaStateESF_SG_,comdat
.Lfunc_end160:
	.size	_ZN2at6native12_GLOBAL__N_143distribution_elementwise_grid_stride_kernelIfLi4EZNS0_9templates4cuda21uniform_and_transformIbfPNS_17CUDAGeneratorImplEZZZNS4_16bernoulli_kernelIS7_EEvRNS_18TensorIteratorBaseEdT_ENKUlvE_clEvENKUlvE8_clEvEUlfE_EEvSA_T1_T2_EUlP25hiprandStatePhilox4_32_10E0_ZNS1_27distribution_nullary_kernelIbf15HIP_vector_typeIfLj4EES7_SJ_SE_EEvSA_SG_RKT3_T4_EUlifE0_EEvlNS_15PhiloxCudaStateESF_SG_, .Lfunc_end160-_ZN2at6native12_GLOBAL__N_143distribution_elementwise_grid_stride_kernelIfLi4EZNS0_9templates4cuda21uniform_and_transformIbfPNS_17CUDAGeneratorImplEZZZNS4_16bernoulli_kernelIS7_EEvRNS_18TensorIteratorBaseEdT_ENKUlvE_clEvENKUlvE8_clEvEUlfE_EEvSA_T1_T2_EUlP25hiprandStatePhilox4_32_10E0_ZNS1_27distribution_nullary_kernelIbf15HIP_vector_typeIfLj4EES7_SJ_SE_EEvSA_SG_RKT3_T4_EUlifE0_EEvlNS_15PhiloxCudaStateESF_SG_
                                        ; -- End function
	.section	.AMDGPU.csdata,"",@progbits
; Kernel info:
; codeLenInByte = 5256
; NumSgprs: 58
; NumVgprs: 45
; ScratchSize: 0
; MemoryBound: 0
; FloatMode: 240
; IeeeMode: 1
; LDSByteSize: 0 bytes/workgroup (compile time only)
; SGPRBlocks: 7
; VGPRBlocks: 5
; NumSGPRsForWavesPerEU: 58
; NumVGPRsForWavesPerEU: 45
; Occupancy: 16
; WaveLimiterHint : 1
; COMPUTE_PGM_RSRC2:SCRATCH_EN: 0
; COMPUTE_PGM_RSRC2:USER_SGPR: 15
; COMPUTE_PGM_RSRC2:TRAP_HANDLER: 0
; COMPUTE_PGM_RSRC2:TGID_X_EN: 1
; COMPUTE_PGM_RSRC2:TGID_Y_EN: 0
; COMPUTE_PGM_RSRC2:TGID_Z_EN: 0
; COMPUTE_PGM_RSRC2:TIDIG_COMP_CNT: 0
	.text
	.p2alignl 7, 3214868480
	.fill 96, 4, 3214868480
	.type	__hip_cuid_2ff9a753410078a4,@object ; @__hip_cuid_2ff9a753410078a4
	.section	.bss,"aw",@nobits
	.globl	__hip_cuid_2ff9a753410078a4
__hip_cuid_2ff9a753410078a4:
	.byte	0                               ; 0x0
	.size	__hip_cuid_2ff9a753410078a4, 1

	.ident	"AMD clang version 19.0.0git (https://github.com/RadeonOpenCompute/llvm-project roc-6.4.0 25133 c7fe45cf4b819c5991fe208aaa96edf142730f1d)"
	.section	".note.GNU-stack","",@progbits
	.addrsig
	.addrsig_sym __hip_cuid_2ff9a753410078a4
	.amdgpu_metadata
---
amdhsa.kernels:
  - .args:
      - .offset:         0
        .size:           216
        .value_kind:     by_value
      - .offset:         216
        .size:           216
        .value_kind:     by_value
      - .offset:         432
        .size:           4
        .value_kind:     by_value
      - .offset:         440
        .size:           32
        .value_kind:     by_value
      - .offset:         472
        .size:           4
        .value_kind:     hidden_block_count_x
      - .offset:         476
        .size:           4
        .value_kind:     hidden_block_count_y
      - .offset:         480
        .size:           4
        .value_kind:     hidden_block_count_z
      - .offset:         484
        .size:           2
        .value_kind:     hidden_group_size_x
      - .offset:         486
        .size:           2
        .value_kind:     hidden_group_size_y
      - .offset:         488
        .size:           2
        .value_kind:     hidden_group_size_z
      - .offset:         490
        .size:           2
        .value_kind:     hidden_remainder_x
      - .offset:         492
        .size:           2
        .value_kind:     hidden_remainder_y
      - .offset:         494
        .size:           2
        .value_kind:     hidden_remainder_z
      - .offset:         512
        .size:           8
        .value_kind:     hidden_global_offset_x
      - .offset:         520
        .size:           8
        .value_kind:     hidden_global_offset_y
      - .offset:         528
        .size:           8
        .value_kind:     hidden_global_offset_z
      - .offset:         536
        .size:           2
        .value_kind:     hidden_grid_dims
    .group_segment_fixed_size: 0
    .kernarg_segment_align: 8
    .kernarg_segment_size: 728
    .language:       OpenCL C
    .language_version:
      - 2
      - 0
    .max_flat_workgroup_size: 512
    .name:           _ZN2at4cuda12_GLOBAL__N_121kernelPointwiseApply2IZNS_6native9templates4cuda28bernoulli_tensor_cuda_kernelIddEEvRKNS_10TensorBaseES9_NS_15PhiloxCudaStateEEUliRdSB_SB_SB_RKdSD_SD_SD_E_dSC_jLi1ELi1ELi4ELi512ELi2EEEvNS0_6detail10TensorInfoIT0_T2_EENSG_IT1_SI_EESI_T_
    .private_segment_fixed_size: 0
    .sgpr_count:     39
    .sgpr_spill_count: 0
    .symbol:         _ZN2at4cuda12_GLOBAL__N_121kernelPointwiseApply2IZNS_6native9templates4cuda28bernoulli_tensor_cuda_kernelIddEEvRKNS_10TensorBaseES9_NS_15PhiloxCudaStateEEUliRdSB_SB_SB_RKdSD_SD_SD_E_dSC_jLi1ELi1ELi4ELi512ELi2EEEvNS0_6detail10TensorInfoIT0_T2_EENSG_IT1_SI_EESI_T_.kd
    .uniform_work_group_size: 1
    .uses_dynamic_stack: false
    .vgpr_count:     41
    .vgpr_spill_count: 0
    .wavefront_size: 32
    .workgroup_processor_mode: 1
  - .args:
      - .offset:         0
        .size:           216
        .value_kind:     by_value
      - .offset:         216
        .size:           216
        .value_kind:     by_value
      - .offset:         432
        .size:           4
        .value_kind:     by_value
      - .offset:         440
        .size:           32
        .value_kind:     by_value
      - .offset:         472
        .size:           4
        .value_kind:     hidden_block_count_x
      - .offset:         476
        .size:           4
        .value_kind:     hidden_block_count_y
      - .offset:         480
        .size:           4
        .value_kind:     hidden_block_count_z
      - .offset:         484
        .size:           2
        .value_kind:     hidden_group_size_x
      - .offset:         486
        .size:           2
        .value_kind:     hidden_group_size_y
      - .offset:         488
        .size:           2
        .value_kind:     hidden_group_size_z
      - .offset:         490
        .size:           2
        .value_kind:     hidden_remainder_x
      - .offset:         492
        .size:           2
        .value_kind:     hidden_remainder_y
      - .offset:         494
        .size:           2
        .value_kind:     hidden_remainder_z
      - .offset:         512
        .size:           8
        .value_kind:     hidden_global_offset_x
      - .offset:         520
        .size:           8
        .value_kind:     hidden_global_offset_y
      - .offset:         528
        .size:           8
        .value_kind:     hidden_global_offset_z
      - .offset:         536
        .size:           2
        .value_kind:     hidden_grid_dims
    .group_segment_fixed_size: 0
    .kernarg_segment_align: 8
    .kernarg_segment_size: 728
    .language:       OpenCL C
    .language_version:
      - 2
      - 0
    .max_flat_workgroup_size: 512
    .name:           _ZN2at4cuda12_GLOBAL__N_121kernelPointwiseApply2IZNS_6native9templates4cuda28bernoulli_tensor_cuda_kernelIddEEvRKNS_10TensorBaseES9_NS_15PhiloxCudaStateEEUliRdSB_SB_SB_RKdSD_SD_SD_E_dSC_jLi1ELi2ELi4ELi512ELi2EEEvNS0_6detail10TensorInfoIT0_T2_EENSG_IT1_SI_EESI_T_
    .private_segment_fixed_size: 0
    .sgpr_count:     42
    .sgpr_spill_count: 0
    .symbol:         _ZN2at4cuda12_GLOBAL__N_121kernelPointwiseApply2IZNS_6native9templates4cuda28bernoulli_tensor_cuda_kernelIddEEvRKNS_10TensorBaseES9_NS_15PhiloxCudaStateEEUliRdSB_SB_SB_RKdSD_SD_SD_E_dSC_jLi1ELi2ELi4ELi512ELi2EEEvNS0_6detail10TensorInfoIT0_T2_EENSG_IT1_SI_EESI_T_.kd
    .uniform_work_group_size: 1
    .uses_dynamic_stack: false
    .vgpr_count:     46
    .vgpr_spill_count: 0
    .wavefront_size: 32
    .workgroup_processor_mode: 1
  - .args:
      - .offset:         0
        .size:           216
        .value_kind:     by_value
      - .offset:         216
        .size:           216
        .value_kind:     by_value
      - .offset:         432
        .size:           4
        .value_kind:     by_value
      - .offset:         440
        .size:           32
        .value_kind:     by_value
      - .offset:         472
        .size:           4
        .value_kind:     hidden_block_count_x
      - .offset:         476
        .size:           4
        .value_kind:     hidden_block_count_y
      - .offset:         480
        .size:           4
        .value_kind:     hidden_block_count_z
      - .offset:         484
        .size:           2
        .value_kind:     hidden_group_size_x
      - .offset:         486
        .size:           2
        .value_kind:     hidden_group_size_y
      - .offset:         488
        .size:           2
        .value_kind:     hidden_group_size_z
      - .offset:         490
        .size:           2
        .value_kind:     hidden_remainder_x
      - .offset:         492
        .size:           2
        .value_kind:     hidden_remainder_y
      - .offset:         494
        .size:           2
        .value_kind:     hidden_remainder_z
      - .offset:         512
        .size:           8
        .value_kind:     hidden_global_offset_x
      - .offset:         520
        .size:           8
        .value_kind:     hidden_global_offset_y
      - .offset:         528
        .size:           8
        .value_kind:     hidden_global_offset_z
      - .offset:         536
        .size:           2
        .value_kind:     hidden_grid_dims
    .group_segment_fixed_size: 0
    .kernarg_segment_align: 8
    .kernarg_segment_size: 728
    .language:       OpenCL C
    .language_version:
      - 2
      - 0
    .max_flat_workgroup_size: 512
    .name:           _ZN2at4cuda12_GLOBAL__N_121kernelPointwiseApply2IZNS_6native9templates4cuda28bernoulli_tensor_cuda_kernelIddEEvRKNS_10TensorBaseES9_NS_15PhiloxCudaStateEEUliRdSB_SB_SB_RKdSD_SD_SD_E_dSC_jLi1ELin1ELi4ELi512ELi2EEEvNS0_6detail10TensorInfoIT0_T2_EENSG_IT1_SI_EESI_T_
    .private_segment_fixed_size: 0
    .sgpr_count:     43
    .sgpr_spill_count: 0
    .symbol:         _ZN2at4cuda12_GLOBAL__N_121kernelPointwiseApply2IZNS_6native9templates4cuda28bernoulli_tensor_cuda_kernelIddEEvRKNS_10TensorBaseES9_NS_15PhiloxCudaStateEEUliRdSB_SB_SB_RKdSD_SD_SD_E_dSC_jLi1ELin1ELi4ELi512ELi2EEEvNS0_6detail10TensorInfoIT0_T2_EENSG_IT1_SI_EESI_T_.kd
    .uniform_work_group_size: 1
    .uses_dynamic_stack: false
    .vgpr_count:     43
    .vgpr_spill_count: 0
    .wavefront_size: 32
    .workgroup_processor_mode: 1
  - .args:
      - .offset:         0
        .size:           216
        .value_kind:     by_value
      - .offset:         216
        .size:           216
        .value_kind:     by_value
      - .offset:         432
        .size:           4
        .value_kind:     by_value
      - .offset:         440
        .size:           32
        .value_kind:     by_value
      - .offset:         472
        .size:           4
        .value_kind:     hidden_block_count_x
      - .offset:         476
        .size:           4
        .value_kind:     hidden_block_count_y
      - .offset:         480
        .size:           4
        .value_kind:     hidden_block_count_z
      - .offset:         484
        .size:           2
        .value_kind:     hidden_group_size_x
      - .offset:         486
        .size:           2
        .value_kind:     hidden_group_size_y
      - .offset:         488
        .size:           2
        .value_kind:     hidden_group_size_z
      - .offset:         490
        .size:           2
        .value_kind:     hidden_remainder_x
      - .offset:         492
        .size:           2
        .value_kind:     hidden_remainder_y
      - .offset:         494
        .size:           2
        .value_kind:     hidden_remainder_z
      - .offset:         512
        .size:           8
        .value_kind:     hidden_global_offset_x
      - .offset:         520
        .size:           8
        .value_kind:     hidden_global_offset_y
      - .offset:         528
        .size:           8
        .value_kind:     hidden_global_offset_z
      - .offset:         536
        .size:           2
        .value_kind:     hidden_grid_dims
    .group_segment_fixed_size: 0
    .kernarg_segment_align: 8
    .kernarg_segment_size: 728
    .language:       OpenCL C
    .language_version:
      - 2
      - 0
    .max_flat_workgroup_size: 512
    .name:           _ZN2at4cuda12_GLOBAL__N_121kernelPointwiseApply2IZNS_6native9templates4cuda28bernoulli_tensor_cuda_kernelIddEEvRKNS_10TensorBaseES9_NS_15PhiloxCudaStateEEUliRdSB_SB_SB_RKdSD_SD_SD_E_dSC_jLi2ELi1ELi4ELi512ELi2EEEvNS0_6detail10TensorInfoIT0_T2_EENSG_IT1_SI_EESI_T_
    .private_segment_fixed_size: 0
    .sgpr_count:     42
    .sgpr_spill_count: 0
    .symbol:         _ZN2at4cuda12_GLOBAL__N_121kernelPointwiseApply2IZNS_6native9templates4cuda28bernoulli_tensor_cuda_kernelIddEEvRKNS_10TensorBaseES9_NS_15PhiloxCudaStateEEUliRdSB_SB_SB_RKdSD_SD_SD_E_dSC_jLi2ELi1ELi4ELi512ELi2EEEvNS0_6detail10TensorInfoIT0_T2_EENSG_IT1_SI_EESI_T_.kd
    .uniform_work_group_size: 1
    .uses_dynamic_stack: false
    .vgpr_count:     46
    .vgpr_spill_count: 0
    .wavefront_size: 32
    .workgroup_processor_mode: 1
  - .args:
      - .offset:         0
        .size:           216
        .value_kind:     by_value
      - .offset:         216
        .size:           216
        .value_kind:     by_value
      - .offset:         432
        .size:           4
        .value_kind:     by_value
      - .offset:         440
        .size:           32
        .value_kind:     by_value
      - .offset:         472
        .size:           4
        .value_kind:     hidden_block_count_x
      - .offset:         476
        .size:           4
        .value_kind:     hidden_block_count_y
      - .offset:         480
        .size:           4
        .value_kind:     hidden_block_count_z
      - .offset:         484
        .size:           2
        .value_kind:     hidden_group_size_x
      - .offset:         486
        .size:           2
        .value_kind:     hidden_group_size_y
      - .offset:         488
        .size:           2
        .value_kind:     hidden_group_size_z
      - .offset:         490
        .size:           2
        .value_kind:     hidden_remainder_x
      - .offset:         492
        .size:           2
        .value_kind:     hidden_remainder_y
      - .offset:         494
        .size:           2
        .value_kind:     hidden_remainder_z
      - .offset:         512
        .size:           8
        .value_kind:     hidden_global_offset_x
      - .offset:         520
        .size:           8
        .value_kind:     hidden_global_offset_y
      - .offset:         528
        .size:           8
        .value_kind:     hidden_global_offset_z
      - .offset:         536
        .size:           2
        .value_kind:     hidden_grid_dims
    .group_segment_fixed_size: 0
    .kernarg_segment_align: 8
    .kernarg_segment_size: 728
    .language:       OpenCL C
    .language_version:
      - 2
      - 0
    .max_flat_workgroup_size: 512
    .name:           _ZN2at4cuda12_GLOBAL__N_121kernelPointwiseApply2IZNS_6native9templates4cuda28bernoulli_tensor_cuda_kernelIddEEvRKNS_10TensorBaseES9_NS_15PhiloxCudaStateEEUliRdSB_SB_SB_RKdSD_SD_SD_E_dSC_jLi2ELi2ELi4ELi512ELi2EEEvNS0_6detail10TensorInfoIT0_T2_EENSG_IT1_SI_EESI_T_
    .private_segment_fixed_size: 0
    .sgpr_count:     42
    .sgpr_spill_count: 0
    .symbol:         _ZN2at4cuda12_GLOBAL__N_121kernelPointwiseApply2IZNS_6native9templates4cuda28bernoulli_tensor_cuda_kernelIddEEvRKNS_10TensorBaseES9_NS_15PhiloxCudaStateEEUliRdSB_SB_SB_RKdSD_SD_SD_E_dSC_jLi2ELi2ELi4ELi512ELi2EEEvNS0_6detail10TensorInfoIT0_T2_EENSG_IT1_SI_EESI_T_.kd
    .uniform_work_group_size: 1
    .uses_dynamic_stack: false
    .vgpr_count:     46
    .vgpr_spill_count: 0
    .wavefront_size: 32
    .workgroup_processor_mode: 1
  - .args:
      - .offset:         0
        .size:           216
        .value_kind:     by_value
      - .offset:         216
        .size:           216
        .value_kind:     by_value
      - .offset:         432
        .size:           4
        .value_kind:     by_value
      - .offset:         440
        .size:           32
        .value_kind:     by_value
      - .offset:         472
        .size:           4
        .value_kind:     hidden_block_count_x
      - .offset:         476
        .size:           4
        .value_kind:     hidden_block_count_y
      - .offset:         480
        .size:           4
        .value_kind:     hidden_block_count_z
      - .offset:         484
        .size:           2
        .value_kind:     hidden_group_size_x
      - .offset:         486
        .size:           2
        .value_kind:     hidden_group_size_y
      - .offset:         488
        .size:           2
        .value_kind:     hidden_group_size_z
      - .offset:         490
        .size:           2
        .value_kind:     hidden_remainder_x
      - .offset:         492
        .size:           2
        .value_kind:     hidden_remainder_y
      - .offset:         494
        .size:           2
        .value_kind:     hidden_remainder_z
      - .offset:         512
        .size:           8
        .value_kind:     hidden_global_offset_x
      - .offset:         520
        .size:           8
        .value_kind:     hidden_global_offset_y
      - .offset:         528
        .size:           8
        .value_kind:     hidden_global_offset_z
      - .offset:         536
        .size:           2
        .value_kind:     hidden_grid_dims
    .group_segment_fixed_size: 0
    .kernarg_segment_align: 8
    .kernarg_segment_size: 728
    .language:       OpenCL C
    .language_version:
      - 2
      - 0
    .max_flat_workgroup_size: 512
    .name:           _ZN2at4cuda12_GLOBAL__N_121kernelPointwiseApply2IZNS_6native9templates4cuda28bernoulli_tensor_cuda_kernelIddEEvRKNS_10TensorBaseES9_NS_15PhiloxCudaStateEEUliRdSB_SB_SB_RKdSD_SD_SD_E_dSC_jLi2ELin1ELi4ELi512ELi2EEEvNS0_6detail10TensorInfoIT0_T2_EENSG_IT1_SI_EESI_T_
    .private_segment_fixed_size: 0
    .sgpr_count:     42
    .sgpr_spill_count: 0
    .symbol:         _ZN2at4cuda12_GLOBAL__N_121kernelPointwiseApply2IZNS_6native9templates4cuda28bernoulli_tensor_cuda_kernelIddEEvRKNS_10TensorBaseES9_NS_15PhiloxCudaStateEEUliRdSB_SB_SB_RKdSD_SD_SD_E_dSC_jLi2ELin1ELi4ELi512ELi2EEEvNS0_6detail10TensorInfoIT0_T2_EENSG_IT1_SI_EESI_T_.kd
    .uniform_work_group_size: 1
    .uses_dynamic_stack: false
    .vgpr_count:     43
    .vgpr_spill_count: 0
    .wavefront_size: 32
    .workgroup_processor_mode: 1
  - .args:
      - .offset:         0
        .size:           216
        .value_kind:     by_value
      - .offset:         216
        .size:           216
        .value_kind:     by_value
      - .offset:         432
        .size:           4
        .value_kind:     by_value
      - .offset:         440
        .size:           32
        .value_kind:     by_value
      - .offset:         472
        .size:           4
        .value_kind:     hidden_block_count_x
      - .offset:         476
        .size:           4
        .value_kind:     hidden_block_count_y
      - .offset:         480
        .size:           4
        .value_kind:     hidden_block_count_z
      - .offset:         484
        .size:           2
        .value_kind:     hidden_group_size_x
      - .offset:         486
        .size:           2
        .value_kind:     hidden_group_size_y
      - .offset:         488
        .size:           2
        .value_kind:     hidden_group_size_z
      - .offset:         490
        .size:           2
        .value_kind:     hidden_remainder_x
      - .offset:         492
        .size:           2
        .value_kind:     hidden_remainder_y
      - .offset:         494
        .size:           2
        .value_kind:     hidden_remainder_z
      - .offset:         512
        .size:           8
        .value_kind:     hidden_global_offset_x
      - .offset:         520
        .size:           8
        .value_kind:     hidden_global_offset_y
      - .offset:         528
        .size:           8
        .value_kind:     hidden_global_offset_z
      - .offset:         536
        .size:           2
        .value_kind:     hidden_grid_dims
    .group_segment_fixed_size: 0
    .kernarg_segment_align: 8
    .kernarg_segment_size: 728
    .language:       OpenCL C
    .language_version:
      - 2
      - 0
    .max_flat_workgroup_size: 512
    .name:           _ZN2at4cuda12_GLOBAL__N_121kernelPointwiseApply2IZNS_6native9templates4cuda28bernoulli_tensor_cuda_kernelIddEEvRKNS_10TensorBaseES9_NS_15PhiloxCudaStateEEUliRdSB_SB_SB_RKdSD_SD_SD_E_dSC_jLin1ELi1ELi4ELi512ELi2EEEvNS0_6detail10TensorInfoIT0_T2_EENSG_IT1_SI_EESI_T_
    .private_segment_fixed_size: 0
    .sgpr_count:     44
    .sgpr_spill_count: 0
    .symbol:         _ZN2at4cuda12_GLOBAL__N_121kernelPointwiseApply2IZNS_6native9templates4cuda28bernoulli_tensor_cuda_kernelIddEEvRKNS_10TensorBaseES9_NS_15PhiloxCudaStateEEUliRdSB_SB_SB_RKdSD_SD_SD_E_dSC_jLin1ELi1ELi4ELi512ELi2EEEvNS0_6detail10TensorInfoIT0_T2_EENSG_IT1_SI_EESI_T_.kd
    .uniform_work_group_size: 1
    .uses_dynamic_stack: false
    .vgpr_count:     43
    .vgpr_spill_count: 0
    .wavefront_size: 32
    .workgroup_processor_mode: 1
  - .args:
      - .offset:         0
        .size:           216
        .value_kind:     by_value
      - .offset:         216
        .size:           216
        .value_kind:     by_value
      - .offset:         432
        .size:           4
        .value_kind:     by_value
      - .offset:         440
        .size:           32
        .value_kind:     by_value
      - .offset:         472
        .size:           4
        .value_kind:     hidden_block_count_x
      - .offset:         476
        .size:           4
        .value_kind:     hidden_block_count_y
      - .offset:         480
        .size:           4
        .value_kind:     hidden_block_count_z
      - .offset:         484
        .size:           2
        .value_kind:     hidden_group_size_x
      - .offset:         486
        .size:           2
        .value_kind:     hidden_group_size_y
      - .offset:         488
        .size:           2
        .value_kind:     hidden_group_size_z
      - .offset:         490
        .size:           2
        .value_kind:     hidden_remainder_x
      - .offset:         492
        .size:           2
        .value_kind:     hidden_remainder_y
      - .offset:         494
        .size:           2
        .value_kind:     hidden_remainder_z
      - .offset:         512
        .size:           8
        .value_kind:     hidden_global_offset_x
      - .offset:         520
        .size:           8
        .value_kind:     hidden_global_offset_y
      - .offset:         528
        .size:           8
        .value_kind:     hidden_global_offset_z
      - .offset:         536
        .size:           2
        .value_kind:     hidden_grid_dims
    .group_segment_fixed_size: 0
    .kernarg_segment_align: 8
    .kernarg_segment_size: 728
    .language:       OpenCL C
    .language_version:
      - 2
      - 0
    .max_flat_workgroup_size: 512
    .name:           _ZN2at4cuda12_GLOBAL__N_121kernelPointwiseApply2IZNS_6native9templates4cuda28bernoulli_tensor_cuda_kernelIddEEvRKNS_10TensorBaseES9_NS_15PhiloxCudaStateEEUliRdSB_SB_SB_RKdSD_SD_SD_E_dSC_jLin1ELi2ELi4ELi512ELi2EEEvNS0_6detail10TensorInfoIT0_T2_EENSG_IT1_SI_EESI_T_
    .private_segment_fixed_size: 0
    .sgpr_count:     42
    .sgpr_spill_count: 0
    .symbol:         _ZN2at4cuda12_GLOBAL__N_121kernelPointwiseApply2IZNS_6native9templates4cuda28bernoulli_tensor_cuda_kernelIddEEvRKNS_10TensorBaseES9_NS_15PhiloxCudaStateEEUliRdSB_SB_SB_RKdSD_SD_SD_E_dSC_jLin1ELi2ELi4ELi512ELi2EEEvNS0_6detail10TensorInfoIT0_T2_EENSG_IT1_SI_EESI_T_.kd
    .uniform_work_group_size: 1
    .uses_dynamic_stack: false
    .vgpr_count:     45
    .vgpr_spill_count: 0
    .wavefront_size: 32
    .workgroup_processor_mode: 1
  - .args:
      - .offset:         0
        .size:           216
        .value_kind:     by_value
      - .offset:         216
        .size:           216
        .value_kind:     by_value
      - .offset:         432
        .size:           4
        .value_kind:     by_value
      - .offset:         440
        .size:           32
        .value_kind:     by_value
      - .offset:         472
        .size:           4
        .value_kind:     hidden_block_count_x
      - .offset:         476
        .size:           4
        .value_kind:     hidden_block_count_y
      - .offset:         480
        .size:           4
        .value_kind:     hidden_block_count_z
      - .offset:         484
        .size:           2
        .value_kind:     hidden_group_size_x
      - .offset:         486
        .size:           2
        .value_kind:     hidden_group_size_y
      - .offset:         488
        .size:           2
        .value_kind:     hidden_group_size_z
      - .offset:         490
        .size:           2
        .value_kind:     hidden_remainder_x
      - .offset:         492
        .size:           2
        .value_kind:     hidden_remainder_y
      - .offset:         494
        .size:           2
        .value_kind:     hidden_remainder_z
      - .offset:         512
        .size:           8
        .value_kind:     hidden_global_offset_x
      - .offset:         520
        .size:           8
        .value_kind:     hidden_global_offset_y
      - .offset:         528
        .size:           8
        .value_kind:     hidden_global_offset_z
      - .offset:         536
        .size:           2
        .value_kind:     hidden_grid_dims
    .group_segment_fixed_size: 0
    .kernarg_segment_align: 8
    .kernarg_segment_size: 728
    .language:       OpenCL C
    .language_version:
      - 2
      - 0
    .max_flat_workgroup_size: 512
    .name:           _ZN2at4cuda12_GLOBAL__N_121kernelPointwiseApply2IZNS_6native9templates4cuda28bernoulli_tensor_cuda_kernelIddEEvRKNS_10TensorBaseES9_NS_15PhiloxCudaStateEEUliRdSB_SB_SB_RKdSD_SD_SD_E_dSC_jLin1ELin1ELi4ELi512ELi2EEEvNS0_6detail10TensorInfoIT0_T2_EENSG_IT1_SI_EESI_T_
    .private_segment_fixed_size: 0
    .sgpr_count:     44
    .sgpr_spill_count: 0
    .symbol:         _ZN2at4cuda12_GLOBAL__N_121kernelPointwiseApply2IZNS_6native9templates4cuda28bernoulli_tensor_cuda_kernelIddEEvRKNS_10TensorBaseES9_NS_15PhiloxCudaStateEEUliRdSB_SB_SB_RKdSD_SD_SD_E_dSC_jLin1ELin1ELi4ELi512ELi2EEEvNS0_6detail10TensorInfoIT0_T2_EENSG_IT1_SI_EESI_T_.kd
    .uniform_work_group_size: 1
    .uses_dynamic_stack: false
    .vgpr_count:     42
    .vgpr_spill_count: 0
    .wavefront_size: 32
    .workgroup_processor_mode: 1
  - .args:
      - .offset:         0
        .size:           416
        .value_kind:     by_value
      - .offset:         416
        .size:           416
        .value_kind:     by_value
      - .offset:         832
        .size:           8
        .value_kind:     by_value
      - .offset:         840
        .size:           32
        .value_kind:     by_value
      - .offset:         872
        .size:           4
        .value_kind:     hidden_block_count_x
      - .offset:         876
        .size:           4
        .value_kind:     hidden_block_count_y
      - .offset:         880
        .size:           4
        .value_kind:     hidden_block_count_z
      - .offset:         884
        .size:           2
        .value_kind:     hidden_group_size_x
      - .offset:         886
        .size:           2
        .value_kind:     hidden_group_size_y
      - .offset:         888
        .size:           2
        .value_kind:     hidden_group_size_z
      - .offset:         890
        .size:           2
        .value_kind:     hidden_remainder_x
      - .offset:         892
        .size:           2
        .value_kind:     hidden_remainder_y
      - .offset:         894
        .size:           2
        .value_kind:     hidden_remainder_z
      - .offset:         912
        .size:           8
        .value_kind:     hidden_global_offset_x
      - .offset:         920
        .size:           8
        .value_kind:     hidden_global_offset_y
      - .offset:         928
        .size:           8
        .value_kind:     hidden_global_offset_z
      - .offset:         936
        .size:           2
        .value_kind:     hidden_grid_dims
    .group_segment_fixed_size: 0
    .kernarg_segment_align: 8
    .kernarg_segment_size: 1128
    .language:       OpenCL C
    .language_version:
      - 2
      - 0
    .max_flat_workgroup_size: 512
    .name:           _ZN2at4cuda12_GLOBAL__N_121kernelPointwiseApply2IZNS_6native9templates4cuda28bernoulli_tensor_cuda_kernelIddEEvRKNS_10TensorBaseES9_NS_15PhiloxCudaStateEEUliRdSB_SB_SB_RKdSD_SD_SD_E_dSC_mLi1ELi1ELi4ELi512ELi2EEEvNS0_6detail10TensorInfoIT0_T2_EENSG_IT1_SI_EESI_T_
    .private_segment_fixed_size: 0
    .sgpr_count:     43
    .sgpr_spill_count: 0
    .symbol:         _ZN2at4cuda12_GLOBAL__N_121kernelPointwiseApply2IZNS_6native9templates4cuda28bernoulli_tensor_cuda_kernelIddEEvRKNS_10TensorBaseES9_NS_15PhiloxCudaStateEEUliRdSB_SB_SB_RKdSD_SD_SD_E_dSC_mLi1ELi1ELi4ELi512ELi2EEEvNS0_6detail10TensorInfoIT0_T2_EENSG_IT1_SI_EESI_T_.kd
    .uniform_work_group_size: 1
    .uses_dynamic_stack: false
    .vgpr_count:     50
    .vgpr_spill_count: 0
    .wavefront_size: 32
    .workgroup_processor_mode: 1
  - .args:
      - .offset:         0
        .size:           416
        .value_kind:     by_value
      - .offset:         416
        .size:           416
        .value_kind:     by_value
      - .offset:         832
        .size:           8
        .value_kind:     by_value
      - .offset:         840
        .size:           32
        .value_kind:     by_value
      - .offset:         872
        .size:           4
        .value_kind:     hidden_block_count_x
      - .offset:         876
        .size:           4
        .value_kind:     hidden_block_count_y
      - .offset:         880
        .size:           4
        .value_kind:     hidden_block_count_z
      - .offset:         884
        .size:           2
        .value_kind:     hidden_group_size_x
      - .offset:         886
        .size:           2
        .value_kind:     hidden_group_size_y
      - .offset:         888
        .size:           2
        .value_kind:     hidden_group_size_z
      - .offset:         890
        .size:           2
        .value_kind:     hidden_remainder_x
      - .offset:         892
        .size:           2
        .value_kind:     hidden_remainder_y
      - .offset:         894
        .size:           2
        .value_kind:     hidden_remainder_z
      - .offset:         912
        .size:           8
        .value_kind:     hidden_global_offset_x
      - .offset:         920
        .size:           8
        .value_kind:     hidden_global_offset_y
      - .offset:         928
        .size:           8
        .value_kind:     hidden_global_offset_z
      - .offset:         936
        .size:           2
        .value_kind:     hidden_grid_dims
    .group_segment_fixed_size: 0
    .kernarg_segment_align: 8
    .kernarg_segment_size: 1128
    .language:       OpenCL C
    .language_version:
      - 2
      - 0
    .max_flat_workgroup_size: 512
    .name:           _ZN2at4cuda12_GLOBAL__N_121kernelPointwiseApply2IZNS_6native9templates4cuda28bernoulli_tensor_cuda_kernelIddEEvRKNS_10TensorBaseES9_NS_15PhiloxCudaStateEEUliRdSB_SB_SB_RKdSD_SD_SD_E_dSC_mLin1ELin1ELi4ELi512ELi2EEEvNS0_6detail10TensorInfoIT0_T2_EENSG_IT1_SI_EESI_T_
    .private_segment_fixed_size: 0
    .sgpr_count:     48
    .sgpr_spill_count: 0
    .symbol:         _ZN2at4cuda12_GLOBAL__N_121kernelPointwiseApply2IZNS_6native9templates4cuda28bernoulli_tensor_cuda_kernelIddEEvRKNS_10TensorBaseES9_NS_15PhiloxCudaStateEEUliRdSB_SB_SB_RKdSD_SD_SD_E_dSC_mLin1ELin1ELi4ELi512ELi2EEEvNS0_6detail10TensorInfoIT0_T2_EENSG_IT1_SI_EESI_T_.kd
    .uniform_work_group_size: 1
    .uses_dynamic_stack: false
    .vgpr_count:     48
    .vgpr_spill_count: 0
    .wavefront_size: 32
    .workgroup_processor_mode: 1
  - .args:
      - .offset:         0
        .size:           216
        .value_kind:     by_value
      - .offset:         216
        .size:           216
        .value_kind:     by_value
      - .offset:         432
        .size:           4
        .value_kind:     by_value
      - .offset:         440
        .size:           32
        .value_kind:     by_value
      - .offset:         472
        .size:           4
        .value_kind:     hidden_block_count_x
      - .offset:         476
        .size:           4
        .value_kind:     hidden_block_count_y
      - .offset:         480
        .size:           4
        .value_kind:     hidden_block_count_z
      - .offset:         484
        .size:           2
        .value_kind:     hidden_group_size_x
      - .offset:         486
        .size:           2
        .value_kind:     hidden_group_size_y
      - .offset:         488
        .size:           2
        .value_kind:     hidden_group_size_z
      - .offset:         490
        .size:           2
        .value_kind:     hidden_remainder_x
      - .offset:         492
        .size:           2
        .value_kind:     hidden_remainder_y
      - .offset:         494
        .size:           2
        .value_kind:     hidden_remainder_z
      - .offset:         512
        .size:           8
        .value_kind:     hidden_global_offset_x
      - .offset:         520
        .size:           8
        .value_kind:     hidden_global_offset_y
      - .offset:         528
        .size:           8
        .value_kind:     hidden_global_offset_z
      - .offset:         536
        .size:           2
        .value_kind:     hidden_grid_dims
    .group_segment_fixed_size: 0
    .kernarg_segment_align: 8
    .kernarg_segment_size: 728
    .language:       OpenCL C
    .language_version:
      - 2
      - 0
    .max_flat_workgroup_size: 512
    .name:           _ZN2at4cuda12_GLOBAL__N_121kernelPointwiseApply2IZNS_6native9templates4cuda28bernoulli_tensor_cuda_kernelIhfEEvRKNS_10TensorBaseES9_NS_15PhiloxCudaStateEEUliRhSB_SB_SB_RKfSD_SD_SD_E_hSC_jLi1ELi1ELi4ELi512ELi2EEEvNS0_6detail10TensorInfoIT0_T2_EENSG_IT1_SI_EESI_T_
    .private_segment_fixed_size: 0
    .sgpr_count:     39
    .sgpr_spill_count: 0
    .symbol:         _ZN2at4cuda12_GLOBAL__N_121kernelPointwiseApply2IZNS_6native9templates4cuda28bernoulli_tensor_cuda_kernelIhfEEvRKNS_10TensorBaseES9_NS_15PhiloxCudaStateEEUliRhSB_SB_SB_RKfSD_SD_SD_E_hSC_jLi1ELi1ELi4ELi512ELi2EEEvNS0_6detail10TensorInfoIT0_T2_EENSG_IT1_SI_EESI_T_.kd
    .uniform_work_group_size: 1
    .uses_dynamic_stack: false
    .vgpr_count:     40
    .vgpr_spill_count: 0
    .wavefront_size: 32
    .workgroup_processor_mode: 1
  - .args:
      - .offset:         0
        .size:           216
        .value_kind:     by_value
      - .offset:         216
        .size:           216
        .value_kind:     by_value
      - .offset:         432
        .size:           4
        .value_kind:     by_value
      - .offset:         440
        .size:           32
        .value_kind:     by_value
      - .offset:         472
        .size:           4
        .value_kind:     hidden_block_count_x
      - .offset:         476
        .size:           4
        .value_kind:     hidden_block_count_y
      - .offset:         480
        .size:           4
        .value_kind:     hidden_block_count_z
      - .offset:         484
        .size:           2
        .value_kind:     hidden_group_size_x
      - .offset:         486
        .size:           2
        .value_kind:     hidden_group_size_y
      - .offset:         488
        .size:           2
        .value_kind:     hidden_group_size_z
      - .offset:         490
        .size:           2
        .value_kind:     hidden_remainder_x
      - .offset:         492
        .size:           2
        .value_kind:     hidden_remainder_y
      - .offset:         494
        .size:           2
        .value_kind:     hidden_remainder_z
      - .offset:         512
        .size:           8
        .value_kind:     hidden_global_offset_x
      - .offset:         520
        .size:           8
        .value_kind:     hidden_global_offset_y
      - .offset:         528
        .size:           8
        .value_kind:     hidden_global_offset_z
      - .offset:         536
        .size:           2
        .value_kind:     hidden_grid_dims
    .group_segment_fixed_size: 0
    .kernarg_segment_align: 8
    .kernarg_segment_size: 728
    .language:       OpenCL C
    .language_version:
      - 2
      - 0
    .max_flat_workgroup_size: 512
    .name:           _ZN2at4cuda12_GLOBAL__N_121kernelPointwiseApply2IZNS_6native9templates4cuda28bernoulli_tensor_cuda_kernelIhfEEvRKNS_10TensorBaseES9_NS_15PhiloxCudaStateEEUliRhSB_SB_SB_RKfSD_SD_SD_E_hSC_jLi1ELi2ELi4ELi512ELi2EEEvNS0_6detail10TensorInfoIT0_T2_EENSG_IT1_SI_EESI_T_
    .private_segment_fixed_size: 0
    .sgpr_count:     42
    .sgpr_spill_count: 0
    .symbol:         _ZN2at4cuda12_GLOBAL__N_121kernelPointwiseApply2IZNS_6native9templates4cuda28bernoulli_tensor_cuda_kernelIhfEEvRKNS_10TensorBaseES9_NS_15PhiloxCudaStateEEUliRhSB_SB_SB_RKfSD_SD_SD_E_hSC_jLi1ELi2ELi4ELi512ELi2EEEvNS0_6detail10TensorInfoIT0_T2_EENSG_IT1_SI_EESI_T_.kd
    .uniform_work_group_size: 1
    .uses_dynamic_stack: false
    .vgpr_count:     44
    .vgpr_spill_count: 0
    .wavefront_size: 32
    .workgroup_processor_mode: 1
  - .args:
      - .offset:         0
        .size:           216
        .value_kind:     by_value
      - .offset:         216
        .size:           216
        .value_kind:     by_value
      - .offset:         432
        .size:           4
        .value_kind:     by_value
      - .offset:         440
        .size:           32
        .value_kind:     by_value
      - .offset:         472
        .size:           4
        .value_kind:     hidden_block_count_x
      - .offset:         476
        .size:           4
        .value_kind:     hidden_block_count_y
      - .offset:         480
        .size:           4
        .value_kind:     hidden_block_count_z
      - .offset:         484
        .size:           2
        .value_kind:     hidden_group_size_x
      - .offset:         486
        .size:           2
        .value_kind:     hidden_group_size_y
      - .offset:         488
        .size:           2
        .value_kind:     hidden_group_size_z
      - .offset:         490
        .size:           2
        .value_kind:     hidden_remainder_x
      - .offset:         492
        .size:           2
        .value_kind:     hidden_remainder_y
      - .offset:         494
        .size:           2
        .value_kind:     hidden_remainder_z
      - .offset:         512
        .size:           8
        .value_kind:     hidden_global_offset_x
      - .offset:         520
        .size:           8
        .value_kind:     hidden_global_offset_y
      - .offset:         528
        .size:           8
        .value_kind:     hidden_global_offset_z
      - .offset:         536
        .size:           2
        .value_kind:     hidden_grid_dims
    .group_segment_fixed_size: 0
    .kernarg_segment_align: 8
    .kernarg_segment_size: 728
    .language:       OpenCL C
    .language_version:
      - 2
      - 0
    .max_flat_workgroup_size: 512
    .name:           _ZN2at4cuda12_GLOBAL__N_121kernelPointwiseApply2IZNS_6native9templates4cuda28bernoulli_tensor_cuda_kernelIhfEEvRKNS_10TensorBaseES9_NS_15PhiloxCudaStateEEUliRhSB_SB_SB_RKfSD_SD_SD_E_hSC_jLi1ELin1ELi4ELi512ELi2EEEvNS0_6detail10TensorInfoIT0_T2_EENSG_IT1_SI_EESI_T_
    .private_segment_fixed_size: 0
    .sgpr_count:     43
    .sgpr_spill_count: 0
    .symbol:         _ZN2at4cuda12_GLOBAL__N_121kernelPointwiseApply2IZNS_6native9templates4cuda28bernoulli_tensor_cuda_kernelIhfEEvRKNS_10TensorBaseES9_NS_15PhiloxCudaStateEEUliRhSB_SB_SB_RKfSD_SD_SD_E_hSC_jLi1ELin1ELi4ELi512ELi2EEEvNS0_6detail10TensorInfoIT0_T2_EENSG_IT1_SI_EESI_T_.kd
    .uniform_work_group_size: 1
    .uses_dynamic_stack: false
    .vgpr_count:     41
    .vgpr_spill_count: 0
    .wavefront_size: 32
    .workgroup_processor_mode: 1
  - .args:
      - .offset:         0
        .size:           216
        .value_kind:     by_value
      - .offset:         216
        .size:           216
        .value_kind:     by_value
      - .offset:         432
        .size:           4
        .value_kind:     by_value
      - .offset:         440
        .size:           32
        .value_kind:     by_value
      - .offset:         472
        .size:           4
        .value_kind:     hidden_block_count_x
      - .offset:         476
        .size:           4
        .value_kind:     hidden_block_count_y
      - .offset:         480
        .size:           4
        .value_kind:     hidden_block_count_z
      - .offset:         484
        .size:           2
        .value_kind:     hidden_group_size_x
      - .offset:         486
        .size:           2
        .value_kind:     hidden_group_size_y
      - .offset:         488
        .size:           2
        .value_kind:     hidden_group_size_z
      - .offset:         490
        .size:           2
        .value_kind:     hidden_remainder_x
      - .offset:         492
        .size:           2
        .value_kind:     hidden_remainder_y
      - .offset:         494
        .size:           2
        .value_kind:     hidden_remainder_z
      - .offset:         512
        .size:           8
        .value_kind:     hidden_global_offset_x
      - .offset:         520
        .size:           8
        .value_kind:     hidden_global_offset_y
      - .offset:         528
        .size:           8
        .value_kind:     hidden_global_offset_z
      - .offset:         536
        .size:           2
        .value_kind:     hidden_grid_dims
    .group_segment_fixed_size: 0
    .kernarg_segment_align: 8
    .kernarg_segment_size: 728
    .language:       OpenCL C
    .language_version:
      - 2
      - 0
    .max_flat_workgroup_size: 512
    .name:           _ZN2at4cuda12_GLOBAL__N_121kernelPointwiseApply2IZNS_6native9templates4cuda28bernoulli_tensor_cuda_kernelIhfEEvRKNS_10TensorBaseES9_NS_15PhiloxCudaStateEEUliRhSB_SB_SB_RKfSD_SD_SD_E_hSC_jLi2ELi1ELi4ELi512ELi2EEEvNS0_6detail10TensorInfoIT0_T2_EENSG_IT1_SI_EESI_T_
    .private_segment_fixed_size: 0
    .sgpr_count:     42
    .sgpr_spill_count: 0
    .symbol:         _ZN2at4cuda12_GLOBAL__N_121kernelPointwiseApply2IZNS_6native9templates4cuda28bernoulli_tensor_cuda_kernelIhfEEvRKNS_10TensorBaseES9_NS_15PhiloxCudaStateEEUliRhSB_SB_SB_RKfSD_SD_SD_E_hSC_jLi2ELi1ELi4ELi512ELi2EEEvNS0_6detail10TensorInfoIT0_T2_EENSG_IT1_SI_EESI_T_.kd
    .uniform_work_group_size: 1
    .uses_dynamic_stack: false
    .vgpr_count:     44
    .vgpr_spill_count: 0
    .wavefront_size: 32
    .workgroup_processor_mode: 1
  - .args:
      - .offset:         0
        .size:           216
        .value_kind:     by_value
      - .offset:         216
        .size:           216
        .value_kind:     by_value
      - .offset:         432
        .size:           4
        .value_kind:     by_value
      - .offset:         440
        .size:           32
        .value_kind:     by_value
      - .offset:         472
        .size:           4
        .value_kind:     hidden_block_count_x
      - .offset:         476
        .size:           4
        .value_kind:     hidden_block_count_y
      - .offset:         480
        .size:           4
        .value_kind:     hidden_block_count_z
      - .offset:         484
        .size:           2
        .value_kind:     hidden_group_size_x
      - .offset:         486
        .size:           2
        .value_kind:     hidden_group_size_y
      - .offset:         488
        .size:           2
        .value_kind:     hidden_group_size_z
      - .offset:         490
        .size:           2
        .value_kind:     hidden_remainder_x
      - .offset:         492
        .size:           2
        .value_kind:     hidden_remainder_y
      - .offset:         494
        .size:           2
        .value_kind:     hidden_remainder_z
      - .offset:         512
        .size:           8
        .value_kind:     hidden_global_offset_x
      - .offset:         520
        .size:           8
        .value_kind:     hidden_global_offset_y
      - .offset:         528
        .size:           8
        .value_kind:     hidden_global_offset_z
      - .offset:         536
        .size:           2
        .value_kind:     hidden_grid_dims
    .group_segment_fixed_size: 0
    .kernarg_segment_align: 8
    .kernarg_segment_size: 728
    .language:       OpenCL C
    .language_version:
      - 2
      - 0
    .max_flat_workgroup_size: 512
    .name:           _ZN2at4cuda12_GLOBAL__N_121kernelPointwiseApply2IZNS_6native9templates4cuda28bernoulli_tensor_cuda_kernelIhfEEvRKNS_10TensorBaseES9_NS_15PhiloxCudaStateEEUliRhSB_SB_SB_RKfSD_SD_SD_E_hSC_jLi2ELi2ELi4ELi512ELi2EEEvNS0_6detail10TensorInfoIT0_T2_EENSG_IT1_SI_EESI_T_
    .private_segment_fixed_size: 0
    .sgpr_count:     42
    .sgpr_spill_count: 0
    .symbol:         _ZN2at4cuda12_GLOBAL__N_121kernelPointwiseApply2IZNS_6native9templates4cuda28bernoulli_tensor_cuda_kernelIhfEEvRKNS_10TensorBaseES9_NS_15PhiloxCudaStateEEUliRhSB_SB_SB_RKfSD_SD_SD_E_hSC_jLi2ELi2ELi4ELi512ELi2EEEvNS0_6detail10TensorInfoIT0_T2_EENSG_IT1_SI_EESI_T_.kd
    .uniform_work_group_size: 1
    .uses_dynamic_stack: false
    .vgpr_count:     45
    .vgpr_spill_count: 0
    .wavefront_size: 32
    .workgroup_processor_mode: 1
  - .args:
      - .offset:         0
        .size:           216
        .value_kind:     by_value
      - .offset:         216
        .size:           216
        .value_kind:     by_value
      - .offset:         432
        .size:           4
        .value_kind:     by_value
      - .offset:         440
        .size:           32
        .value_kind:     by_value
      - .offset:         472
        .size:           4
        .value_kind:     hidden_block_count_x
      - .offset:         476
        .size:           4
        .value_kind:     hidden_block_count_y
      - .offset:         480
        .size:           4
        .value_kind:     hidden_block_count_z
      - .offset:         484
        .size:           2
        .value_kind:     hidden_group_size_x
      - .offset:         486
        .size:           2
        .value_kind:     hidden_group_size_y
      - .offset:         488
        .size:           2
        .value_kind:     hidden_group_size_z
      - .offset:         490
        .size:           2
        .value_kind:     hidden_remainder_x
      - .offset:         492
        .size:           2
        .value_kind:     hidden_remainder_y
      - .offset:         494
        .size:           2
        .value_kind:     hidden_remainder_z
      - .offset:         512
        .size:           8
        .value_kind:     hidden_global_offset_x
      - .offset:         520
        .size:           8
        .value_kind:     hidden_global_offset_y
      - .offset:         528
        .size:           8
        .value_kind:     hidden_global_offset_z
      - .offset:         536
        .size:           2
        .value_kind:     hidden_grid_dims
    .group_segment_fixed_size: 0
    .kernarg_segment_align: 8
    .kernarg_segment_size: 728
    .language:       OpenCL C
    .language_version:
      - 2
      - 0
    .max_flat_workgroup_size: 512
    .name:           _ZN2at4cuda12_GLOBAL__N_121kernelPointwiseApply2IZNS_6native9templates4cuda28bernoulli_tensor_cuda_kernelIhfEEvRKNS_10TensorBaseES9_NS_15PhiloxCudaStateEEUliRhSB_SB_SB_RKfSD_SD_SD_E_hSC_jLi2ELin1ELi4ELi512ELi2EEEvNS0_6detail10TensorInfoIT0_T2_EENSG_IT1_SI_EESI_T_
    .private_segment_fixed_size: 0
    .sgpr_count:     42
    .sgpr_spill_count: 0
    .symbol:         _ZN2at4cuda12_GLOBAL__N_121kernelPointwiseApply2IZNS_6native9templates4cuda28bernoulli_tensor_cuda_kernelIhfEEvRKNS_10TensorBaseES9_NS_15PhiloxCudaStateEEUliRhSB_SB_SB_RKfSD_SD_SD_E_hSC_jLi2ELin1ELi4ELi512ELi2EEEvNS0_6detail10TensorInfoIT0_T2_EENSG_IT1_SI_EESI_T_.kd
    .uniform_work_group_size: 1
    .uses_dynamic_stack: false
    .vgpr_count:     42
    .vgpr_spill_count: 0
    .wavefront_size: 32
    .workgroup_processor_mode: 1
  - .args:
      - .offset:         0
        .size:           216
        .value_kind:     by_value
      - .offset:         216
        .size:           216
        .value_kind:     by_value
      - .offset:         432
        .size:           4
        .value_kind:     by_value
      - .offset:         440
        .size:           32
        .value_kind:     by_value
      - .offset:         472
        .size:           4
        .value_kind:     hidden_block_count_x
      - .offset:         476
        .size:           4
        .value_kind:     hidden_block_count_y
      - .offset:         480
        .size:           4
        .value_kind:     hidden_block_count_z
      - .offset:         484
        .size:           2
        .value_kind:     hidden_group_size_x
      - .offset:         486
        .size:           2
        .value_kind:     hidden_group_size_y
      - .offset:         488
        .size:           2
        .value_kind:     hidden_group_size_z
      - .offset:         490
        .size:           2
        .value_kind:     hidden_remainder_x
      - .offset:         492
        .size:           2
        .value_kind:     hidden_remainder_y
      - .offset:         494
        .size:           2
        .value_kind:     hidden_remainder_z
      - .offset:         512
        .size:           8
        .value_kind:     hidden_global_offset_x
      - .offset:         520
        .size:           8
        .value_kind:     hidden_global_offset_y
      - .offset:         528
        .size:           8
        .value_kind:     hidden_global_offset_z
      - .offset:         536
        .size:           2
        .value_kind:     hidden_grid_dims
    .group_segment_fixed_size: 0
    .kernarg_segment_align: 8
    .kernarg_segment_size: 728
    .language:       OpenCL C
    .language_version:
      - 2
      - 0
    .max_flat_workgroup_size: 512
    .name:           _ZN2at4cuda12_GLOBAL__N_121kernelPointwiseApply2IZNS_6native9templates4cuda28bernoulli_tensor_cuda_kernelIhfEEvRKNS_10TensorBaseES9_NS_15PhiloxCudaStateEEUliRhSB_SB_SB_RKfSD_SD_SD_E_hSC_jLin1ELi1ELi4ELi512ELi2EEEvNS0_6detail10TensorInfoIT0_T2_EENSG_IT1_SI_EESI_T_
    .private_segment_fixed_size: 0
    .sgpr_count:     43
    .sgpr_spill_count: 0
    .symbol:         _ZN2at4cuda12_GLOBAL__N_121kernelPointwiseApply2IZNS_6native9templates4cuda28bernoulli_tensor_cuda_kernelIhfEEvRKNS_10TensorBaseES9_NS_15PhiloxCudaStateEEUliRhSB_SB_SB_RKfSD_SD_SD_E_hSC_jLin1ELi1ELi4ELi512ELi2EEEvNS0_6detail10TensorInfoIT0_T2_EENSG_IT1_SI_EESI_T_.kd
    .uniform_work_group_size: 1
    .uses_dynamic_stack: false
    .vgpr_count:     41
    .vgpr_spill_count: 0
    .wavefront_size: 32
    .workgroup_processor_mode: 1
  - .args:
      - .offset:         0
        .size:           216
        .value_kind:     by_value
      - .offset:         216
        .size:           216
        .value_kind:     by_value
      - .offset:         432
        .size:           4
        .value_kind:     by_value
      - .offset:         440
        .size:           32
        .value_kind:     by_value
      - .offset:         472
        .size:           4
        .value_kind:     hidden_block_count_x
      - .offset:         476
        .size:           4
        .value_kind:     hidden_block_count_y
      - .offset:         480
        .size:           4
        .value_kind:     hidden_block_count_z
      - .offset:         484
        .size:           2
        .value_kind:     hidden_group_size_x
      - .offset:         486
        .size:           2
        .value_kind:     hidden_group_size_y
      - .offset:         488
        .size:           2
        .value_kind:     hidden_group_size_z
      - .offset:         490
        .size:           2
        .value_kind:     hidden_remainder_x
      - .offset:         492
        .size:           2
        .value_kind:     hidden_remainder_y
      - .offset:         494
        .size:           2
        .value_kind:     hidden_remainder_z
      - .offset:         512
        .size:           8
        .value_kind:     hidden_global_offset_x
      - .offset:         520
        .size:           8
        .value_kind:     hidden_global_offset_y
      - .offset:         528
        .size:           8
        .value_kind:     hidden_global_offset_z
      - .offset:         536
        .size:           2
        .value_kind:     hidden_grid_dims
    .group_segment_fixed_size: 0
    .kernarg_segment_align: 8
    .kernarg_segment_size: 728
    .language:       OpenCL C
    .language_version:
      - 2
      - 0
    .max_flat_workgroup_size: 512
    .name:           _ZN2at4cuda12_GLOBAL__N_121kernelPointwiseApply2IZNS_6native9templates4cuda28bernoulli_tensor_cuda_kernelIhfEEvRKNS_10TensorBaseES9_NS_15PhiloxCudaStateEEUliRhSB_SB_SB_RKfSD_SD_SD_E_hSC_jLin1ELi2ELi4ELi512ELi2EEEvNS0_6detail10TensorInfoIT0_T2_EENSG_IT1_SI_EESI_T_
    .private_segment_fixed_size: 0
    .sgpr_count:     42
    .sgpr_spill_count: 0
    .symbol:         _ZN2at4cuda12_GLOBAL__N_121kernelPointwiseApply2IZNS_6native9templates4cuda28bernoulli_tensor_cuda_kernelIhfEEvRKNS_10TensorBaseES9_NS_15PhiloxCudaStateEEUliRhSB_SB_SB_RKfSD_SD_SD_E_hSC_jLin1ELi2ELi4ELi512ELi2EEEvNS0_6detail10TensorInfoIT0_T2_EENSG_IT1_SI_EESI_T_.kd
    .uniform_work_group_size: 1
    .uses_dynamic_stack: false
    .vgpr_count:     43
    .vgpr_spill_count: 0
    .wavefront_size: 32
    .workgroup_processor_mode: 1
  - .args:
      - .offset:         0
        .size:           216
        .value_kind:     by_value
      - .offset:         216
        .size:           216
        .value_kind:     by_value
      - .offset:         432
        .size:           4
        .value_kind:     by_value
      - .offset:         440
        .size:           32
        .value_kind:     by_value
      - .offset:         472
        .size:           4
        .value_kind:     hidden_block_count_x
      - .offset:         476
        .size:           4
        .value_kind:     hidden_block_count_y
      - .offset:         480
        .size:           4
        .value_kind:     hidden_block_count_z
      - .offset:         484
        .size:           2
        .value_kind:     hidden_group_size_x
      - .offset:         486
        .size:           2
        .value_kind:     hidden_group_size_y
      - .offset:         488
        .size:           2
        .value_kind:     hidden_group_size_z
      - .offset:         490
        .size:           2
        .value_kind:     hidden_remainder_x
      - .offset:         492
        .size:           2
        .value_kind:     hidden_remainder_y
      - .offset:         494
        .size:           2
        .value_kind:     hidden_remainder_z
      - .offset:         512
        .size:           8
        .value_kind:     hidden_global_offset_x
      - .offset:         520
        .size:           8
        .value_kind:     hidden_global_offset_y
      - .offset:         528
        .size:           8
        .value_kind:     hidden_global_offset_z
      - .offset:         536
        .size:           2
        .value_kind:     hidden_grid_dims
    .group_segment_fixed_size: 0
    .kernarg_segment_align: 8
    .kernarg_segment_size: 728
    .language:       OpenCL C
    .language_version:
      - 2
      - 0
    .max_flat_workgroup_size: 512
    .name:           _ZN2at4cuda12_GLOBAL__N_121kernelPointwiseApply2IZNS_6native9templates4cuda28bernoulli_tensor_cuda_kernelIhfEEvRKNS_10TensorBaseES9_NS_15PhiloxCudaStateEEUliRhSB_SB_SB_RKfSD_SD_SD_E_hSC_jLin1ELin1ELi4ELi512ELi2EEEvNS0_6detail10TensorInfoIT0_T2_EENSG_IT1_SI_EESI_T_
    .private_segment_fixed_size: 0
    .sgpr_count:     44
    .sgpr_spill_count: 0
    .symbol:         _ZN2at4cuda12_GLOBAL__N_121kernelPointwiseApply2IZNS_6native9templates4cuda28bernoulli_tensor_cuda_kernelIhfEEvRKNS_10TensorBaseES9_NS_15PhiloxCudaStateEEUliRhSB_SB_SB_RKfSD_SD_SD_E_hSC_jLin1ELin1ELi4ELi512ELi2EEEvNS0_6detail10TensorInfoIT0_T2_EENSG_IT1_SI_EESI_T_.kd
    .uniform_work_group_size: 1
    .uses_dynamic_stack: false
    .vgpr_count:     41
    .vgpr_spill_count: 0
    .wavefront_size: 32
    .workgroup_processor_mode: 1
  - .args:
      - .offset:         0
        .size:           416
        .value_kind:     by_value
      - .offset:         416
        .size:           416
        .value_kind:     by_value
      - .offset:         832
        .size:           8
        .value_kind:     by_value
      - .offset:         840
        .size:           32
        .value_kind:     by_value
      - .offset:         872
        .size:           4
        .value_kind:     hidden_block_count_x
      - .offset:         876
        .size:           4
        .value_kind:     hidden_block_count_y
      - .offset:         880
        .size:           4
        .value_kind:     hidden_block_count_z
      - .offset:         884
        .size:           2
        .value_kind:     hidden_group_size_x
      - .offset:         886
        .size:           2
        .value_kind:     hidden_group_size_y
      - .offset:         888
        .size:           2
        .value_kind:     hidden_group_size_z
      - .offset:         890
        .size:           2
        .value_kind:     hidden_remainder_x
      - .offset:         892
        .size:           2
        .value_kind:     hidden_remainder_y
      - .offset:         894
        .size:           2
        .value_kind:     hidden_remainder_z
      - .offset:         912
        .size:           8
        .value_kind:     hidden_global_offset_x
      - .offset:         920
        .size:           8
        .value_kind:     hidden_global_offset_y
      - .offset:         928
        .size:           8
        .value_kind:     hidden_global_offset_z
      - .offset:         936
        .size:           2
        .value_kind:     hidden_grid_dims
    .group_segment_fixed_size: 0
    .kernarg_segment_align: 8
    .kernarg_segment_size: 1128
    .language:       OpenCL C
    .language_version:
      - 2
      - 0
    .max_flat_workgroup_size: 512
    .name:           _ZN2at4cuda12_GLOBAL__N_121kernelPointwiseApply2IZNS_6native9templates4cuda28bernoulli_tensor_cuda_kernelIhfEEvRKNS_10TensorBaseES9_NS_15PhiloxCudaStateEEUliRhSB_SB_SB_RKfSD_SD_SD_E_hSC_mLi1ELi1ELi4ELi512ELi2EEEvNS0_6detail10TensorInfoIT0_T2_EENSG_IT1_SI_EESI_T_
    .private_segment_fixed_size: 0
    .sgpr_count:     43
    .sgpr_spill_count: 0
    .symbol:         _ZN2at4cuda12_GLOBAL__N_121kernelPointwiseApply2IZNS_6native9templates4cuda28bernoulli_tensor_cuda_kernelIhfEEvRKNS_10TensorBaseES9_NS_15PhiloxCudaStateEEUliRhSB_SB_SB_RKfSD_SD_SD_E_hSC_mLi1ELi1ELi4ELi512ELi2EEEvNS0_6detail10TensorInfoIT0_T2_EENSG_IT1_SI_EESI_T_.kd
    .uniform_work_group_size: 1
    .uses_dynamic_stack: false
    .vgpr_count:     48
    .vgpr_spill_count: 0
    .wavefront_size: 32
    .workgroup_processor_mode: 1
  - .args:
      - .offset:         0
        .size:           416
        .value_kind:     by_value
      - .offset:         416
        .size:           416
        .value_kind:     by_value
      - .offset:         832
        .size:           8
        .value_kind:     by_value
      - .offset:         840
        .size:           32
        .value_kind:     by_value
      - .offset:         872
        .size:           4
        .value_kind:     hidden_block_count_x
      - .offset:         876
        .size:           4
        .value_kind:     hidden_block_count_y
      - .offset:         880
        .size:           4
        .value_kind:     hidden_block_count_z
      - .offset:         884
        .size:           2
        .value_kind:     hidden_group_size_x
      - .offset:         886
        .size:           2
        .value_kind:     hidden_group_size_y
      - .offset:         888
        .size:           2
        .value_kind:     hidden_group_size_z
      - .offset:         890
        .size:           2
        .value_kind:     hidden_remainder_x
      - .offset:         892
        .size:           2
        .value_kind:     hidden_remainder_y
      - .offset:         894
        .size:           2
        .value_kind:     hidden_remainder_z
      - .offset:         912
        .size:           8
        .value_kind:     hidden_global_offset_x
      - .offset:         920
        .size:           8
        .value_kind:     hidden_global_offset_y
      - .offset:         928
        .size:           8
        .value_kind:     hidden_global_offset_z
      - .offset:         936
        .size:           2
        .value_kind:     hidden_grid_dims
    .group_segment_fixed_size: 0
    .kernarg_segment_align: 8
    .kernarg_segment_size: 1128
    .language:       OpenCL C
    .language_version:
      - 2
      - 0
    .max_flat_workgroup_size: 512
    .name:           _ZN2at4cuda12_GLOBAL__N_121kernelPointwiseApply2IZNS_6native9templates4cuda28bernoulli_tensor_cuda_kernelIhfEEvRKNS_10TensorBaseES9_NS_15PhiloxCudaStateEEUliRhSB_SB_SB_RKfSD_SD_SD_E_hSC_mLin1ELin1ELi4ELi512ELi2EEEvNS0_6detail10TensorInfoIT0_T2_EENSG_IT1_SI_EESI_T_
    .private_segment_fixed_size: 0
    .sgpr_count:     48
    .sgpr_spill_count: 0
    .symbol:         _ZN2at4cuda12_GLOBAL__N_121kernelPointwiseApply2IZNS_6native9templates4cuda28bernoulli_tensor_cuda_kernelIhfEEvRKNS_10TensorBaseES9_NS_15PhiloxCudaStateEEUliRhSB_SB_SB_RKfSD_SD_SD_E_hSC_mLin1ELin1ELi4ELi512ELi2EEEvNS0_6detail10TensorInfoIT0_T2_EENSG_IT1_SI_EESI_T_.kd
    .uniform_work_group_size: 1
    .uses_dynamic_stack: false
    .vgpr_count:     47
    .vgpr_spill_count: 0
    .wavefront_size: 32
    .workgroup_processor_mode: 1
  - .args:
      - .offset:         0
        .size:           216
        .value_kind:     by_value
      - .offset:         216
        .size:           216
        .value_kind:     by_value
      - .offset:         432
        .size:           4
        .value_kind:     by_value
      - .offset:         440
        .size:           32
        .value_kind:     by_value
      - .offset:         472
        .size:           4
        .value_kind:     hidden_block_count_x
      - .offset:         476
        .size:           4
        .value_kind:     hidden_block_count_y
      - .offset:         480
        .size:           4
        .value_kind:     hidden_block_count_z
      - .offset:         484
        .size:           2
        .value_kind:     hidden_group_size_x
      - .offset:         486
        .size:           2
        .value_kind:     hidden_group_size_y
      - .offset:         488
        .size:           2
        .value_kind:     hidden_group_size_z
      - .offset:         490
        .size:           2
        .value_kind:     hidden_remainder_x
      - .offset:         492
        .size:           2
        .value_kind:     hidden_remainder_y
      - .offset:         494
        .size:           2
        .value_kind:     hidden_remainder_z
      - .offset:         512
        .size:           8
        .value_kind:     hidden_global_offset_x
      - .offset:         520
        .size:           8
        .value_kind:     hidden_global_offset_y
      - .offset:         528
        .size:           8
        .value_kind:     hidden_global_offset_z
      - .offset:         536
        .size:           2
        .value_kind:     hidden_grid_dims
    .group_segment_fixed_size: 0
    .kernarg_segment_align: 8
    .kernarg_segment_size: 728
    .language:       OpenCL C
    .language_version:
      - 2
      - 0
    .max_flat_workgroup_size: 512
    .name:           _ZN2at4cuda12_GLOBAL__N_121kernelPointwiseApply2IZNS_6native9templates4cuda28bernoulli_tensor_cuda_kernelIafEEvRKNS_10TensorBaseES9_NS_15PhiloxCudaStateEEUliRaSB_SB_SB_RKfSD_SD_SD_E_aSC_jLi1ELi1ELi4ELi512ELi2EEEvNS0_6detail10TensorInfoIT0_T2_EENSG_IT1_SI_EESI_T_
    .private_segment_fixed_size: 0
    .sgpr_count:     39
    .sgpr_spill_count: 0
    .symbol:         _ZN2at4cuda12_GLOBAL__N_121kernelPointwiseApply2IZNS_6native9templates4cuda28bernoulli_tensor_cuda_kernelIafEEvRKNS_10TensorBaseES9_NS_15PhiloxCudaStateEEUliRaSB_SB_SB_RKfSD_SD_SD_E_aSC_jLi1ELi1ELi4ELi512ELi2EEEvNS0_6detail10TensorInfoIT0_T2_EENSG_IT1_SI_EESI_T_.kd
    .uniform_work_group_size: 1
    .uses_dynamic_stack: false
    .vgpr_count:     40
    .vgpr_spill_count: 0
    .wavefront_size: 32
    .workgroup_processor_mode: 1
  - .args:
      - .offset:         0
        .size:           216
        .value_kind:     by_value
      - .offset:         216
        .size:           216
        .value_kind:     by_value
      - .offset:         432
        .size:           4
        .value_kind:     by_value
      - .offset:         440
        .size:           32
        .value_kind:     by_value
      - .offset:         472
        .size:           4
        .value_kind:     hidden_block_count_x
      - .offset:         476
        .size:           4
        .value_kind:     hidden_block_count_y
      - .offset:         480
        .size:           4
        .value_kind:     hidden_block_count_z
      - .offset:         484
        .size:           2
        .value_kind:     hidden_group_size_x
      - .offset:         486
        .size:           2
        .value_kind:     hidden_group_size_y
      - .offset:         488
        .size:           2
        .value_kind:     hidden_group_size_z
      - .offset:         490
        .size:           2
        .value_kind:     hidden_remainder_x
      - .offset:         492
        .size:           2
        .value_kind:     hidden_remainder_y
      - .offset:         494
        .size:           2
        .value_kind:     hidden_remainder_z
      - .offset:         512
        .size:           8
        .value_kind:     hidden_global_offset_x
      - .offset:         520
        .size:           8
        .value_kind:     hidden_global_offset_y
      - .offset:         528
        .size:           8
        .value_kind:     hidden_global_offset_z
      - .offset:         536
        .size:           2
        .value_kind:     hidden_grid_dims
    .group_segment_fixed_size: 0
    .kernarg_segment_align: 8
    .kernarg_segment_size: 728
    .language:       OpenCL C
    .language_version:
      - 2
      - 0
    .max_flat_workgroup_size: 512
    .name:           _ZN2at4cuda12_GLOBAL__N_121kernelPointwiseApply2IZNS_6native9templates4cuda28bernoulli_tensor_cuda_kernelIafEEvRKNS_10TensorBaseES9_NS_15PhiloxCudaStateEEUliRaSB_SB_SB_RKfSD_SD_SD_E_aSC_jLi1ELi2ELi4ELi512ELi2EEEvNS0_6detail10TensorInfoIT0_T2_EENSG_IT1_SI_EESI_T_
    .private_segment_fixed_size: 0
    .sgpr_count:     42
    .sgpr_spill_count: 0
    .symbol:         _ZN2at4cuda12_GLOBAL__N_121kernelPointwiseApply2IZNS_6native9templates4cuda28bernoulli_tensor_cuda_kernelIafEEvRKNS_10TensorBaseES9_NS_15PhiloxCudaStateEEUliRaSB_SB_SB_RKfSD_SD_SD_E_aSC_jLi1ELi2ELi4ELi512ELi2EEEvNS0_6detail10TensorInfoIT0_T2_EENSG_IT1_SI_EESI_T_.kd
    .uniform_work_group_size: 1
    .uses_dynamic_stack: false
    .vgpr_count:     44
    .vgpr_spill_count: 0
    .wavefront_size: 32
    .workgroup_processor_mode: 1
  - .args:
      - .offset:         0
        .size:           216
        .value_kind:     by_value
      - .offset:         216
        .size:           216
        .value_kind:     by_value
      - .offset:         432
        .size:           4
        .value_kind:     by_value
      - .offset:         440
        .size:           32
        .value_kind:     by_value
      - .offset:         472
        .size:           4
        .value_kind:     hidden_block_count_x
      - .offset:         476
        .size:           4
        .value_kind:     hidden_block_count_y
      - .offset:         480
        .size:           4
        .value_kind:     hidden_block_count_z
      - .offset:         484
        .size:           2
        .value_kind:     hidden_group_size_x
      - .offset:         486
        .size:           2
        .value_kind:     hidden_group_size_y
      - .offset:         488
        .size:           2
        .value_kind:     hidden_group_size_z
      - .offset:         490
        .size:           2
        .value_kind:     hidden_remainder_x
      - .offset:         492
        .size:           2
        .value_kind:     hidden_remainder_y
      - .offset:         494
        .size:           2
        .value_kind:     hidden_remainder_z
      - .offset:         512
        .size:           8
        .value_kind:     hidden_global_offset_x
      - .offset:         520
        .size:           8
        .value_kind:     hidden_global_offset_y
      - .offset:         528
        .size:           8
        .value_kind:     hidden_global_offset_z
      - .offset:         536
        .size:           2
        .value_kind:     hidden_grid_dims
    .group_segment_fixed_size: 0
    .kernarg_segment_align: 8
    .kernarg_segment_size: 728
    .language:       OpenCL C
    .language_version:
      - 2
      - 0
    .max_flat_workgroup_size: 512
    .name:           _ZN2at4cuda12_GLOBAL__N_121kernelPointwiseApply2IZNS_6native9templates4cuda28bernoulli_tensor_cuda_kernelIafEEvRKNS_10TensorBaseES9_NS_15PhiloxCudaStateEEUliRaSB_SB_SB_RKfSD_SD_SD_E_aSC_jLi1ELin1ELi4ELi512ELi2EEEvNS0_6detail10TensorInfoIT0_T2_EENSG_IT1_SI_EESI_T_
    .private_segment_fixed_size: 0
    .sgpr_count:     43
    .sgpr_spill_count: 0
    .symbol:         _ZN2at4cuda12_GLOBAL__N_121kernelPointwiseApply2IZNS_6native9templates4cuda28bernoulli_tensor_cuda_kernelIafEEvRKNS_10TensorBaseES9_NS_15PhiloxCudaStateEEUliRaSB_SB_SB_RKfSD_SD_SD_E_aSC_jLi1ELin1ELi4ELi512ELi2EEEvNS0_6detail10TensorInfoIT0_T2_EENSG_IT1_SI_EESI_T_.kd
    .uniform_work_group_size: 1
    .uses_dynamic_stack: false
    .vgpr_count:     41
    .vgpr_spill_count: 0
    .wavefront_size: 32
    .workgroup_processor_mode: 1
  - .args:
      - .offset:         0
        .size:           216
        .value_kind:     by_value
      - .offset:         216
        .size:           216
        .value_kind:     by_value
      - .offset:         432
        .size:           4
        .value_kind:     by_value
      - .offset:         440
        .size:           32
        .value_kind:     by_value
      - .offset:         472
        .size:           4
        .value_kind:     hidden_block_count_x
      - .offset:         476
        .size:           4
        .value_kind:     hidden_block_count_y
      - .offset:         480
        .size:           4
        .value_kind:     hidden_block_count_z
      - .offset:         484
        .size:           2
        .value_kind:     hidden_group_size_x
      - .offset:         486
        .size:           2
        .value_kind:     hidden_group_size_y
      - .offset:         488
        .size:           2
        .value_kind:     hidden_group_size_z
      - .offset:         490
        .size:           2
        .value_kind:     hidden_remainder_x
      - .offset:         492
        .size:           2
        .value_kind:     hidden_remainder_y
      - .offset:         494
        .size:           2
        .value_kind:     hidden_remainder_z
      - .offset:         512
        .size:           8
        .value_kind:     hidden_global_offset_x
      - .offset:         520
        .size:           8
        .value_kind:     hidden_global_offset_y
      - .offset:         528
        .size:           8
        .value_kind:     hidden_global_offset_z
      - .offset:         536
        .size:           2
        .value_kind:     hidden_grid_dims
    .group_segment_fixed_size: 0
    .kernarg_segment_align: 8
    .kernarg_segment_size: 728
    .language:       OpenCL C
    .language_version:
      - 2
      - 0
    .max_flat_workgroup_size: 512
    .name:           _ZN2at4cuda12_GLOBAL__N_121kernelPointwiseApply2IZNS_6native9templates4cuda28bernoulli_tensor_cuda_kernelIafEEvRKNS_10TensorBaseES9_NS_15PhiloxCudaStateEEUliRaSB_SB_SB_RKfSD_SD_SD_E_aSC_jLi2ELi1ELi4ELi512ELi2EEEvNS0_6detail10TensorInfoIT0_T2_EENSG_IT1_SI_EESI_T_
    .private_segment_fixed_size: 0
    .sgpr_count:     42
    .sgpr_spill_count: 0
    .symbol:         _ZN2at4cuda12_GLOBAL__N_121kernelPointwiseApply2IZNS_6native9templates4cuda28bernoulli_tensor_cuda_kernelIafEEvRKNS_10TensorBaseES9_NS_15PhiloxCudaStateEEUliRaSB_SB_SB_RKfSD_SD_SD_E_aSC_jLi2ELi1ELi4ELi512ELi2EEEvNS0_6detail10TensorInfoIT0_T2_EENSG_IT1_SI_EESI_T_.kd
    .uniform_work_group_size: 1
    .uses_dynamic_stack: false
    .vgpr_count:     44
    .vgpr_spill_count: 0
    .wavefront_size: 32
    .workgroup_processor_mode: 1
  - .args:
      - .offset:         0
        .size:           216
        .value_kind:     by_value
      - .offset:         216
        .size:           216
        .value_kind:     by_value
      - .offset:         432
        .size:           4
        .value_kind:     by_value
      - .offset:         440
        .size:           32
        .value_kind:     by_value
      - .offset:         472
        .size:           4
        .value_kind:     hidden_block_count_x
      - .offset:         476
        .size:           4
        .value_kind:     hidden_block_count_y
      - .offset:         480
        .size:           4
        .value_kind:     hidden_block_count_z
      - .offset:         484
        .size:           2
        .value_kind:     hidden_group_size_x
      - .offset:         486
        .size:           2
        .value_kind:     hidden_group_size_y
      - .offset:         488
        .size:           2
        .value_kind:     hidden_group_size_z
      - .offset:         490
        .size:           2
        .value_kind:     hidden_remainder_x
      - .offset:         492
        .size:           2
        .value_kind:     hidden_remainder_y
      - .offset:         494
        .size:           2
        .value_kind:     hidden_remainder_z
      - .offset:         512
        .size:           8
        .value_kind:     hidden_global_offset_x
      - .offset:         520
        .size:           8
        .value_kind:     hidden_global_offset_y
      - .offset:         528
        .size:           8
        .value_kind:     hidden_global_offset_z
      - .offset:         536
        .size:           2
        .value_kind:     hidden_grid_dims
    .group_segment_fixed_size: 0
    .kernarg_segment_align: 8
    .kernarg_segment_size: 728
    .language:       OpenCL C
    .language_version:
      - 2
      - 0
    .max_flat_workgroup_size: 512
    .name:           _ZN2at4cuda12_GLOBAL__N_121kernelPointwiseApply2IZNS_6native9templates4cuda28bernoulli_tensor_cuda_kernelIafEEvRKNS_10TensorBaseES9_NS_15PhiloxCudaStateEEUliRaSB_SB_SB_RKfSD_SD_SD_E_aSC_jLi2ELi2ELi4ELi512ELi2EEEvNS0_6detail10TensorInfoIT0_T2_EENSG_IT1_SI_EESI_T_
    .private_segment_fixed_size: 0
    .sgpr_count:     42
    .sgpr_spill_count: 0
    .symbol:         _ZN2at4cuda12_GLOBAL__N_121kernelPointwiseApply2IZNS_6native9templates4cuda28bernoulli_tensor_cuda_kernelIafEEvRKNS_10TensorBaseES9_NS_15PhiloxCudaStateEEUliRaSB_SB_SB_RKfSD_SD_SD_E_aSC_jLi2ELi2ELi4ELi512ELi2EEEvNS0_6detail10TensorInfoIT0_T2_EENSG_IT1_SI_EESI_T_.kd
    .uniform_work_group_size: 1
    .uses_dynamic_stack: false
    .vgpr_count:     45
    .vgpr_spill_count: 0
    .wavefront_size: 32
    .workgroup_processor_mode: 1
  - .args:
      - .offset:         0
        .size:           216
        .value_kind:     by_value
      - .offset:         216
        .size:           216
        .value_kind:     by_value
      - .offset:         432
        .size:           4
        .value_kind:     by_value
      - .offset:         440
        .size:           32
        .value_kind:     by_value
      - .offset:         472
        .size:           4
        .value_kind:     hidden_block_count_x
      - .offset:         476
        .size:           4
        .value_kind:     hidden_block_count_y
      - .offset:         480
        .size:           4
        .value_kind:     hidden_block_count_z
      - .offset:         484
        .size:           2
        .value_kind:     hidden_group_size_x
      - .offset:         486
        .size:           2
        .value_kind:     hidden_group_size_y
      - .offset:         488
        .size:           2
        .value_kind:     hidden_group_size_z
      - .offset:         490
        .size:           2
        .value_kind:     hidden_remainder_x
      - .offset:         492
        .size:           2
        .value_kind:     hidden_remainder_y
      - .offset:         494
        .size:           2
        .value_kind:     hidden_remainder_z
      - .offset:         512
        .size:           8
        .value_kind:     hidden_global_offset_x
      - .offset:         520
        .size:           8
        .value_kind:     hidden_global_offset_y
      - .offset:         528
        .size:           8
        .value_kind:     hidden_global_offset_z
      - .offset:         536
        .size:           2
        .value_kind:     hidden_grid_dims
    .group_segment_fixed_size: 0
    .kernarg_segment_align: 8
    .kernarg_segment_size: 728
    .language:       OpenCL C
    .language_version:
      - 2
      - 0
    .max_flat_workgroup_size: 512
    .name:           _ZN2at4cuda12_GLOBAL__N_121kernelPointwiseApply2IZNS_6native9templates4cuda28bernoulli_tensor_cuda_kernelIafEEvRKNS_10TensorBaseES9_NS_15PhiloxCudaStateEEUliRaSB_SB_SB_RKfSD_SD_SD_E_aSC_jLi2ELin1ELi4ELi512ELi2EEEvNS0_6detail10TensorInfoIT0_T2_EENSG_IT1_SI_EESI_T_
    .private_segment_fixed_size: 0
    .sgpr_count:     42
    .sgpr_spill_count: 0
    .symbol:         _ZN2at4cuda12_GLOBAL__N_121kernelPointwiseApply2IZNS_6native9templates4cuda28bernoulli_tensor_cuda_kernelIafEEvRKNS_10TensorBaseES9_NS_15PhiloxCudaStateEEUliRaSB_SB_SB_RKfSD_SD_SD_E_aSC_jLi2ELin1ELi4ELi512ELi2EEEvNS0_6detail10TensorInfoIT0_T2_EENSG_IT1_SI_EESI_T_.kd
    .uniform_work_group_size: 1
    .uses_dynamic_stack: false
    .vgpr_count:     42
    .vgpr_spill_count: 0
    .wavefront_size: 32
    .workgroup_processor_mode: 1
  - .args:
      - .offset:         0
        .size:           216
        .value_kind:     by_value
      - .offset:         216
        .size:           216
        .value_kind:     by_value
      - .offset:         432
        .size:           4
        .value_kind:     by_value
      - .offset:         440
        .size:           32
        .value_kind:     by_value
      - .offset:         472
        .size:           4
        .value_kind:     hidden_block_count_x
      - .offset:         476
        .size:           4
        .value_kind:     hidden_block_count_y
      - .offset:         480
        .size:           4
        .value_kind:     hidden_block_count_z
      - .offset:         484
        .size:           2
        .value_kind:     hidden_group_size_x
      - .offset:         486
        .size:           2
        .value_kind:     hidden_group_size_y
      - .offset:         488
        .size:           2
        .value_kind:     hidden_group_size_z
      - .offset:         490
        .size:           2
        .value_kind:     hidden_remainder_x
      - .offset:         492
        .size:           2
        .value_kind:     hidden_remainder_y
      - .offset:         494
        .size:           2
        .value_kind:     hidden_remainder_z
      - .offset:         512
        .size:           8
        .value_kind:     hidden_global_offset_x
      - .offset:         520
        .size:           8
        .value_kind:     hidden_global_offset_y
      - .offset:         528
        .size:           8
        .value_kind:     hidden_global_offset_z
      - .offset:         536
        .size:           2
        .value_kind:     hidden_grid_dims
    .group_segment_fixed_size: 0
    .kernarg_segment_align: 8
    .kernarg_segment_size: 728
    .language:       OpenCL C
    .language_version:
      - 2
      - 0
    .max_flat_workgroup_size: 512
    .name:           _ZN2at4cuda12_GLOBAL__N_121kernelPointwiseApply2IZNS_6native9templates4cuda28bernoulli_tensor_cuda_kernelIafEEvRKNS_10TensorBaseES9_NS_15PhiloxCudaStateEEUliRaSB_SB_SB_RKfSD_SD_SD_E_aSC_jLin1ELi1ELi4ELi512ELi2EEEvNS0_6detail10TensorInfoIT0_T2_EENSG_IT1_SI_EESI_T_
    .private_segment_fixed_size: 0
    .sgpr_count:     43
    .sgpr_spill_count: 0
    .symbol:         _ZN2at4cuda12_GLOBAL__N_121kernelPointwiseApply2IZNS_6native9templates4cuda28bernoulli_tensor_cuda_kernelIafEEvRKNS_10TensorBaseES9_NS_15PhiloxCudaStateEEUliRaSB_SB_SB_RKfSD_SD_SD_E_aSC_jLin1ELi1ELi4ELi512ELi2EEEvNS0_6detail10TensorInfoIT0_T2_EENSG_IT1_SI_EESI_T_.kd
    .uniform_work_group_size: 1
    .uses_dynamic_stack: false
    .vgpr_count:     41
    .vgpr_spill_count: 0
    .wavefront_size: 32
    .workgroup_processor_mode: 1
  - .args:
      - .offset:         0
        .size:           216
        .value_kind:     by_value
      - .offset:         216
        .size:           216
        .value_kind:     by_value
      - .offset:         432
        .size:           4
        .value_kind:     by_value
      - .offset:         440
        .size:           32
        .value_kind:     by_value
      - .offset:         472
        .size:           4
        .value_kind:     hidden_block_count_x
      - .offset:         476
        .size:           4
        .value_kind:     hidden_block_count_y
      - .offset:         480
        .size:           4
        .value_kind:     hidden_block_count_z
      - .offset:         484
        .size:           2
        .value_kind:     hidden_group_size_x
      - .offset:         486
        .size:           2
        .value_kind:     hidden_group_size_y
      - .offset:         488
        .size:           2
        .value_kind:     hidden_group_size_z
      - .offset:         490
        .size:           2
        .value_kind:     hidden_remainder_x
      - .offset:         492
        .size:           2
        .value_kind:     hidden_remainder_y
      - .offset:         494
        .size:           2
        .value_kind:     hidden_remainder_z
      - .offset:         512
        .size:           8
        .value_kind:     hidden_global_offset_x
      - .offset:         520
        .size:           8
        .value_kind:     hidden_global_offset_y
      - .offset:         528
        .size:           8
        .value_kind:     hidden_global_offset_z
      - .offset:         536
        .size:           2
        .value_kind:     hidden_grid_dims
    .group_segment_fixed_size: 0
    .kernarg_segment_align: 8
    .kernarg_segment_size: 728
    .language:       OpenCL C
    .language_version:
      - 2
      - 0
    .max_flat_workgroup_size: 512
    .name:           _ZN2at4cuda12_GLOBAL__N_121kernelPointwiseApply2IZNS_6native9templates4cuda28bernoulli_tensor_cuda_kernelIafEEvRKNS_10TensorBaseES9_NS_15PhiloxCudaStateEEUliRaSB_SB_SB_RKfSD_SD_SD_E_aSC_jLin1ELi2ELi4ELi512ELi2EEEvNS0_6detail10TensorInfoIT0_T2_EENSG_IT1_SI_EESI_T_
    .private_segment_fixed_size: 0
    .sgpr_count:     42
    .sgpr_spill_count: 0
    .symbol:         _ZN2at4cuda12_GLOBAL__N_121kernelPointwiseApply2IZNS_6native9templates4cuda28bernoulli_tensor_cuda_kernelIafEEvRKNS_10TensorBaseES9_NS_15PhiloxCudaStateEEUliRaSB_SB_SB_RKfSD_SD_SD_E_aSC_jLin1ELi2ELi4ELi512ELi2EEEvNS0_6detail10TensorInfoIT0_T2_EENSG_IT1_SI_EESI_T_.kd
    .uniform_work_group_size: 1
    .uses_dynamic_stack: false
    .vgpr_count:     43
    .vgpr_spill_count: 0
    .wavefront_size: 32
    .workgroup_processor_mode: 1
  - .args:
      - .offset:         0
        .size:           216
        .value_kind:     by_value
      - .offset:         216
        .size:           216
        .value_kind:     by_value
      - .offset:         432
        .size:           4
        .value_kind:     by_value
      - .offset:         440
        .size:           32
        .value_kind:     by_value
      - .offset:         472
        .size:           4
        .value_kind:     hidden_block_count_x
      - .offset:         476
        .size:           4
        .value_kind:     hidden_block_count_y
      - .offset:         480
        .size:           4
        .value_kind:     hidden_block_count_z
      - .offset:         484
        .size:           2
        .value_kind:     hidden_group_size_x
      - .offset:         486
        .size:           2
        .value_kind:     hidden_group_size_y
      - .offset:         488
        .size:           2
        .value_kind:     hidden_group_size_z
      - .offset:         490
        .size:           2
        .value_kind:     hidden_remainder_x
      - .offset:         492
        .size:           2
        .value_kind:     hidden_remainder_y
      - .offset:         494
        .size:           2
        .value_kind:     hidden_remainder_z
      - .offset:         512
        .size:           8
        .value_kind:     hidden_global_offset_x
      - .offset:         520
        .size:           8
        .value_kind:     hidden_global_offset_y
      - .offset:         528
        .size:           8
        .value_kind:     hidden_global_offset_z
      - .offset:         536
        .size:           2
        .value_kind:     hidden_grid_dims
    .group_segment_fixed_size: 0
    .kernarg_segment_align: 8
    .kernarg_segment_size: 728
    .language:       OpenCL C
    .language_version:
      - 2
      - 0
    .max_flat_workgroup_size: 512
    .name:           _ZN2at4cuda12_GLOBAL__N_121kernelPointwiseApply2IZNS_6native9templates4cuda28bernoulli_tensor_cuda_kernelIafEEvRKNS_10TensorBaseES9_NS_15PhiloxCudaStateEEUliRaSB_SB_SB_RKfSD_SD_SD_E_aSC_jLin1ELin1ELi4ELi512ELi2EEEvNS0_6detail10TensorInfoIT0_T2_EENSG_IT1_SI_EESI_T_
    .private_segment_fixed_size: 0
    .sgpr_count:     44
    .sgpr_spill_count: 0
    .symbol:         _ZN2at4cuda12_GLOBAL__N_121kernelPointwiseApply2IZNS_6native9templates4cuda28bernoulli_tensor_cuda_kernelIafEEvRKNS_10TensorBaseES9_NS_15PhiloxCudaStateEEUliRaSB_SB_SB_RKfSD_SD_SD_E_aSC_jLin1ELin1ELi4ELi512ELi2EEEvNS0_6detail10TensorInfoIT0_T2_EENSG_IT1_SI_EESI_T_.kd
    .uniform_work_group_size: 1
    .uses_dynamic_stack: false
    .vgpr_count:     41
    .vgpr_spill_count: 0
    .wavefront_size: 32
    .workgroup_processor_mode: 1
  - .args:
      - .offset:         0
        .size:           416
        .value_kind:     by_value
      - .offset:         416
        .size:           416
        .value_kind:     by_value
      - .offset:         832
        .size:           8
        .value_kind:     by_value
      - .offset:         840
        .size:           32
        .value_kind:     by_value
      - .offset:         872
        .size:           4
        .value_kind:     hidden_block_count_x
      - .offset:         876
        .size:           4
        .value_kind:     hidden_block_count_y
      - .offset:         880
        .size:           4
        .value_kind:     hidden_block_count_z
      - .offset:         884
        .size:           2
        .value_kind:     hidden_group_size_x
      - .offset:         886
        .size:           2
        .value_kind:     hidden_group_size_y
      - .offset:         888
        .size:           2
        .value_kind:     hidden_group_size_z
      - .offset:         890
        .size:           2
        .value_kind:     hidden_remainder_x
      - .offset:         892
        .size:           2
        .value_kind:     hidden_remainder_y
      - .offset:         894
        .size:           2
        .value_kind:     hidden_remainder_z
      - .offset:         912
        .size:           8
        .value_kind:     hidden_global_offset_x
      - .offset:         920
        .size:           8
        .value_kind:     hidden_global_offset_y
      - .offset:         928
        .size:           8
        .value_kind:     hidden_global_offset_z
      - .offset:         936
        .size:           2
        .value_kind:     hidden_grid_dims
    .group_segment_fixed_size: 0
    .kernarg_segment_align: 8
    .kernarg_segment_size: 1128
    .language:       OpenCL C
    .language_version:
      - 2
      - 0
    .max_flat_workgroup_size: 512
    .name:           _ZN2at4cuda12_GLOBAL__N_121kernelPointwiseApply2IZNS_6native9templates4cuda28bernoulli_tensor_cuda_kernelIafEEvRKNS_10TensorBaseES9_NS_15PhiloxCudaStateEEUliRaSB_SB_SB_RKfSD_SD_SD_E_aSC_mLi1ELi1ELi4ELi512ELi2EEEvNS0_6detail10TensorInfoIT0_T2_EENSG_IT1_SI_EESI_T_
    .private_segment_fixed_size: 0
    .sgpr_count:     43
    .sgpr_spill_count: 0
    .symbol:         _ZN2at4cuda12_GLOBAL__N_121kernelPointwiseApply2IZNS_6native9templates4cuda28bernoulli_tensor_cuda_kernelIafEEvRKNS_10TensorBaseES9_NS_15PhiloxCudaStateEEUliRaSB_SB_SB_RKfSD_SD_SD_E_aSC_mLi1ELi1ELi4ELi512ELi2EEEvNS0_6detail10TensorInfoIT0_T2_EENSG_IT1_SI_EESI_T_.kd
    .uniform_work_group_size: 1
    .uses_dynamic_stack: false
    .vgpr_count:     48
    .vgpr_spill_count: 0
    .wavefront_size: 32
    .workgroup_processor_mode: 1
  - .args:
      - .offset:         0
        .size:           416
        .value_kind:     by_value
      - .offset:         416
        .size:           416
        .value_kind:     by_value
      - .offset:         832
        .size:           8
        .value_kind:     by_value
      - .offset:         840
        .size:           32
        .value_kind:     by_value
      - .offset:         872
        .size:           4
        .value_kind:     hidden_block_count_x
      - .offset:         876
        .size:           4
        .value_kind:     hidden_block_count_y
      - .offset:         880
        .size:           4
        .value_kind:     hidden_block_count_z
      - .offset:         884
        .size:           2
        .value_kind:     hidden_group_size_x
      - .offset:         886
        .size:           2
        .value_kind:     hidden_group_size_y
      - .offset:         888
        .size:           2
        .value_kind:     hidden_group_size_z
      - .offset:         890
        .size:           2
        .value_kind:     hidden_remainder_x
      - .offset:         892
        .size:           2
        .value_kind:     hidden_remainder_y
      - .offset:         894
        .size:           2
        .value_kind:     hidden_remainder_z
      - .offset:         912
        .size:           8
        .value_kind:     hidden_global_offset_x
      - .offset:         920
        .size:           8
        .value_kind:     hidden_global_offset_y
      - .offset:         928
        .size:           8
        .value_kind:     hidden_global_offset_z
      - .offset:         936
        .size:           2
        .value_kind:     hidden_grid_dims
    .group_segment_fixed_size: 0
    .kernarg_segment_align: 8
    .kernarg_segment_size: 1128
    .language:       OpenCL C
    .language_version:
      - 2
      - 0
    .max_flat_workgroup_size: 512
    .name:           _ZN2at4cuda12_GLOBAL__N_121kernelPointwiseApply2IZNS_6native9templates4cuda28bernoulli_tensor_cuda_kernelIafEEvRKNS_10TensorBaseES9_NS_15PhiloxCudaStateEEUliRaSB_SB_SB_RKfSD_SD_SD_E_aSC_mLin1ELin1ELi4ELi512ELi2EEEvNS0_6detail10TensorInfoIT0_T2_EENSG_IT1_SI_EESI_T_
    .private_segment_fixed_size: 0
    .sgpr_count:     48
    .sgpr_spill_count: 0
    .symbol:         _ZN2at4cuda12_GLOBAL__N_121kernelPointwiseApply2IZNS_6native9templates4cuda28bernoulli_tensor_cuda_kernelIafEEvRKNS_10TensorBaseES9_NS_15PhiloxCudaStateEEUliRaSB_SB_SB_RKfSD_SD_SD_E_aSC_mLin1ELin1ELi4ELi512ELi2EEEvNS0_6detail10TensorInfoIT0_T2_EENSG_IT1_SI_EESI_T_.kd
    .uniform_work_group_size: 1
    .uses_dynamic_stack: false
    .vgpr_count:     47
    .vgpr_spill_count: 0
    .wavefront_size: 32
    .workgroup_processor_mode: 1
  - .args:
      - .offset:         0
        .size:           216
        .value_kind:     by_value
      - .offset:         216
        .size:           216
        .value_kind:     by_value
      - .offset:         432
        .size:           4
        .value_kind:     by_value
      - .offset:         440
        .size:           32
        .value_kind:     by_value
      - .offset:         472
        .size:           4
        .value_kind:     hidden_block_count_x
      - .offset:         476
        .size:           4
        .value_kind:     hidden_block_count_y
      - .offset:         480
        .size:           4
        .value_kind:     hidden_block_count_z
      - .offset:         484
        .size:           2
        .value_kind:     hidden_group_size_x
      - .offset:         486
        .size:           2
        .value_kind:     hidden_group_size_y
      - .offset:         488
        .size:           2
        .value_kind:     hidden_group_size_z
      - .offset:         490
        .size:           2
        .value_kind:     hidden_remainder_x
      - .offset:         492
        .size:           2
        .value_kind:     hidden_remainder_y
      - .offset:         494
        .size:           2
        .value_kind:     hidden_remainder_z
      - .offset:         512
        .size:           8
        .value_kind:     hidden_global_offset_x
      - .offset:         520
        .size:           8
        .value_kind:     hidden_global_offset_y
      - .offset:         528
        .size:           8
        .value_kind:     hidden_global_offset_z
      - .offset:         536
        .size:           2
        .value_kind:     hidden_grid_dims
    .group_segment_fixed_size: 0
    .kernarg_segment_align: 8
    .kernarg_segment_size: 728
    .language:       OpenCL C
    .language_version:
      - 2
      - 0
    .max_flat_workgroup_size: 512
    .name:           _ZN2at4cuda12_GLOBAL__N_121kernelPointwiseApply2IZNS_6native9templates4cuda28bernoulli_tensor_cuda_kernelIifEEvRKNS_10TensorBaseES9_NS_15PhiloxCudaStateEEUliRiSB_SB_SB_RKfSD_SD_SD_E_iSC_jLi1ELi1ELi4ELi512ELi2EEEvNS0_6detail10TensorInfoIT0_T2_EENSG_IT1_SI_EESI_T_
    .private_segment_fixed_size: 0
    .sgpr_count:     40
    .sgpr_spill_count: 0
    .symbol:         _ZN2at4cuda12_GLOBAL__N_121kernelPointwiseApply2IZNS_6native9templates4cuda28bernoulli_tensor_cuda_kernelIifEEvRKNS_10TensorBaseES9_NS_15PhiloxCudaStateEEUliRiSB_SB_SB_RKfSD_SD_SD_E_iSC_jLi1ELi1ELi4ELi512ELi2EEEvNS0_6detail10TensorInfoIT0_T2_EENSG_IT1_SI_EESI_T_.kd
    .uniform_work_group_size: 1
    .uses_dynamic_stack: false
    .vgpr_count:     44
    .vgpr_spill_count: 0
    .wavefront_size: 32
    .workgroup_processor_mode: 1
  - .args:
      - .offset:         0
        .size:           216
        .value_kind:     by_value
      - .offset:         216
        .size:           216
        .value_kind:     by_value
      - .offset:         432
        .size:           4
        .value_kind:     by_value
      - .offset:         440
        .size:           32
        .value_kind:     by_value
      - .offset:         472
        .size:           4
        .value_kind:     hidden_block_count_x
      - .offset:         476
        .size:           4
        .value_kind:     hidden_block_count_y
      - .offset:         480
        .size:           4
        .value_kind:     hidden_block_count_z
      - .offset:         484
        .size:           2
        .value_kind:     hidden_group_size_x
      - .offset:         486
        .size:           2
        .value_kind:     hidden_group_size_y
      - .offset:         488
        .size:           2
        .value_kind:     hidden_group_size_z
      - .offset:         490
        .size:           2
        .value_kind:     hidden_remainder_x
      - .offset:         492
        .size:           2
        .value_kind:     hidden_remainder_y
      - .offset:         494
        .size:           2
        .value_kind:     hidden_remainder_z
      - .offset:         512
        .size:           8
        .value_kind:     hidden_global_offset_x
      - .offset:         520
        .size:           8
        .value_kind:     hidden_global_offset_y
      - .offset:         528
        .size:           8
        .value_kind:     hidden_global_offset_z
      - .offset:         536
        .size:           2
        .value_kind:     hidden_grid_dims
    .group_segment_fixed_size: 0
    .kernarg_segment_align: 8
    .kernarg_segment_size: 728
    .language:       OpenCL C
    .language_version:
      - 2
      - 0
    .max_flat_workgroup_size: 512
    .name:           _ZN2at4cuda12_GLOBAL__N_121kernelPointwiseApply2IZNS_6native9templates4cuda28bernoulli_tensor_cuda_kernelIifEEvRKNS_10TensorBaseES9_NS_15PhiloxCudaStateEEUliRiSB_SB_SB_RKfSD_SD_SD_E_iSC_jLi1ELi2ELi4ELi512ELi2EEEvNS0_6detail10TensorInfoIT0_T2_EENSG_IT1_SI_EESI_T_
    .private_segment_fixed_size: 0
    .sgpr_count:     42
    .sgpr_spill_count: 0
    .symbol:         _ZN2at4cuda12_GLOBAL__N_121kernelPointwiseApply2IZNS_6native9templates4cuda28bernoulli_tensor_cuda_kernelIifEEvRKNS_10TensorBaseES9_NS_15PhiloxCudaStateEEUliRiSB_SB_SB_RKfSD_SD_SD_E_iSC_jLi1ELi2ELi4ELi512ELi2EEEvNS0_6detail10TensorInfoIT0_T2_EENSG_IT1_SI_EESI_T_.kd
    .uniform_work_group_size: 1
    .uses_dynamic_stack: false
    .vgpr_count:     42
    .vgpr_spill_count: 0
    .wavefront_size: 32
    .workgroup_processor_mode: 1
  - .args:
      - .offset:         0
        .size:           216
        .value_kind:     by_value
      - .offset:         216
        .size:           216
        .value_kind:     by_value
      - .offset:         432
        .size:           4
        .value_kind:     by_value
      - .offset:         440
        .size:           32
        .value_kind:     by_value
      - .offset:         472
        .size:           4
        .value_kind:     hidden_block_count_x
      - .offset:         476
        .size:           4
        .value_kind:     hidden_block_count_y
      - .offset:         480
        .size:           4
        .value_kind:     hidden_block_count_z
      - .offset:         484
        .size:           2
        .value_kind:     hidden_group_size_x
      - .offset:         486
        .size:           2
        .value_kind:     hidden_group_size_y
      - .offset:         488
        .size:           2
        .value_kind:     hidden_group_size_z
      - .offset:         490
        .size:           2
        .value_kind:     hidden_remainder_x
      - .offset:         492
        .size:           2
        .value_kind:     hidden_remainder_y
      - .offset:         494
        .size:           2
        .value_kind:     hidden_remainder_z
      - .offset:         512
        .size:           8
        .value_kind:     hidden_global_offset_x
      - .offset:         520
        .size:           8
        .value_kind:     hidden_global_offset_y
      - .offset:         528
        .size:           8
        .value_kind:     hidden_global_offset_z
      - .offset:         536
        .size:           2
        .value_kind:     hidden_grid_dims
    .group_segment_fixed_size: 0
    .kernarg_segment_align: 8
    .kernarg_segment_size: 728
    .language:       OpenCL C
    .language_version:
      - 2
      - 0
    .max_flat_workgroup_size: 512
    .name:           _ZN2at4cuda12_GLOBAL__N_121kernelPointwiseApply2IZNS_6native9templates4cuda28bernoulli_tensor_cuda_kernelIifEEvRKNS_10TensorBaseES9_NS_15PhiloxCudaStateEEUliRiSB_SB_SB_RKfSD_SD_SD_E_iSC_jLi1ELin1ELi4ELi512ELi2EEEvNS0_6detail10TensorInfoIT0_T2_EENSG_IT1_SI_EESI_T_
    .private_segment_fixed_size: 0
    .sgpr_count:     43
    .sgpr_spill_count: 0
    .symbol:         _ZN2at4cuda12_GLOBAL__N_121kernelPointwiseApply2IZNS_6native9templates4cuda28bernoulli_tensor_cuda_kernelIifEEvRKNS_10TensorBaseES9_NS_15PhiloxCudaStateEEUliRiSB_SB_SB_RKfSD_SD_SD_E_iSC_jLi1ELin1ELi4ELi512ELi2EEEvNS0_6detail10TensorInfoIT0_T2_EENSG_IT1_SI_EESI_T_.kd
    .uniform_work_group_size: 1
    .uses_dynamic_stack: false
    .vgpr_count:     39
    .vgpr_spill_count: 0
    .wavefront_size: 32
    .workgroup_processor_mode: 1
  - .args:
      - .offset:         0
        .size:           216
        .value_kind:     by_value
      - .offset:         216
        .size:           216
        .value_kind:     by_value
      - .offset:         432
        .size:           4
        .value_kind:     by_value
      - .offset:         440
        .size:           32
        .value_kind:     by_value
      - .offset:         472
        .size:           4
        .value_kind:     hidden_block_count_x
      - .offset:         476
        .size:           4
        .value_kind:     hidden_block_count_y
      - .offset:         480
        .size:           4
        .value_kind:     hidden_block_count_z
      - .offset:         484
        .size:           2
        .value_kind:     hidden_group_size_x
      - .offset:         486
        .size:           2
        .value_kind:     hidden_group_size_y
      - .offset:         488
        .size:           2
        .value_kind:     hidden_group_size_z
      - .offset:         490
        .size:           2
        .value_kind:     hidden_remainder_x
      - .offset:         492
        .size:           2
        .value_kind:     hidden_remainder_y
      - .offset:         494
        .size:           2
        .value_kind:     hidden_remainder_z
      - .offset:         512
        .size:           8
        .value_kind:     hidden_global_offset_x
      - .offset:         520
        .size:           8
        .value_kind:     hidden_global_offset_y
      - .offset:         528
        .size:           8
        .value_kind:     hidden_global_offset_z
      - .offset:         536
        .size:           2
        .value_kind:     hidden_grid_dims
    .group_segment_fixed_size: 0
    .kernarg_segment_align: 8
    .kernarg_segment_size: 728
    .language:       OpenCL C
    .language_version:
      - 2
      - 0
    .max_flat_workgroup_size: 512
    .name:           _ZN2at4cuda12_GLOBAL__N_121kernelPointwiseApply2IZNS_6native9templates4cuda28bernoulli_tensor_cuda_kernelIifEEvRKNS_10TensorBaseES9_NS_15PhiloxCudaStateEEUliRiSB_SB_SB_RKfSD_SD_SD_E_iSC_jLi2ELi1ELi4ELi512ELi2EEEvNS0_6detail10TensorInfoIT0_T2_EENSG_IT1_SI_EESI_T_
    .private_segment_fixed_size: 0
    .sgpr_count:     40
    .sgpr_spill_count: 0
    .symbol:         _ZN2at4cuda12_GLOBAL__N_121kernelPointwiseApply2IZNS_6native9templates4cuda28bernoulli_tensor_cuda_kernelIifEEvRKNS_10TensorBaseES9_NS_15PhiloxCudaStateEEUliRiSB_SB_SB_RKfSD_SD_SD_E_iSC_jLi2ELi1ELi4ELi512ELi2EEEvNS0_6detail10TensorInfoIT0_T2_EENSG_IT1_SI_EESI_T_.kd
    .uniform_work_group_size: 1
    .uses_dynamic_stack: false
    .vgpr_count:     48
    .vgpr_spill_count: 0
    .wavefront_size: 32
    .workgroup_processor_mode: 1
  - .args:
      - .offset:         0
        .size:           216
        .value_kind:     by_value
      - .offset:         216
        .size:           216
        .value_kind:     by_value
      - .offset:         432
        .size:           4
        .value_kind:     by_value
      - .offset:         440
        .size:           32
        .value_kind:     by_value
      - .offset:         472
        .size:           4
        .value_kind:     hidden_block_count_x
      - .offset:         476
        .size:           4
        .value_kind:     hidden_block_count_y
      - .offset:         480
        .size:           4
        .value_kind:     hidden_block_count_z
      - .offset:         484
        .size:           2
        .value_kind:     hidden_group_size_x
      - .offset:         486
        .size:           2
        .value_kind:     hidden_group_size_y
      - .offset:         488
        .size:           2
        .value_kind:     hidden_group_size_z
      - .offset:         490
        .size:           2
        .value_kind:     hidden_remainder_x
      - .offset:         492
        .size:           2
        .value_kind:     hidden_remainder_y
      - .offset:         494
        .size:           2
        .value_kind:     hidden_remainder_z
      - .offset:         512
        .size:           8
        .value_kind:     hidden_global_offset_x
      - .offset:         520
        .size:           8
        .value_kind:     hidden_global_offset_y
      - .offset:         528
        .size:           8
        .value_kind:     hidden_global_offset_z
      - .offset:         536
        .size:           2
        .value_kind:     hidden_grid_dims
    .group_segment_fixed_size: 0
    .kernarg_segment_align: 8
    .kernarg_segment_size: 728
    .language:       OpenCL C
    .language_version:
      - 2
      - 0
    .max_flat_workgroup_size: 512
    .name:           _ZN2at4cuda12_GLOBAL__N_121kernelPointwiseApply2IZNS_6native9templates4cuda28bernoulli_tensor_cuda_kernelIifEEvRKNS_10TensorBaseES9_NS_15PhiloxCudaStateEEUliRiSB_SB_SB_RKfSD_SD_SD_E_iSC_jLi2ELi2ELi4ELi512ELi2EEEvNS0_6detail10TensorInfoIT0_T2_EENSG_IT1_SI_EESI_T_
    .private_segment_fixed_size: 0
    .sgpr_count:     42
    .sgpr_spill_count: 0
    .symbol:         _ZN2at4cuda12_GLOBAL__N_121kernelPointwiseApply2IZNS_6native9templates4cuda28bernoulli_tensor_cuda_kernelIifEEvRKNS_10TensorBaseES9_NS_15PhiloxCudaStateEEUliRiSB_SB_SB_RKfSD_SD_SD_E_iSC_jLi2ELi2ELi4ELi512ELi2EEEvNS0_6detail10TensorInfoIT0_T2_EENSG_IT1_SI_EESI_T_.kd
    .uniform_work_group_size: 1
    .uses_dynamic_stack: false
    .vgpr_count:     44
    .vgpr_spill_count: 0
    .wavefront_size: 32
    .workgroup_processor_mode: 1
  - .args:
      - .offset:         0
        .size:           216
        .value_kind:     by_value
      - .offset:         216
        .size:           216
        .value_kind:     by_value
      - .offset:         432
        .size:           4
        .value_kind:     by_value
      - .offset:         440
        .size:           32
        .value_kind:     by_value
      - .offset:         472
        .size:           4
        .value_kind:     hidden_block_count_x
      - .offset:         476
        .size:           4
        .value_kind:     hidden_block_count_y
      - .offset:         480
        .size:           4
        .value_kind:     hidden_block_count_z
      - .offset:         484
        .size:           2
        .value_kind:     hidden_group_size_x
      - .offset:         486
        .size:           2
        .value_kind:     hidden_group_size_y
      - .offset:         488
        .size:           2
        .value_kind:     hidden_group_size_z
      - .offset:         490
        .size:           2
        .value_kind:     hidden_remainder_x
      - .offset:         492
        .size:           2
        .value_kind:     hidden_remainder_y
      - .offset:         494
        .size:           2
        .value_kind:     hidden_remainder_z
      - .offset:         512
        .size:           8
        .value_kind:     hidden_global_offset_x
      - .offset:         520
        .size:           8
        .value_kind:     hidden_global_offset_y
      - .offset:         528
        .size:           8
        .value_kind:     hidden_global_offset_z
      - .offset:         536
        .size:           2
        .value_kind:     hidden_grid_dims
    .group_segment_fixed_size: 0
    .kernarg_segment_align: 8
    .kernarg_segment_size: 728
    .language:       OpenCL C
    .language_version:
      - 2
      - 0
    .max_flat_workgroup_size: 512
    .name:           _ZN2at4cuda12_GLOBAL__N_121kernelPointwiseApply2IZNS_6native9templates4cuda28bernoulli_tensor_cuda_kernelIifEEvRKNS_10TensorBaseES9_NS_15PhiloxCudaStateEEUliRiSB_SB_SB_RKfSD_SD_SD_E_iSC_jLi2ELin1ELi4ELi512ELi2EEEvNS0_6detail10TensorInfoIT0_T2_EENSG_IT1_SI_EESI_T_
    .private_segment_fixed_size: 0
    .sgpr_count:     42
    .sgpr_spill_count: 0
    .symbol:         _ZN2at4cuda12_GLOBAL__N_121kernelPointwiseApply2IZNS_6native9templates4cuda28bernoulli_tensor_cuda_kernelIifEEvRKNS_10TensorBaseES9_NS_15PhiloxCudaStateEEUliRiSB_SB_SB_RKfSD_SD_SD_E_iSC_jLi2ELin1ELi4ELi512ELi2EEEvNS0_6detail10TensorInfoIT0_T2_EENSG_IT1_SI_EESI_T_.kd
    .uniform_work_group_size: 1
    .uses_dynamic_stack: false
    .vgpr_count:     41
    .vgpr_spill_count: 0
    .wavefront_size: 32
    .workgroup_processor_mode: 1
  - .args:
      - .offset:         0
        .size:           216
        .value_kind:     by_value
      - .offset:         216
        .size:           216
        .value_kind:     by_value
      - .offset:         432
        .size:           4
        .value_kind:     by_value
      - .offset:         440
        .size:           32
        .value_kind:     by_value
      - .offset:         472
        .size:           4
        .value_kind:     hidden_block_count_x
      - .offset:         476
        .size:           4
        .value_kind:     hidden_block_count_y
      - .offset:         480
        .size:           4
        .value_kind:     hidden_block_count_z
      - .offset:         484
        .size:           2
        .value_kind:     hidden_group_size_x
      - .offset:         486
        .size:           2
        .value_kind:     hidden_group_size_y
      - .offset:         488
        .size:           2
        .value_kind:     hidden_group_size_z
      - .offset:         490
        .size:           2
        .value_kind:     hidden_remainder_x
      - .offset:         492
        .size:           2
        .value_kind:     hidden_remainder_y
      - .offset:         494
        .size:           2
        .value_kind:     hidden_remainder_z
      - .offset:         512
        .size:           8
        .value_kind:     hidden_global_offset_x
      - .offset:         520
        .size:           8
        .value_kind:     hidden_global_offset_y
      - .offset:         528
        .size:           8
        .value_kind:     hidden_global_offset_z
      - .offset:         536
        .size:           2
        .value_kind:     hidden_grid_dims
    .group_segment_fixed_size: 0
    .kernarg_segment_align: 8
    .kernarg_segment_size: 728
    .language:       OpenCL C
    .language_version:
      - 2
      - 0
    .max_flat_workgroup_size: 512
    .name:           _ZN2at4cuda12_GLOBAL__N_121kernelPointwiseApply2IZNS_6native9templates4cuda28bernoulli_tensor_cuda_kernelIifEEvRKNS_10TensorBaseES9_NS_15PhiloxCudaStateEEUliRiSB_SB_SB_RKfSD_SD_SD_E_iSC_jLin1ELi1ELi4ELi512ELi2EEEvNS0_6detail10TensorInfoIT0_T2_EENSG_IT1_SI_EESI_T_
    .private_segment_fixed_size: 0
    .sgpr_count:     42
    .sgpr_spill_count: 0
    .symbol:         _ZN2at4cuda12_GLOBAL__N_121kernelPointwiseApply2IZNS_6native9templates4cuda28bernoulli_tensor_cuda_kernelIifEEvRKNS_10TensorBaseES9_NS_15PhiloxCudaStateEEUliRiSB_SB_SB_RKfSD_SD_SD_E_iSC_jLin1ELi1ELi4ELi512ELi2EEEvNS0_6detail10TensorInfoIT0_T2_EENSG_IT1_SI_EESI_T_.kd
    .uniform_work_group_size: 1
    .uses_dynamic_stack: false
    .vgpr_count:     41
    .vgpr_spill_count: 0
    .wavefront_size: 32
    .workgroup_processor_mode: 1
  - .args:
      - .offset:         0
        .size:           216
        .value_kind:     by_value
      - .offset:         216
        .size:           216
        .value_kind:     by_value
      - .offset:         432
        .size:           4
        .value_kind:     by_value
      - .offset:         440
        .size:           32
        .value_kind:     by_value
      - .offset:         472
        .size:           4
        .value_kind:     hidden_block_count_x
      - .offset:         476
        .size:           4
        .value_kind:     hidden_block_count_y
      - .offset:         480
        .size:           4
        .value_kind:     hidden_block_count_z
      - .offset:         484
        .size:           2
        .value_kind:     hidden_group_size_x
      - .offset:         486
        .size:           2
        .value_kind:     hidden_group_size_y
      - .offset:         488
        .size:           2
        .value_kind:     hidden_group_size_z
      - .offset:         490
        .size:           2
        .value_kind:     hidden_remainder_x
      - .offset:         492
        .size:           2
        .value_kind:     hidden_remainder_y
      - .offset:         494
        .size:           2
        .value_kind:     hidden_remainder_z
      - .offset:         512
        .size:           8
        .value_kind:     hidden_global_offset_x
      - .offset:         520
        .size:           8
        .value_kind:     hidden_global_offset_y
      - .offset:         528
        .size:           8
        .value_kind:     hidden_global_offset_z
      - .offset:         536
        .size:           2
        .value_kind:     hidden_grid_dims
    .group_segment_fixed_size: 0
    .kernarg_segment_align: 8
    .kernarg_segment_size: 728
    .language:       OpenCL C
    .language_version:
      - 2
      - 0
    .max_flat_workgroup_size: 512
    .name:           _ZN2at4cuda12_GLOBAL__N_121kernelPointwiseApply2IZNS_6native9templates4cuda28bernoulli_tensor_cuda_kernelIifEEvRKNS_10TensorBaseES9_NS_15PhiloxCudaStateEEUliRiSB_SB_SB_RKfSD_SD_SD_E_iSC_jLin1ELi2ELi4ELi512ELi2EEEvNS0_6detail10TensorInfoIT0_T2_EENSG_IT1_SI_EESI_T_
    .private_segment_fixed_size: 0
    .sgpr_count:     42
    .sgpr_spill_count: 0
    .symbol:         _ZN2at4cuda12_GLOBAL__N_121kernelPointwiseApply2IZNS_6native9templates4cuda28bernoulli_tensor_cuda_kernelIifEEvRKNS_10TensorBaseES9_NS_15PhiloxCudaStateEEUliRiSB_SB_SB_RKfSD_SD_SD_E_iSC_jLin1ELi2ELi4ELi512ELi2EEEvNS0_6detail10TensorInfoIT0_T2_EENSG_IT1_SI_EESI_T_.kd
    .uniform_work_group_size: 1
    .uses_dynamic_stack: false
    .vgpr_count:     42
    .vgpr_spill_count: 0
    .wavefront_size: 32
    .workgroup_processor_mode: 1
  - .args:
      - .offset:         0
        .size:           216
        .value_kind:     by_value
      - .offset:         216
        .size:           216
        .value_kind:     by_value
      - .offset:         432
        .size:           4
        .value_kind:     by_value
      - .offset:         440
        .size:           32
        .value_kind:     by_value
      - .offset:         472
        .size:           4
        .value_kind:     hidden_block_count_x
      - .offset:         476
        .size:           4
        .value_kind:     hidden_block_count_y
      - .offset:         480
        .size:           4
        .value_kind:     hidden_block_count_z
      - .offset:         484
        .size:           2
        .value_kind:     hidden_group_size_x
      - .offset:         486
        .size:           2
        .value_kind:     hidden_group_size_y
      - .offset:         488
        .size:           2
        .value_kind:     hidden_group_size_z
      - .offset:         490
        .size:           2
        .value_kind:     hidden_remainder_x
      - .offset:         492
        .size:           2
        .value_kind:     hidden_remainder_y
      - .offset:         494
        .size:           2
        .value_kind:     hidden_remainder_z
      - .offset:         512
        .size:           8
        .value_kind:     hidden_global_offset_x
      - .offset:         520
        .size:           8
        .value_kind:     hidden_global_offset_y
      - .offset:         528
        .size:           8
        .value_kind:     hidden_global_offset_z
      - .offset:         536
        .size:           2
        .value_kind:     hidden_grid_dims
    .group_segment_fixed_size: 0
    .kernarg_segment_align: 8
    .kernarg_segment_size: 728
    .language:       OpenCL C
    .language_version:
      - 2
      - 0
    .max_flat_workgroup_size: 512
    .name:           _ZN2at4cuda12_GLOBAL__N_121kernelPointwiseApply2IZNS_6native9templates4cuda28bernoulli_tensor_cuda_kernelIifEEvRKNS_10TensorBaseES9_NS_15PhiloxCudaStateEEUliRiSB_SB_SB_RKfSD_SD_SD_E_iSC_jLin1ELin1ELi4ELi512ELi2EEEvNS0_6detail10TensorInfoIT0_T2_EENSG_IT1_SI_EESI_T_
    .private_segment_fixed_size: 0
    .sgpr_count:     44
    .sgpr_spill_count: 0
    .symbol:         _ZN2at4cuda12_GLOBAL__N_121kernelPointwiseApply2IZNS_6native9templates4cuda28bernoulli_tensor_cuda_kernelIifEEvRKNS_10TensorBaseES9_NS_15PhiloxCudaStateEEUliRiSB_SB_SB_RKfSD_SD_SD_E_iSC_jLin1ELin1ELi4ELi512ELi2EEEvNS0_6detail10TensorInfoIT0_T2_EENSG_IT1_SI_EESI_T_.kd
    .uniform_work_group_size: 1
    .uses_dynamic_stack: false
    .vgpr_count:     40
    .vgpr_spill_count: 0
    .wavefront_size: 32
    .workgroup_processor_mode: 1
  - .args:
      - .offset:         0
        .size:           416
        .value_kind:     by_value
      - .offset:         416
        .size:           416
        .value_kind:     by_value
      - .offset:         832
        .size:           8
        .value_kind:     by_value
      - .offset:         840
        .size:           32
        .value_kind:     by_value
      - .offset:         872
        .size:           4
        .value_kind:     hidden_block_count_x
      - .offset:         876
        .size:           4
        .value_kind:     hidden_block_count_y
      - .offset:         880
        .size:           4
        .value_kind:     hidden_block_count_z
      - .offset:         884
        .size:           2
        .value_kind:     hidden_group_size_x
      - .offset:         886
        .size:           2
        .value_kind:     hidden_group_size_y
      - .offset:         888
        .size:           2
        .value_kind:     hidden_group_size_z
      - .offset:         890
        .size:           2
        .value_kind:     hidden_remainder_x
      - .offset:         892
        .size:           2
        .value_kind:     hidden_remainder_y
      - .offset:         894
        .size:           2
        .value_kind:     hidden_remainder_z
      - .offset:         912
        .size:           8
        .value_kind:     hidden_global_offset_x
      - .offset:         920
        .size:           8
        .value_kind:     hidden_global_offset_y
      - .offset:         928
        .size:           8
        .value_kind:     hidden_global_offset_z
      - .offset:         936
        .size:           2
        .value_kind:     hidden_grid_dims
    .group_segment_fixed_size: 0
    .kernarg_segment_align: 8
    .kernarg_segment_size: 1128
    .language:       OpenCL C
    .language_version:
      - 2
      - 0
    .max_flat_workgroup_size: 512
    .name:           _ZN2at4cuda12_GLOBAL__N_121kernelPointwiseApply2IZNS_6native9templates4cuda28bernoulli_tensor_cuda_kernelIifEEvRKNS_10TensorBaseES9_NS_15PhiloxCudaStateEEUliRiSB_SB_SB_RKfSD_SD_SD_E_iSC_mLi1ELi1ELi4ELi512ELi2EEEvNS0_6detail10TensorInfoIT0_T2_EENSG_IT1_SI_EESI_T_
    .private_segment_fixed_size: 0
    .sgpr_count:     45
    .sgpr_spill_count: 0
    .symbol:         _ZN2at4cuda12_GLOBAL__N_121kernelPointwiseApply2IZNS_6native9templates4cuda28bernoulli_tensor_cuda_kernelIifEEvRKNS_10TensorBaseES9_NS_15PhiloxCudaStateEEUliRiSB_SB_SB_RKfSD_SD_SD_E_iSC_mLi1ELi1ELi4ELi512ELi2EEEvNS0_6detail10TensorInfoIT0_T2_EENSG_IT1_SI_EESI_T_.kd
    .uniform_work_group_size: 1
    .uses_dynamic_stack: false
    .vgpr_count:     51
    .vgpr_spill_count: 0
    .wavefront_size: 32
    .workgroup_processor_mode: 1
  - .args:
      - .offset:         0
        .size:           416
        .value_kind:     by_value
      - .offset:         416
        .size:           416
        .value_kind:     by_value
      - .offset:         832
        .size:           8
        .value_kind:     by_value
      - .offset:         840
        .size:           32
        .value_kind:     by_value
      - .offset:         872
        .size:           4
        .value_kind:     hidden_block_count_x
      - .offset:         876
        .size:           4
        .value_kind:     hidden_block_count_y
      - .offset:         880
        .size:           4
        .value_kind:     hidden_block_count_z
      - .offset:         884
        .size:           2
        .value_kind:     hidden_group_size_x
      - .offset:         886
        .size:           2
        .value_kind:     hidden_group_size_y
      - .offset:         888
        .size:           2
        .value_kind:     hidden_group_size_z
      - .offset:         890
        .size:           2
        .value_kind:     hidden_remainder_x
      - .offset:         892
        .size:           2
        .value_kind:     hidden_remainder_y
      - .offset:         894
        .size:           2
        .value_kind:     hidden_remainder_z
      - .offset:         912
        .size:           8
        .value_kind:     hidden_global_offset_x
      - .offset:         920
        .size:           8
        .value_kind:     hidden_global_offset_y
      - .offset:         928
        .size:           8
        .value_kind:     hidden_global_offset_z
      - .offset:         936
        .size:           2
        .value_kind:     hidden_grid_dims
    .group_segment_fixed_size: 0
    .kernarg_segment_align: 8
    .kernarg_segment_size: 1128
    .language:       OpenCL C
    .language_version:
      - 2
      - 0
    .max_flat_workgroup_size: 512
    .name:           _ZN2at4cuda12_GLOBAL__N_121kernelPointwiseApply2IZNS_6native9templates4cuda28bernoulli_tensor_cuda_kernelIifEEvRKNS_10TensorBaseES9_NS_15PhiloxCudaStateEEUliRiSB_SB_SB_RKfSD_SD_SD_E_iSC_mLin1ELin1ELi4ELi512ELi2EEEvNS0_6detail10TensorInfoIT0_T2_EENSG_IT1_SI_EESI_T_
    .private_segment_fixed_size: 0
    .sgpr_count:     48
    .sgpr_spill_count: 0
    .symbol:         _ZN2at4cuda12_GLOBAL__N_121kernelPointwiseApply2IZNS_6native9templates4cuda28bernoulli_tensor_cuda_kernelIifEEvRKNS_10TensorBaseES9_NS_15PhiloxCudaStateEEUliRiSB_SB_SB_RKfSD_SD_SD_E_iSC_mLin1ELin1ELi4ELi512ELi2EEEvNS0_6detail10TensorInfoIT0_T2_EENSG_IT1_SI_EESI_T_.kd
    .uniform_work_group_size: 1
    .uses_dynamic_stack: false
    .vgpr_count:     44
    .vgpr_spill_count: 0
    .wavefront_size: 32
    .workgroup_processor_mode: 1
  - .args:
      - .offset:         0
        .size:           216
        .value_kind:     by_value
      - .offset:         216
        .size:           216
        .value_kind:     by_value
      - .offset:         432
        .size:           4
        .value_kind:     by_value
      - .offset:         440
        .size:           32
        .value_kind:     by_value
      - .offset:         472
        .size:           4
        .value_kind:     hidden_block_count_x
      - .offset:         476
        .size:           4
        .value_kind:     hidden_block_count_y
      - .offset:         480
        .size:           4
        .value_kind:     hidden_block_count_z
      - .offset:         484
        .size:           2
        .value_kind:     hidden_group_size_x
      - .offset:         486
        .size:           2
        .value_kind:     hidden_group_size_y
      - .offset:         488
        .size:           2
        .value_kind:     hidden_group_size_z
      - .offset:         490
        .size:           2
        .value_kind:     hidden_remainder_x
      - .offset:         492
        .size:           2
        .value_kind:     hidden_remainder_y
      - .offset:         494
        .size:           2
        .value_kind:     hidden_remainder_z
      - .offset:         512
        .size:           8
        .value_kind:     hidden_global_offset_x
      - .offset:         520
        .size:           8
        .value_kind:     hidden_global_offset_y
      - .offset:         528
        .size:           8
        .value_kind:     hidden_global_offset_z
      - .offset:         536
        .size:           2
        .value_kind:     hidden_grid_dims
    .group_segment_fixed_size: 0
    .kernarg_segment_align: 8
    .kernarg_segment_size: 728
    .language:       OpenCL C
    .language_version:
      - 2
      - 0
    .max_flat_workgroup_size: 512
    .name:           _ZN2at4cuda12_GLOBAL__N_121kernelPointwiseApply2IZNS_6native9templates4cuda28bernoulli_tensor_cuda_kernelIlfEEvRKNS_10TensorBaseES9_NS_15PhiloxCudaStateEEUliRlSB_SB_SB_RKfSD_SD_SD_E_lSC_jLi1ELi1ELi4ELi512ELi2EEEvNS0_6detail10TensorInfoIT0_T2_EENSG_IT1_SI_EESI_T_
    .private_segment_fixed_size: 0
    .sgpr_count:     41
    .sgpr_spill_count: 0
    .symbol:         _ZN2at4cuda12_GLOBAL__N_121kernelPointwiseApply2IZNS_6native9templates4cuda28bernoulli_tensor_cuda_kernelIlfEEvRKNS_10TensorBaseES9_NS_15PhiloxCudaStateEEUliRlSB_SB_SB_RKfSD_SD_SD_E_lSC_jLi1ELi1ELi4ELi512ELi2EEEvNS0_6detail10TensorInfoIT0_T2_EENSG_IT1_SI_EESI_T_.kd
    .uniform_work_group_size: 1
    .uses_dynamic_stack: false
    .vgpr_count:     44
    .vgpr_spill_count: 0
    .wavefront_size: 32
    .workgroup_processor_mode: 1
  - .args:
      - .offset:         0
        .size:           216
        .value_kind:     by_value
      - .offset:         216
        .size:           216
        .value_kind:     by_value
      - .offset:         432
        .size:           4
        .value_kind:     by_value
      - .offset:         440
        .size:           32
        .value_kind:     by_value
      - .offset:         472
        .size:           4
        .value_kind:     hidden_block_count_x
      - .offset:         476
        .size:           4
        .value_kind:     hidden_block_count_y
      - .offset:         480
        .size:           4
        .value_kind:     hidden_block_count_z
      - .offset:         484
        .size:           2
        .value_kind:     hidden_group_size_x
      - .offset:         486
        .size:           2
        .value_kind:     hidden_group_size_y
      - .offset:         488
        .size:           2
        .value_kind:     hidden_group_size_z
      - .offset:         490
        .size:           2
        .value_kind:     hidden_remainder_x
      - .offset:         492
        .size:           2
        .value_kind:     hidden_remainder_y
      - .offset:         494
        .size:           2
        .value_kind:     hidden_remainder_z
      - .offset:         512
        .size:           8
        .value_kind:     hidden_global_offset_x
      - .offset:         520
        .size:           8
        .value_kind:     hidden_global_offset_y
      - .offset:         528
        .size:           8
        .value_kind:     hidden_global_offset_z
      - .offset:         536
        .size:           2
        .value_kind:     hidden_grid_dims
    .group_segment_fixed_size: 0
    .kernarg_segment_align: 8
    .kernarg_segment_size: 728
    .language:       OpenCL C
    .language_version:
      - 2
      - 0
    .max_flat_workgroup_size: 512
    .name:           _ZN2at4cuda12_GLOBAL__N_121kernelPointwiseApply2IZNS_6native9templates4cuda28bernoulli_tensor_cuda_kernelIlfEEvRKNS_10TensorBaseES9_NS_15PhiloxCudaStateEEUliRlSB_SB_SB_RKfSD_SD_SD_E_lSC_jLi1ELi2ELi4ELi512ELi2EEEvNS0_6detail10TensorInfoIT0_T2_EENSG_IT1_SI_EESI_T_
    .private_segment_fixed_size: 0
    .sgpr_count:     43
    .sgpr_spill_count: 0
    .symbol:         _ZN2at4cuda12_GLOBAL__N_121kernelPointwiseApply2IZNS_6native9templates4cuda28bernoulli_tensor_cuda_kernelIlfEEvRKNS_10TensorBaseES9_NS_15PhiloxCudaStateEEUliRlSB_SB_SB_RKfSD_SD_SD_E_lSC_jLi1ELi2ELi4ELi512ELi2EEEvNS0_6detail10TensorInfoIT0_T2_EENSG_IT1_SI_EESI_T_.kd
    .uniform_work_group_size: 1
    .uses_dynamic_stack: false
    .vgpr_count:     41
    .vgpr_spill_count: 0
    .wavefront_size: 32
    .workgroup_processor_mode: 1
  - .args:
      - .offset:         0
        .size:           216
        .value_kind:     by_value
      - .offset:         216
        .size:           216
        .value_kind:     by_value
      - .offset:         432
        .size:           4
        .value_kind:     by_value
      - .offset:         440
        .size:           32
        .value_kind:     by_value
      - .offset:         472
        .size:           4
        .value_kind:     hidden_block_count_x
      - .offset:         476
        .size:           4
        .value_kind:     hidden_block_count_y
      - .offset:         480
        .size:           4
        .value_kind:     hidden_block_count_z
      - .offset:         484
        .size:           2
        .value_kind:     hidden_group_size_x
      - .offset:         486
        .size:           2
        .value_kind:     hidden_group_size_y
      - .offset:         488
        .size:           2
        .value_kind:     hidden_group_size_z
      - .offset:         490
        .size:           2
        .value_kind:     hidden_remainder_x
      - .offset:         492
        .size:           2
        .value_kind:     hidden_remainder_y
      - .offset:         494
        .size:           2
        .value_kind:     hidden_remainder_z
      - .offset:         512
        .size:           8
        .value_kind:     hidden_global_offset_x
      - .offset:         520
        .size:           8
        .value_kind:     hidden_global_offset_y
      - .offset:         528
        .size:           8
        .value_kind:     hidden_global_offset_z
      - .offset:         536
        .size:           2
        .value_kind:     hidden_grid_dims
    .group_segment_fixed_size: 0
    .kernarg_segment_align: 8
    .kernarg_segment_size: 728
    .language:       OpenCL C
    .language_version:
      - 2
      - 0
    .max_flat_workgroup_size: 512
    .name:           _ZN2at4cuda12_GLOBAL__N_121kernelPointwiseApply2IZNS_6native9templates4cuda28bernoulli_tensor_cuda_kernelIlfEEvRKNS_10TensorBaseES9_NS_15PhiloxCudaStateEEUliRlSB_SB_SB_RKfSD_SD_SD_E_lSC_jLi1ELin1ELi4ELi512ELi2EEEvNS0_6detail10TensorInfoIT0_T2_EENSG_IT1_SI_EESI_T_
    .private_segment_fixed_size: 0
    .sgpr_count:     44
    .sgpr_spill_count: 0
    .symbol:         _ZN2at4cuda12_GLOBAL__N_121kernelPointwiseApply2IZNS_6native9templates4cuda28bernoulli_tensor_cuda_kernelIlfEEvRKNS_10TensorBaseES9_NS_15PhiloxCudaStateEEUliRlSB_SB_SB_RKfSD_SD_SD_E_lSC_jLi1ELin1ELi4ELi512ELi2EEEvNS0_6detail10TensorInfoIT0_T2_EENSG_IT1_SI_EESI_T_.kd
    .uniform_work_group_size: 1
    .uses_dynamic_stack: false
    .vgpr_count:     39
    .vgpr_spill_count: 0
    .wavefront_size: 32
    .workgroup_processor_mode: 1
  - .args:
      - .offset:         0
        .size:           216
        .value_kind:     by_value
      - .offset:         216
        .size:           216
        .value_kind:     by_value
      - .offset:         432
        .size:           4
        .value_kind:     by_value
      - .offset:         440
        .size:           32
        .value_kind:     by_value
      - .offset:         472
        .size:           4
        .value_kind:     hidden_block_count_x
      - .offset:         476
        .size:           4
        .value_kind:     hidden_block_count_y
      - .offset:         480
        .size:           4
        .value_kind:     hidden_block_count_z
      - .offset:         484
        .size:           2
        .value_kind:     hidden_group_size_x
      - .offset:         486
        .size:           2
        .value_kind:     hidden_group_size_y
      - .offset:         488
        .size:           2
        .value_kind:     hidden_group_size_z
      - .offset:         490
        .size:           2
        .value_kind:     hidden_remainder_x
      - .offset:         492
        .size:           2
        .value_kind:     hidden_remainder_y
      - .offset:         494
        .size:           2
        .value_kind:     hidden_remainder_z
      - .offset:         512
        .size:           8
        .value_kind:     hidden_global_offset_x
      - .offset:         520
        .size:           8
        .value_kind:     hidden_global_offset_y
      - .offset:         528
        .size:           8
        .value_kind:     hidden_global_offset_z
      - .offset:         536
        .size:           2
        .value_kind:     hidden_grid_dims
    .group_segment_fixed_size: 0
    .kernarg_segment_align: 8
    .kernarg_segment_size: 728
    .language:       OpenCL C
    .language_version:
      - 2
      - 0
    .max_flat_workgroup_size: 512
    .name:           _ZN2at4cuda12_GLOBAL__N_121kernelPointwiseApply2IZNS_6native9templates4cuda28bernoulli_tensor_cuda_kernelIlfEEvRKNS_10TensorBaseES9_NS_15PhiloxCudaStateEEUliRlSB_SB_SB_RKfSD_SD_SD_E_lSC_jLi2ELi1ELi4ELi512ELi2EEEvNS0_6detail10TensorInfoIT0_T2_EENSG_IT1_SI_EESI_T_
    .private_segment_fixed_size: 0
    .sgpr_count:     41
    .sgpr_spill_count: 0
    .symbol:         _ZN2at4cuda12_GLOBAL__N_121kernelPointwiseApply2IZNS_6native9templates4cuda28bernoulli_tensor_cuda_kernelIlfEEvRKNS_10TensorBaseES9_NS_15PhiloxCudaStateEEUliRlSB_SB_SB_RKfSD_SD_SD_E_lSC_jLi2ELi1ELi4ELi512ELi2EEEvNS0_6detail10TensorInfoIT0_T2_EENSG_IT1_SI_EESI_T_.kd
    .uniform_work_group_size: 1
    .uses_dynamic_stack: false
    .vgpr_count:     48
    .vgpr_spill_count: 0
    .wavefront_size: 32
    .workgroup_processor_mode: 1
  - .args:
      - .offset:         0
        .size:           216
        .value_kind:     by_value
      - .offset:         216
        .size:           216
        .value_kind:     by_value
      - .offset:         432
        .size:           4
        .value_kind:     by_value
      - .offset:         440
        .size:           32
        .value_kind:     by_value
      - .offset:         472
        .size:           4
        .value_kind:     hidden_block_count_x
      - .offset:         476
        .size:           4
        .value_kind:     hidden_block_count_y
      - .offset:         480
        .size:           4
        .value_kind:     hidden_block_count_z
      - .offset:         484
        .size:           2
        .value_kind:     hidden_group_size_x
      - .offset:         486
        .size:           2
        .value_kind:     hidden_group_size_y
      - .offset:         488
        .size:           2
        .value_kind:     hidden_group_size_z
      - .offset:         490
        .size:           2
        .value_kind:     hidden_remainder_x
      - .offset:         492
        .size:           2
        .value_kind:     hidden_remainder_y
      - .offset:         494
        .size:           2
        .value_kind:     hidden_remainder_z
      - .offset:         512
        .size:           8
        .value_kind:     hidden_global_offset_x
      - .offset:         520
        .size:           8
        .value_kind:     hidden_global_offset_y
      - .offset:         528
        .size:           8
        .value_kind:     hidden_global_offset_z
      - .offset:         536
        .size:           2
        .value_kind:     hidden_grid_dims
    .group_segment_fixed_size: 0
    .kernarg_segment_align: 8
    .kernarg_segment_size: 728
    .language:       OpenCL C
    .language_version:
      - 2
      - 0
    .max_flat_workgroup_size: 512
    .name:           _ZN2at4cuda12_GLOBAL__N_121kernelPointwiseApply2IZNS_6native9templates4cuda28bernoulli_tensor_cuda_kernelIlfEEvRKNS_10TensorBaseES9_NS_15PhiloxCudaStateEEUliRlSB_SB_SB_RKfSD_SD_SD_E_lSC_jLi2ELi2ELi4ELi512ELi2EEEvNS0_6detail10TensorInfoIT0_T2_EENSG_IT1_SI_EESI_T_
    .private_segment_fixed_size: 0
    .sgpr_count:     43
    .sgpr_spill_count: 0
    .symbol:         _ZN2at4cuda12_GLOBAL__N_121kernelPointwiseApply2IZNS_6native9templates4cuda28bernoulli_tensor_cuda_kernelIlfEEvRKNS_10TensorBaseES9_NS_15PhiloxCudaStateEEUliRlSB_SB_SB_RKfSD_SD_SD_E_lSC_jLi2ELi2ELi4ELi512ELi2EEEvNS0_6detail10TensorInfoIT0_T2_EENSG_IT1_SI_EESI_T_.kd
    .uniform_work_group_size: 1
    .uses_dynamic_stack: false
    .vgpr_count:     44
    .vgpr_spill_count: 0
    .wavefront_size: 32
    .workgroup_processor_mode: 1
  - .args:
      - .offset:         0
        .size:           216
        .value_kind:     by_value
      - .offset:         216
        .size:           216
        .value_kind:     by_value
      - .offset:         432
        .size:           4
        .value_kind:     by_value
      - .offset:         440
        .size:           32
        .value_kind:     by_value
      - .offset:         472
        .size:           4
        .value_kind:     hidden_block_count_x
      - .offset:         476
        .size:           4
        .value_kind:     hidden_block_count_y
      - .offset:         480
        .size:           4
        .value_kind:     hidden_block_count_z
      - .offset:         484
        .size:           2
        .value_kind:     hidden_group_size_x
      - .offset:         486
        .size:           2
        .value_kind:     hidden_group_size_y
      - .offset:         488
        .size:           2
        .value_kind:     hidden_group_size_z
      - .offset:         490
        .size:           2
        .value_kind:     hidden_remainder_x
      - .offset:         492
        .size:           2
        .value_kind:     hidden_remainder_y
      - .offset:         494
        .size:           2
        .value_kind:     hidden_remainder_z
      - .offset:         512
        .size:           8
        .value_kind:     hidden_global_offset_x
      - .offset:         520
        .size:           8
        .value_kind:     hidden_global_offset_y
      - .offset:         528
        .size:           8
        .value_kind:     hidden_global_offset_z
      - .offset:         536
        .size:           2
        .value_kind:     hidden_grid_dims
    .group_segment_fixed_size: 0
    .kernarg_segment_align: 8
    .kernarg_segment_size: 728
    .language:       OpenCL C
    .language_version:
      - 2
      - 0
    .max_flat_workgroup_size: 512
    .name:           _ZN2at4cuda12_GLOBAL__N_121kernelPointwiseApply2IZNS_6native9templates4cuda28bernoulli_tensor_cuda_kernelIlfEEvRKNS_10TensorBaseES9_NS_15PhiloxCudaStateEEUliRlSB_SB_SB_RKfSD_SD_SD_E_lSC_jLi2ELin1ELi4ELi512ELi2EEEvNS0_6detail10TensorInfoIT0_T2_EENSG_IT1_SI_EESI_T_
    .private_segment_fixed_size: 0
    .sgpr_count:     43
    .sgpr_spill_count: 0
    .symbol:         _ZN2at4cuda12_GLOBAL__N_121kernelPointwiseApply2IZNS_6native9templates4cuda28bernoulli_tensor_cuda_kernelIlfEEvRKNS_10TensorBaseES9_NS_15PhiloxCudaStateEEUliRlSB_SB_SB_RKfSD_SD_SD_E_lSC_jLi2ELin1ELi4ELi512ELi2EEEvNS0_6detail10TensorInfoIT0_T2_EENSG_IT1_SI_EESI_T_.kd
    .uniform_work_group_size: 1
    .uses_dynamic_stack: false
    .vgpr_count:     41
    .vgpr_spill_count: 0
    .wavefront_size: 32
    .workgroup_processor_mode: 1
  - .args:
      - .offset:         0
        .size:           216
        .value_kind:     by_value
      - .offset:         216
        .size:           216
        .value_kind:     by_value
      - .offset:         432
        .size:           4
        .value_kind:     by_value
      - .offset:         440
        .size:           32
        .value_kind:     by_value
      - .offset:         472
        .size:           4
        .value_kind:     hidden_block_count_x
      - .offset:         476
        .size:           4
        .value_kind:     hidden_block_count_y
      - .offset:         480
        .size:           4
        .value_kind:     hidden_block_count_z
      - .offset:         484
        .size:           2
        .value_kind:     hidden_group_size_x
      - .offset:         486
        .size:           2
        .value_kind:     hidden_group_size_y
      - .offset:         488
        .size:           2
        .value_kind:     hidden_group_size_z
      - .offset:         490
        .size:           2
        .value_kind:     hidden_remainder_x
      - .offset:         492
        .size:           2
        .value_kind:     hidden_remainder_y
      - .offset:         494
        .size:           2
        .value_kind:     hidden_remainder_z
      - .offset:         512
        .size:           8
        .value_kind:     hidden_global_offset_x
      - .offset:         520
        .size:           8
        .value_kind:     hidden_global_offset_y
      - .offset:         528
        .size:           8
        .value_kind:     hidden_global_offset_z
      - .offset:         536
        .size:           2
        .value_kind:     hidden_grid_dims
    .group_segment_fixed_size: 0
    .kernarg_segment_align: 8
    .kernarg_segment_size: 728
    .language:       OpenCL C
    .language_version:
      - 2
      - 0
    .max_flat_workgroup_size: 512
    .name:           _ZN2at4cuda12_GLOBAL__N_121kernelPointwiseApply2IZNS_6native9templates4cuda28bernoulli_tensor_cuda_kernelIlfEEvRKNS_10TensorBaseES9_NS_15PhiloxCudaStateEEUliRlSB_SB_SB_RKfSD_SD_SD_E_lSC_jLin1ELi1ELi4ELi512ELi2EEEvNS0_6detail10TensorInfoIT0_T2_EENSG_IT1_SI_EESI_T_
    .private_segment_fixed_size: 0
    .sgpr_count:     43
    .sgpr_spill_count: 0
    .symbol:         _ZN2at4cuda12_GLOBAL__N_121kernelPointwiseApply2IZNS_6native9templates4cuda28bernoulli_tensor_cuda_kernelIlfEEvRKNS_10TensorBaseES9_NS_15PhiloxCudaStateEEUliRlSB_SB_SB_RKfSD_SD_SD_E_lSC_jLin1ELi1ELi4ELi512ELi2EEEvNS0_6detail10TensorInfoIT0_T2_EENSG_IT1_SI_EESI_T_.kd
    .uniform_work_group_size: 1
    .uses_dynamic_stack: false
    .vgpr_count:     41
    .vgpr_spill_count: 0
    .wavefront_size: 32
    .workgroup_processor_mode: 1
  - .args:
      - .offset:         0
        .size:           216
        .value_kind:     by_value
      - .offset:         216
        .size:           216
        .value_kind:     by_value
      - .offset:         432
        .size:           4
        .value_kind:     by_value
      - .offset:         440
        .size:           32
        .value_kind:     by_value
      - .offset:         472
        .size:           4
        .value_kind:     hidden_block_count_x
      - .offset:         476
        .size:           4
        .value_kind:     hidden_block_count_y
      - .offset:         480
        .size:           4
        .value_kind:     hidden_block_count_z
      - .offset:         484
        .size:           2
        .value_kind:     hidden_group_size_x
      - .offset:         486
        .size:           2
        .value_kind:     hidden_group_size_y
      - .offset:         488
        .size:           2
        .value_kind:     hidden_group_size_z
      - .offset:         490
        .size:           2
        .value_kind:     hidden_remainder_x
      - .offset:         492
        .size:           2
        .value_kind:     hidden_remainder_y
      - .offset:         494
        .size:           2
        .value_kind:     hidden_remainder_z
      - .offset:         512
        .size:           8
        .value_kind:     hidden_global_offset_x
      - .offset:         520
        .size:           8
        .value_kind:     hidden_global_offset_y
      - .offset:         528
        .size:           8
        .value_kind:     hidden_global_offset_z
      - .offset:         536
        .size:           2
        .value_kind:     hidden_grid_dims
    .group_segment_fixed_size: 0
    .kernarg_segment_align: 8
    .kernarg_segment_size: 728
    .language:       OpenCL C
    .language_version:
      - 2
      - 0
    .max_flat_workgroup_size: 512
    .name:           _ZN2at4cuda12_GLOBAL__N_121kernelPointwiseApply2IZNS_6native9templates4cuda28bernoulli_tensor_cuda_kernelIlfEEvRKNS_10TensorBaseES9_NS_15PhiloxCudaStateEEUliRlSB_SB_SB_RKfSD_SD_SD_E_lSC_jLin1ELi2ELi4ELi512ELi2EEEvNS0_6detail10TensorInfoIT0_T2_EENSG_IT1_SI_EESI_T_
    .private_segment_fixed_size: 0
    .sgpr_count:     43
    .sgpr_spill_count: 0
    .symbol:         _ZN2at4cuda12_GLOBAL__N_121kernelPointwiseApply2IZNS_6native9templates4cuda28bernoulli_tensor_cuda_kernelIlfEEvRKNS_10TensorBaseES9_NS_15PhiloxCudaStateEEUliRlSB_SB_SB_RKfSD_SD_SD_E_lSC_jLin1ELi2ELi4ELi512ELi2EEEvNS0_6detail10TensorInfoIT0_T2_EENSG_IT1_SI_EESI_T_.kd
    .uniform_work_group_size: 1
    .uses_dynamic_stack: false
    .vgpr_count:     42
    .vgpr_spill_count: 0
    .wavefront_size: 32
    .workgroup_processor_mode: 1
  - .args:
      - .offset:         0
        .size:           216
        .value_kind:     by_value
      - .offset:         216
        .size:           216
        .value_kind:     by_value
      - .offset:         432
        .size:           4
        .value_kind:     by_value
      - .offset:         440
        .size:           32
        .value_kind:     by_value
      - .offset:         472
        .size:           4
        .value_kind:     hidden_block_count_x
      - .offset:         476
        .size:           4
        .value_kind:     hidden_block_count_y
      - .offset:         480
        .size:           4
        .value_kind:     hidden_block_count_z
      - .offset:         484
        .size:           2
        .value_kind:     hidden_group_size_x
      - .offset:         486
        .size:           2
        .value_kind:     hidden_group_size_y
      - .offset:         488
        .size:           2
        .value_kind:     hidden_group_size_z
      - .offset:         490
        .size:           2
        .value_kind:     hidden_remainder_x
      - .offset:         492
        .size:           2
        .value_kind:     hidden_remainder_y
      - .offset:         494
        .size:           2
        .value_kind:     hidden_remainder_z
      - .offset:         512
        .size:           8
        .value_kind:     hidden_global_offset_x
      - .offset:         520
        .size:           8
        .value_kind:     hidden_global_offset_y
      - .offset:         528
        .size:           8
        .value_kind:     hidden_global_offset_z
      - .offset:         536
        .size:           2
        .value_kind:     hidden_grid_dims
    .group_segment_fixed_size: 0
    .kernarg_segment_align: 8
    .kernarg_segment_size: 728
    .language:       OpenCL C
    .language_version:
      - 2
      - 0
    .max_flat_workgroup_size: 512
    .name:           _ZN2at4cuda12_GLOBAL__N_121kernelPointwiseApply2IZNS_6native9templates4cuda28bernoulli_tensor_cuda_kernelIlfEEvRKNS_10TensorBaseES9_NS_15PhiloxCudaStateEEUliRlSB_SB_SB_RKfSD_SD_SD_E_lSC_jLin1ELin1ELi4ELi512ELi2EEEvNS0_6detail10TensorInfoIT0_T2_EENSG_IT1_SI_EESI_T_
    .private_segment_fixed_size: 0
    .sgpr_count:     45
    .sgpr_spill_count: 0
    .symbol:         _ZN2at4cuda12_GLOBAL__N_121kernelPointwiseApply2IZNS_6native9templates4cuda28bernoulli_tensor_cuda_kernelIlfEEvRKNS_10TensorBaseES9_NS_15PhiloxCudaStateEEUliRlSB_SB_SB_RKfSD_SD_SD_E_lSC_jLin1ELin1ELi4ELi512ELi2EEEvNS0_6detail10TensorInfoIT0_T2_EENSG_IT1_SI_EESI_T_.kd
    .uniform_work_group_size: 1
    .uses_dynamic_stack: false
    .vgpr_count:     40
    .vgpr_spill_count: 0
    .wavefront_size: 32
    .workgroup_processor_mode: 1
  - .args:
      - .offset:         0
        .size:           416
        .value_kind:     by_value
      - .offset:         416
        .size:           416
        .value_kind:     by_value
      - .offset:         832
        .size:           8
        .value_kind:     by_value
      - .offset:         840
        .size:           32
        .value_kind:     by_value
      - .offset:         872
        .size:           4
        .value_kind:     hidden_block_count_x
      - .offset:         876
        .size:           4
        .value_kind:     hidden_block_count_y
      - .offset:         880
        .size:           4
        .value_kind:     hidden_block_count_z
      - .offset:         884
        .size:           2
        .value_kind:     hidden_group_size_x
      - .offset:         886
        .size:           2
        .value_kind:     hidden_group_size_y
      - .offset:         888
        .size:           2
        .value_kind:     hidden_group_size_z
      - .offset:         890
        .size:           2
        .value_kind:     hidden_remainder_x
      - .offset:         892
        .size:           2
        .value_kind:     hidden_remainder_y
      - .offset:         894
        .size:           2
        .value_kind:     hidden_remainder_z
      - .offset:         912
        .size:           8
        .value_kind:     hidden_global_offset_x
      - .offset:         920
        .size:           8
        .value_kind:     hidden_global_offset_y
      - .offset:         928
        .size:           8
        .value_kind:     hidden_global_offset_z
      - .offset:         936
        .size:           2
        .value_kind:     hidden_grid_dims
    .group_segment_fixed_size: 0
    .kernarg_segment_align: 8
    .kernarg_segment_size: 1128
    .language:       OpenCL C
    .language_version:
      - 2
      - 0
    .max_flat_workgroup_size: 512
    .name:           _ZN2at4cuda12_GLOBAL__N_121kernelPointwiseApply2IZNS_6native9templates4cuda28bernoulli_tensor_cuda_kernelIlfEEvRKNS_10TensorBaseES9_NS_15PhiloxCudaStateEEUliRlSB_SB_SB_RKfSD_SD_SD_E_lSC_mLi1ELi1ELi4ELi512ELi2EEEvNS0_6detail10TensorInfoIT0_T2_EENSG_IT1_SI_EESI_T_
    .private_segment_fixed_size: 0
    .sgpr_count:     46
    .sgpr_spill_count: 0
    .symbol:         _ZN2at4cuda12_GLOBAL__N_121kernelPointwiseApply2IZNS_6native9templates4cuda28bernoulli_tensor_cuda_kernelIlfEEvRKNS_10TensorBaseES9_NS_15PhiloxCudaStateEEUliRlSB_SB_SB_RKfSD_SD_SD_E_lSC_mLi1ELi1ELi4ELi512ELi2EEEvNS0_6detail10TensorInfoIT0_T2_EENSG_IT1_SI_EESI_T_.kd
    .uniform_work_group_size: 1
    .uses_dynamic_stack: false
    .vgpr_count:     51
    .vgpr_spill_count: 0
    .wavefront_size: 32
    .workgroup_processor_mode: 1
  - .args:
      - .offset:         0
        .size:           416
        .value_kind:     by_value
      - .offset:         416
        .size:           416
        .value_kind:     by_value
      - .offset:         832
        .size:           8
        .value_kind:     by_value
      - .offset:         840
        .size:           32
        .value_kind:     by_value
      - .offset:         872
        .size:           4
        .value_kind:     hidden_block_count_x
      - .offset:         876
        .size:           4
        .value_kind:     hidden_block_count_y
      - .offset:         880
        .size:           4
        .value_kind:     hidden_block_count_z
      - .offset:         884
        .size:           2
        .value_kind:     hidden_group_size_x
      - .offset:         886
        .size:           2
        .value_kind:     hidden_group_size_y
      - .offset:         888
        .size:           2
        .value_kind:     hidden_group_size_z
      - .offset:         890
        .size:           2
        .value_kind:     hidden_remainder_x
      - .offset:         892
        .size:           2
        .value_kind:     hidden_remainder_y
      - .offset:         894
        .size:           2
        .value_kind:     hidden_remainder_z
      - .offset:         912
        .size:           8
        .value_kind:     hidden_global_offset_x
      - .offset:         920
        .size:           8
        .value_kind:     hidden_global_offset_y
      - .offset:         928
        .size:           8
        .value_kind:     hidden_global_offset_z
      - .offset:         936
        .size:           2
        .value_kind:     hidden_grid_dims
    .group_segment_fixed_size: 0
    .kernarg_segment_align: 8
    .kernarg_segment_size: 1128
    .language:       OpenCL C
    .language_version:
      - 2
      - 0
    .max_flat_workgroup_size: 512
    .name:           _ZN2at4cuda12_GLOBAL__N_121kernelPointwiseApply2IZNS_6native9templates4cuda28bernoulli_tensor_cuda_kernelIlfEEvRKNS_10TensorBaseES9_NS_15PhiloxCudaStateEEUliRlSB_SB_SB_RKfSD_SD_SD_E_lSC_mLin1ELin1ELi4ELi512ELi2EEEvNS0_6detail10TensorInfoIT0_T2_EENSG_IT1_SI_EESI_T_
    .private_segment_fixed_size: 0
    .sgpr_count:     50
    .sgpr_spill_count: 0
    .symbol:         _ZN2at4cuda12_GLOBAL__N_121kernelPointwiseApply2IZNS_6native9templates4cuda28bernoulli_tensor_cuda_kernelIlfEEvRKNS_10TensorBaseES9_NS_15PhiloxCudaStateEEUliRlSB_SB_SB_RKfSD_SD_SD_E_lSC_mLin1ELin1ELi4ELi512ELi2EEEvNS0_6detail10TensorInfoIT0_T2_EENSG_IT1_SI_EESI_T_.kd
    .uniform_work_group_size: 1
    .uses_dynamic_stack: false
    .vgpr_count:     44
    .vgpr_spill_count: 0
    .wavefront_size: 32
    .workgroup_processor_mode: 1
  - .args:
      - .offset:         0
        .size:           216
        .value_kind:     by_value
      - .offset:         216
        .size:           216
        .value_kind:     by_value
      - .offset:         432
        .size:           4
        .value_kind:     by_value
      - .offset:         440
        .size:           32
        .value_kind:     by_value
      - .offset:         472
        .size:           4
        .value_kind:     hidden_block_count_x
      - .offset:         476
        .size:           4
        .value_kind:     hidden_block_count_y
      - .offset:         480
        .size:           4
        .value_kind:     hidden_block_count_z
      - .offset:         484
        .size:           2
        .value_kind:     hidden_group_size_x
      - .offset:         486
        .size:           2
        .value_kind:     hidden_group_size_y
      - .offset:         488
        .size:           2
        .value_kind:     hidden_group_size_z
      - .offset:         490
        .size:           2
        .value_kind:     hidden_remainder_x
      - .offset:         492
        .size:           2
        .value_kind:     hidden_remainder_y
      - .offset:         494
        .size:           2
        .value_kind:     hidden_remainder_z
      - .offset:         512
        .size:           8
        .value_kind:     hidden_global_offset_x
      - .offset:         520
        .size:           8
        .value_kind:     hidden_global_offset_y
      - .offset:         528
        .size:           8
        .value_kind:     hidden_global_offset_z
      - .offset:         536
        .size:           2
        .value_kind:     hidden_grid_dims
    .group_segment_fixed_size: 0
    .kernarg_segment_align: 8
    .kernarg_segment_size: 728
    .language:       OpenCL C
    .language_version:
      - 2
      - 0
    .max_flat_workgroup_size: 512
    .name:           _ZN2at4cuda12_GLOBAL__N_121kernelPointwiseApply2IZNS_6native9templates4cuda28bernoulli_tensor_cuda_kernelIsfEEvRKNS_10TensorBaseES9_NS_15PhiloxCudaStateEEUliRsSB_SB_SB_RKfSD_SD_SD_E_sSC_jLi1ELi1ELi4ELi512ELi2EEEvNS0_6detail10TensorInfoIT0_T2_EENSG_IT1_SI_EESI_T_
    .private_segment_fixed_size: 0
    .sgpr_count:     40
    .sgpr_spill_count: 0
    .symbol:         _ZN2at4cuda12_GLOBAL__N_121kernelPointwiseApply2IZNS_6native9templates4cuda28bernoulli_tensor_cuda_kernelIsfEEvRKNS_10TensorBaseES9_NS_15PhiloxCudaStateEEUliRsSB_SB_SB_RKfSD_SD_SD_E_sSC_jLi1ELi1ELi4ELi512ELi2EEEvNS0_6detail10TensorInfoIT0_T2_EENSG_IT1_SI_EESI_T_.kd
    .uniform_work_group_size: 1
    .uses_dynamic_stack: false
    .vgpr_count:     44
    .vgpr_spill_count: 0
    .wavefront_size: 32
    .workgroup_processor_mode: 1
  - .args:
      - .offset:         0
        .size:           216
        .value_kind:     by_value
      - .offset:         216
        .size:           216
        .value_kind:     by_value
      - .offset:         432
        .size:           4
        .value_kind:     by_value
      - .offset:         440
        .size:           32
        .value_kind:     by_value
      - .offset:         472
        .size:           4
        .value_kind:     hidden_block_count_x
      - .offset:         476
        .size:           4
        .value_kind:     hidden_block_count_y
      - .offset:         480
        .size:           4
        .value_kind:     hidden_block_count_z
      - .offset:         484
        .size:           2
        .value_kind:     hidden_group_size_x
      - .offset:         486
        .size:           2
        .value_kind:     hidden_group_size_y
      - .offset:         488
        .size:           2
        .value_kind:     hidden_group_size_z
      - .offset:         490
        .size:           2
        .value_kind:     hidden_remainder_x
      - .offset:         492
        .size:           2
        .value_kind:     hidden_remainder_y
      - .offset:         494
        .size:           2
        .value_kind:     hidden_remainder_z
      - .offset:         512
        .size:           8
        .value_kind:     hidden_global_offset_x
      - .offset:         520
        .size:           8
        .value_kind:     hidden_global_offset_y
      - .offset:         528
        .size:           8
        .value_kind:     hidden_global_offset_z
      - .offset:         536
        .size:           2
        .value_kind:     hidden_grid_dims
    .group_segment_fixed_size: 0
    .kernarg_segment_align: 8
    .kernarg_segment_size: 728
    .language:       OpenCL C
    .language_version:
      - 2
      - 0
    .max_flat_workgroup_size: 512
    .name:           _ZN2at4cuda12_GLOBAL__N_121kernelPointwiseApply2IZNS_6native9templates4cuda28bernoulli_tensor_cuda_kernelIsfEEvRKNS_10TensorBaseES9_NS_15PhiloxCudaStateEEUliRsSB_SB_SB_RKfSD_SD_SD_E_sSC_jLi1ELi2ELi4ELi512ELi2EEEvNS0_6detail10TensorInfoIT0_T2_EENSG_IT1_SI_EESI_T_
    .private_segment_fixed_size: 0
    .sgpr_count:     42
    .sgpr_spill_count: 0
    .symbol:         _ZN2at4cuda12_GLOBAL__N_121kernelPointwiseApply2IZNS_6native9templates4cuda28bernoulli_tensor_cuda_kernelIsfEEvRKNS_10TensorBaseES9_NS_15PhiloxCudaStateEEUliRsSB_SB_SB_RKfSD_SD_SD_E_sSC_jLi1ELi2ELi4ELi512ELi2EEEvNS0_6detail10TensorInfoIT0_T2_EENSG_IT1_SI_EESI_T_.kd
    .uniform_work_group_size: 1
    .uses_dynamic_stack: false
    .vgpr_count:     42
    .vgpr_spill_count: 0
    .wavefront_size: 32
    .workgroup_processor_mode: 1
  - .args:
      - .offset:         0
        .size:           216
        .value_kind:     by_value
      - .offset:         216
        .size:           216
        .value_kind:     by_value
      - .offset:         432
        .size:           4
        .value_kind:     by_value
      - .offset:         440
        .size:           32
        .value_kind:     by_value
      - .offset:         472
        .size:           4
        .value_kind:     hidden_block_count_x
      - .offset:         476
        .size:           4
        .value_kind:     hidden_block_count_y
      - .offset:         480
        .size:           4
        .value_kind:     hidden_block_count_z
      - .offset:         484
        .size:           2
        .value_kind:     hidden_group_size_x
      - .offset:         486
        .size:           2
        .value_kind:     hidden_group_size_y
      - .offset:         488
        .size:           2
        .value_kind:     hidden_group_size_z
      - .offset:         490
        .size:           2
        .value_kind:     hidden_remainder_x
      - .offset:         492
        .size:           2
        .value_kind:     hidden_remainder_y
      - .offset:         494
        .size:           2
        .value_kind:     hidden_remainder_z
      - .offset:         512
        .size:           8
        .value_kind:     hidden_global_offset_x
      - .offset:         520
        .size:           8
        .value_kind:     hidden_global_offset_y
      - .offset:         528
        .size:           8
        .value_kind:     hidden_global_offset_z
      - .offset:         536
        .size:           2
        .value_kind:     hidden_grid_dims
    .group_segment_fixed_size: 0
    .kernarg_segment_align: 8
    .kernarg_segment_size: 728
    .language:       OpenCL C
    .language_version:
      - 2
      - 0
    .max_flat_workgroup_size: 512
    .name:           _ZN2at4cuda12_GLOBAL__N_121kernelPointwiseApply2IZNS_6native9templates4cuda28bernoulli_tensor_cuda_kernelIsfEEvRKNS_10TensorBaseES9_NS_15PhiloxCudaStateEEUliRsSB_SB_SB_RKfSD_SD_SD_E_sSC_jLi1ELin1ELi4ELi512ELi2EEEvNS0_6detail10TensorInfoIT0_T2_EENSG_IT1_SI_EESI_T_
    .private_segment_fixed_size: 0
    .sgpr_count:     43
    .sgpr_spill_count: 0
    .symbol:         _ZN2at4cuda12_GLOBAL__N_121kernelPointwiseApply2IZNS_6native9templates4cuda28bernoulli_tensor_cuda_kernelIsfEEvRKNS_10TensorBaseES9_NS_15PhiloxCudaStateEEUliRsSB_SB_SB_RKfSD_SD_SD_E_sSC_jLi1ELin1ELi4ELi512ELi2EEEvNS0_6detail10TensorInfoIT0_T2_EENSG_IT1_SI_EESI_T_.kd
    .uniform_work_group_size: 1
    .uses_dynamic_stack: false
    .vgpr_count:     39
    .vgpr_spill_count: 0
    .wavefront_size: 32
    .workgroup_processor_mode: 1
  - .args:
      - .offset:         0
        .size:           216
        .value_kind:     by_value
      - .offset:         216
        .size:           216
        .value_kind:     by_value
      - .offset:         432
        .size:           4
        .value_kind:     by_value
      - .offset:         440
        .size:           32
        .value_kind:     by_value
      - .offset:         472
        .size:           4
        .value_kind:     hidden_block_count_x
      - .offset:         476
        .size:           4
        .value_kind:     hidden_block_count_y
      - .offset:         480
        .size:           4
        .value_kind:     hidden_block_count_z
      - .offset:         484
        .size:           2
        .value_kind:     hidden_group_size_x
      - .offset:         486
        .size:           2
        .value_kind:     hidden_group_size_y
      - .offset:         488
        .size:           2
        .value_kind:     hidden_group_size_z
      - .offset:         490
        .size:           2
        .value_kind:     hidden_remainder_x
      - .offset:         492
        .size:           2
        .value_kind:     hidden_remainder_y
      - .offset:         494
        .size:           2
        .value_kind:     hidden_remainder_z
      - .offset:         512
        .size:           8
        .value_kind:     hidden_global_offset_x
      - .offset:         520
        .size:           8
        .value_kind:     hidden_global_offset_y
      - .offset:         528
        .size:           8
        .value_kind:     hidden_global_offset_z
      - .offset:         536
        .size:           2
        .value_kind:     hidden_grid_dims
    .group_segment_fixed_size: 0
    .kernarg_segment_align: 8
    .kernarg_segment_size: 728
    .language:       OpenCL C
    .language_version:
      - 2
      - 0
    .max_flat_workgroup_size: 512
    .name:           _ZN2at4cuda12_GLOBAL__N_121kernelPointwiseApply2IZNS_6native9templates4cuda28bernoulli_tensor_cuda_kernelIsfEEvRKNS_10TensorBaseES9_NS_15PhiloxCudaStateEEUliRsSB_SB_SB_RKfSD_SD_SD_E_sSC_jLi2ELi1ELi4ELi512ELi2EEEvNS0_6detail10TensorInfoIT0_T2_EENSG_IT1_SI_EESI_T_
    .private_segment_fixed_size: 0
    .sgpr_count:     40
    .sgpr_spill_count: 0
    .symbol:         _ZN2at4cuda12_GLOBAL__N_121kernelPointwiseApply2IZNS_6native9templates4cuda28bernoulli_tensor_cuda_kernelIsfEEvRKNS_10TensorBaseES9_NS_15PhiloxCudaStateEEUliRsSB_SB_SB_RKfSD_SD_SD_E_sSC_jLi2ELi1ELi4ELi512ELi2EEEvNS0_6detail10TensorInfoIT0_T2_EENSG_IT1_SI_EESI_T_.kd
    .uniform_work_group_size: 1
    .uses_dynamic_stack: false
    .vgpr_count:     48
    .vgpr_spill_count: 0
    .wavefront_size: 32
    .workgroup_processor_mode: 1
  - .args:
      - .offset:         0
        .size:           216
        .value_kind:     by_value
      - .offset:         216
        .size:           216
        .value_kind:     by_value
      - .offset:         432
        .size:           4
        .value_kind:     by_value
      - .offset:         440
        .size:           32
        .value_kind:     by_value
      - .offset:         472
        .size:           4
        .value_kind:     hidden_block_count_x
      - .offset:         476
        .size:           4
        .value_kind:     hidden_block_count_y
      - .offset:         480
        .size:           4
        .value_kind:     hidden_block_count_z
      - .offset:         484
        .size:           2
        .value_kind:     hidden_group_size_x
      - .offset:         486
        .size:           2
        .value_kind:     hidden_group_size_y
      - .offset:         488
        .size:           2
        .value_kind:     hidden_group_size_z
      - .offset:         490
        .size:           2
        .value_kind:     hidden_remainder_x
      - .offset:         492
        .size:           2
        .value_kind:     hidden_remainder_y
      - .offset:         494
        .size:           2
        .value_kind:     hidden_remainder_z
      - .offset:         512
        .size:           8
        .value_kind:     hidden_global_offset_x
      - .offset:         520
        .size:           8
        .value_kind:     hidden_global_offset_y
      - .offset:         528
        .size:           8
        .value_kind:     hidden_global_offset_z
      - .offset:         536
        .size:           2
        .value_kind:     hidden_grid_dims
    .group_segment_fixed_size: 0
    .kernarg_segment_align: 8
    .kernarg_segment_size: 728
    .language:       OpenCL C
    .language_version:
      - 2
      - 0
    .max_flat_workgroup_size: 512
    .name:           _ZN2at4cuda12_GLOBAL__N_121kernelPointwiseApply2IZNS_6native9templates4cuda28bernoulli_tensor_cuda_kernelIsfEEvRKNS_10TensorBaseES9_NS_15PhiloxCudaStateEEUliRsSB_SB_SB_RKfSD_SD_SD_E_sSC_jLi2ELi2ELi4ELi512ELi2EEEvNS0_6detail10TensorInfoIT0_T2_EENSG_IT1_SI_EESI_T_
    .private_segment_fixed_size: 0
    .sgpr_count:     42
    .sgpr_spill_count: 0
    .symbol:         _ZN2at4cuda12_GLOBAL__N_121kernelPointwiseApply2IZNS_6native9templates4cuda28bernoulli_tensor_cuda_kernelIsfEEvRKNS_10TensorBaseES9_NS_15PhiloxCudaStateEEUliRsSB_SB_SB_RKfSD_SD_SD_E_sSC_jLi2ELi2ELi4ELi512ELi2EEEvNS0_6detail10TensorInfoIT0_T2_EENSG_IT1_SI_EESI_T_.kd
    .uniform_work_group_size: 1
    .uses_dynamic_stack: false
    .vgpr_count:     44
    .vgpr_spill_count: 0
    .wavefront_size: 32
    .workgroup_processor_mode: 1
  - .args:
      - .offset:         0
        .size:           216
        .value_kind:     by_value
      - .offset:         216
        .size:           216
        .value_kind:     by_value
      - .offset:         432
        .size:           4
        .value_kind:     by_value
      - .offset:         440
        .size:           32
        .value_kind:     by_value
      - .offset:         472
        .size:           4
        .value_kind:     hidden_block_count_x
      - .offset:         476
        .size:           4
        .value_kind:     hidden_block_count_y
      - .offset:         480
        .size:           4
        .value_kind:     hidden_block_count_z
      - .offset:         484
        .size:           2
        .value_kind:     hidden_group_size_x
      - .offset:         486
        .size:           2
        .value_kind:     hidden_group_size_y
      - .offset:         488
        .size:           2
        .value_kind:     hidden_group_size_z
      - .offset:         490
        .size:           2
        .value_kind:     hidden_remainder_x
      - .offset:         492
        .size:           2
        .value_kind:     hidden_remainder_y
      - .offset:         494
        .size:           2
        .value_kind:     hidden_remainder_z
      - .offset:         512
        .size:           8
        .value_kind:     hidden_global_offset_x
      - .offset:         520
        .size:           8
        .value_kind:     hidden_global_offset_y
      - .offset:         528
        .size:           8
        .value_kind:     hidden_global_offset_z
      - .offset:         536
        .size:           2
        .value_kind:     hidden_grid_dims
    .group_segment_fixed_size: 0
    .kernarg_segment_align: 8
    .kernarg_segment_size: 728
    .language:       OpenCL C
    .language_version:
      - 2
      - 0
    .max_flat_workgroup_size: 512
    .name:           _ZN2at4cuda12_GLOBAL__N_121kernelPointwiseApply2IZNS_6native9templates4cuda28bernoulli_tensor_cuda_kernelIsfEEvRKNS_10TensorBaseES9_NS_15PhiloxCudaStateEEUliRsSB_SB_SB_RKfSD_SD_SD_E_sSC_jLi2ELin1ELi4ELi512ELi2EEEvNS0_6detail10TensorInfoIT0_T2_EENSG_IT1_SI_EESI_T_
    .private_segment_fixed_size: 0
    .sgpr_count:     42
    .sgpr_spill_count: 0
    .symbol:         _ZN2at4cuda12_GLOBAL__N_121kernelPointwiseApply2IZNS_6native9templates4cuda28bernoulli_tensor_cuda_kernelIsfEEvRKNS_10TensorBaseES9_NS_15PhiloxCudaStateEEUliRsSB_SB_SB_RKfSD_SD_SD_E_sSC_jLi2ELin1ELi4ELi512ELi2EEEvNS0_6detail10TensorInfoIT0_T2_EENSG_IT1_SI_EESI_T_.kd
    .uniform_work_group_size: 1
    .uses_dynamic_stack: false
    .vgpr_count:     41
    .vgpr_spill_count: 0
    .wavefront_size: 32
    .workgroup_processor_mode: 1
  - .args:
      - .offset:         0
        .size:           216
        .value_kind:     by_value
      - .offset:         216
        .size:           216
        .value_kind:     by_value
      - .offset:         432
        .size:           4
        .value_kind:     by_value
      - .offset:         440
        .size:           32
        .value_kind:     by_value
      - .offset:         472
        .size:           4
        .value_kind:     hidden_block_count_x
      - .offset:         476
        .size:           4
        .value_kind:     hidden_block_count_y
      - .offset:         480
        .size:           4
        .value_kind:     hidden_block_count_z
      - .offset:         484
        .size:           2
        .value_kind:     hidden_group_size_x
      - .offset:         486
        .size:           2
        .value_kind:     hidden_group_size_y
      - .offset:         488
        .size:           2
        .value_kind:     hidden_group_size_z
      - .offset:         490
        .size:           2
        .value_kind:     hidden_remainder_x
      - .offset:         492
        .size:           2
        .value_kind:     hidden_remainder_y
      - .offset:         494
        .size:           2
        .value_kind:     hidden_remainder_z
      - .offset:         512
        .size:           8
        .value_kind:     hidden_global_offset_x
      - .offset:         520
        .size:           8
        .value_kind:     hidden_global_offset_y
      - .offset:         528
        .size:           8
        .value_kind:     hidden_global_offset_z
      - .offset:         536
        .size:           2
        .value_kind:     hidden_grid_dims
    .group_segment_fixed_size: 0
    .kernarg_segment_align: 8
    .kernarg_segment_size: 728
    .language:       OpenCL C
    .language_version:
      - 2
      - 0
    .max_flat_workgroup_size: 512
    .name:           _ZN2at4cuda12_GLOBAL__N_121kernelPointwiseApply2IZNS_6native9templates4cuda28bernoulli_tensor_cuda_kernelIsfEEvRKNS_10TensorBaseES9_NS_15PhiloxCudaStateEEUliRsSB_SB_SB_RKfSD_SD_SD_E_sSC_jLin1ELi1ELi4ELi512ELi2EEEvNS0_6detail10TensorInfoIT0_T2_EENSG_IT1_SI_EESI_T_
    .private_segment_fixed_size: 0
    .sgpr_count:     42
    .sgpr_spill_count: 0
    .symbol:         _ZN2at4cuda12_GLOBAL__N_121kernelPointwiseApply2IZNS_6native9templates4cuda28bernoulli_tensor_cuda_kernelIsfEEvRKNS_10TensorBaseES9_NS_15PhiloxCudaStateEEUliRsSB_SB_SB_RKfSD_SD_SD_E_sSC_jLin1ELi1ELi4ELi512ELi2EEEvNS0_6detail10TensorInfoIT0_T2_EENSG_IT1_SI_EESI_T_.kd
    .uniform_work_group_size: 1
    .uses_dynamic_stack: false
    .vgpr_count:     41
    .vgpr_spill_count: 0
    .wavefront_size: 32
    .workgroup_processor_mode: 1
  - .args:
      - .offset:         0
        .size:           216
        .value_kind:     by_value
      - .offset:         216
        .size:           216
        .value_kind:     by_value
      - .offset:         432
        .size:           4
        .value_kind:     by_value
      - .offset:         440
        .size:           32
        .value_kind:     by_value
      - .offset:         472
        .size:           4
        .value_kind:     hidden_block_count_x
      - .offset:         476
        .size:           4
        .value_kind:     hidden_block_count_y
      - .offset:         480
        .size:           4
        .value_kind:     hidden_block_count_z
      - .offset:         484
        .size:           2
        .value_kind:     hidden_group_size_x
      - .offset:         486
        .size:           2
        .value_kind:     hidden_group_size_y
      - .offset:         488
        .size:           2
        .value_kind:     hidden_group_size_z
      - .offset:         490
        .size:           2
        .value_kind:     hidden_remainder_x
      - .offset:         492
        .size:           2
        .value_kind:     hidden_remainder_y
      - .offset:         494
        .size:           2
        .value_kind:     hidden_remainder_z
      - .offset:         512
        .size:           8
        .value_kind:     hidden_global_offset_x
      - .offset:         520
        .size:           8
        .value_kind:     hidden_global_offset_y
      - .offset:         528
        .size:           8
        .value_kind:     hidden_global_offset_z
      - .offset:         536
        .size:           2
        .value_kind:     hidden_grid_dims
    .group_segment_fixed_size: 0
    .kernarg_segment_align: 8
    .kernarg_segment_size: 728
    .language:       OpenCL C
    .language_version:
      - 2
      - 0
    .max_flat_workgroup_size: 512
    .name:           _ZN2at4cuda12_GLOBAL__N_121kernelPointwiseApply2IZNS_6native9templates4cuda28bernoulli_tensor_cuda_kernelIsfEEvRKNS_10TensorBaseES9_NS_15PhiloxCudaStateEEUliRsSB_SB_SB_RKfSD_SD_SD_E_sSC_jLin1ELi2ELi4ELi512ELi2EEEvNS0_6detail10TensorInfoIT0_T2_EENSG_IT1_SI_EESI_T_
    .private_segment_fixed_size: 0
    .sgpr_count:     42
    .sgpr_spill_count: 0
    .symbol:         _ZN2at4cuda12_GLOBAL__N_121kernelPointwiseApply2IZNS_6native9templates4cuda28bernoulli_tensor_cuda_kernelIsfEEvRKNS_10TensorBaseES9_NS_15PhiloxCudaStateEEUliRsSB_SB_SB_RKfSD_SD_SD_E_sSC_jLin1ELi2ELi4ELi512ELi2EEEvNS0_6detail10TensorInfoIT0_T2_EENSG_IT1_SI_EESI_T_.kd
    .uniform_work_group_size: 1
    .uses_dynamic_stack: false
    .vgpr_count:     42
    .vgpr_spill_count: 0
    .wavefront_size: 32
    .workgroup_processor_mode: 1
  - .args:
      - .offset:         0
        .size:           216
        .value_kind:     by_value
      - .offset:         216
        .size:           216
        .value_kind:     by_value
      - .offset:         432
        .size:           4
        .value_kind:     by_value
      - .offset:         440
        .size:           32
        .value_kind:     by_value
      - .offset:         472
        .size:           4
        .value_kind:     hidden_block_count_x
      - .offset:         476
        .size:           4
        .value_kind:     hidden_block_count_y
      - .offset:         480
        .size:           4
        .value_kind:     hidden_block_count_z
      - .offset:         484
        .size:           2
        .value_kind:     hidden_group_size_x
      - .offset:         486
        .size:           2
        .value_kind:     hidden_group_size_y
      - .offset:         488
        .size:           2
        .value_kind:     hidden_group_size_z
      - .offset:         490
        .size:           2
        .value_kind:     hidden_remainder_x
      - .offset:         492
        .size:           2
        .value_kind:     hidden_remainder_y
      - .offset:         494
        .size:           2
        .value_kind:     hidden_remainder_z
      - .offset:         512
        .size:           8
        .value_kind:     hidden_global_offset_x
      - .offset:         520
        .size:           8
        .value_kind:     hidden_global_offset_y
      - .offset:         528
        .size:           8
        .value_kind:     hidden_global_offset_z
      - .offset:         536
        .size:           2
        .value_kind:     hidden_grid_dims
    .group_segment_fixed_size: 0
    .kernarg_segment_align: 8
    .kernarg_segment_size: 728
    .language:       OpenCL C
    .language_version:
      - 2
      - 0
    .max_flat_workgroup_size: 512
    .name:           _ZN2at4cuda12_GLOBAL__N_121kernelPointwiseApply2IZNS_6native9templates4cuda28bernoulli_tensor_cuda_kernelIsfEEvRKNS_10TensorBaseES9_NS_15PhiloxCudaStateEEUliRsSB_SB_SB_RKfSD_SD_SD_E_sSC_jLin1ELin1ELi4ELi512ELi2EEEvNS0_6detail10TensorInfoIT0_T2_EENSG_IT1_SI_EESI_T_
    .private_segment_fixed_size: 0
    .sgpr_count:     44
    .sgpr_spill_count: 0
    .symbol:         _ZN2at4cuda12_GLOBAL__N_121kernelPointwiseApply2IZNS_6native9templates4cuda28bernoulli_tensor_cuda_kernelIsfEEvRKNS_10TensorBaseES9_NS_15PhiloxCudaStateEEUliRsSB_SB_SB_RKfSD_SD_SD_E_sSC_jLin1ELin1ELi4ELi512ELi2EEEvNS0_6detail10TensorInfoIT0_T2_EENSG_IT1_SI_EESI_T_.kd
    .uniform_work_group_size: 1
    .uses_dynamic_stack: false
    .vgpr_count:     40
    .vgpr_spill_count: 0
    .wavefront_size: 32
    .workgroup_processor_mode: 1
  - .args:
      - .offset:         0
        .size:           416
        .value_kind:     by_value
      - .offset:         416
        .size:           416
        .value_kind:     by_value
      - .offset:         832
        .size:           8
        .value_kind:     by_value
      - .offset:         840
        .size:           32
        .value_kind:     by_value
      - .offset:         872
        .size:           4
        .value_kind:     hidden_block_count_x
      - .offset:         876
        .size:           4
        .value_kind:     hidden_block_count_y
      - .offset:         880
        .size:           4
        .value_kind:     hidden_block_count_z
      - .offset:         884
        .size:           2
        .value_kind:     hidden_group_size_x
      - .offset:         886
        .size:           2
        .value_kind:     hidden_group_size_y
      - .offset:         888
        .size:           2
        .value_kind:     hidden_group_size_z
      - .offset:         890
        .size:           2
        .value_kind:     hidden_remainder_x
      - .offset:         892
        .size:           2
        .value_kind:     hidden_remainder_y
      - .offset:         894
        .size:           2
        .value_kind:     hidden_remainder_z
      - .offset:         912
        .size:           8
        .value_kind:     hidden_global_offset_x
      - .offset:         920
        .size:           8
        .value_kind:     hidden_global_offset_y
      - .offset:         928
        .size:           8
        .value_kind:     hidden_global_offset_z
      - .offset:         936
        .size:           2
        .value_kind:     hidden_grid_dims
    .group_segment_fixed_size: 0
    .kernarg_segment_align: 8
    .kernarg_segment_size: 1128
    .language:       OpenCL C
    .language_version:
      - 2
      - 0
    .max_flat_workgroup_size: 512
    .name:           _ZN2at4cuda12_GLOBAL__N_121kernelPointwiseApply2IZNS_6native9templates4cuda28bernoulli_tensor_cuda_kernelIsfEEvRKNS_10TensorBaseES9_NS_15PhiloxCudaStateEEUliRsSB_SB_SB_RKfSD_SD_SD_E_sSC_mLi1ELi1ELi4ELi512ELi2EEEvNS0_6detail10TensorInfoIT0_T2_EENSG_IT1_SI_EESI_T_
    .private_segment_fixed_size: 0
    .sgpr_count:     45
    .sgpr_spill_count: 0
    .symbol:         _ZN2at4cuda12_GLOBAL__N_121kernelPointwiseApply2IZNS_6native9templates4cuda28bernoulli_tensor_cuda_kernelIsfEEvRKNS_10TensorBaseES9_NS_15PhiloxCudaStateEEUliRsSB_SB_SB_RKfSD_SD_SD_E_sSC_mLi1ELi1ELi4ELi512ELi2EEEvNS0_6detail10TensorInfoIT0_T2_EENSG_IT1_SI_EESI_T_.kd
    .uniform_work_group_size: 1
    .uses_dynamic_stack: false
    .vgpr_count:     51
    .vgpr_spill_count: 0
    .wavefront_size: 32
    .workgroup_processor_mode: 1
  - .args:
      - .offset:         0
        .size:           416
        .value_kind:     by_value
      - .offset:         416
        .size:           416
        .value_kind:     by_value
      - .offset:         832
        .size:           8
        .value_kind:     by_value
      - .offset:         840
        .size:           32
        .value_kind:     by_value
      - .offset:         872
        .size:           4
        .value_kind:     hidden_block_count_x
      - .offset:         876
        .size:           4
        .value_kind:     hidden_block_count_y
      - .offset:         880
        .size:           4
        .value_kind:     hidden_block_count_z
      - .offset:         884
        .size:           2
        .value_kind:     hidden_group_size_x
      - .offset:         886
        .size:           2
        .value_kind:     hidden_group_size_y
      - .offset:         888
        .size:           2
        .value_kind:     hidden_group_size_z
      - .offset:         890
        .size:           2
        .value_kind:     hidden_remainder_x
      - .offset:         892
        .size:           2
        .value_kind:     hidden_remainder_y
      - .offset:         894
        .size:           2
        .value_kind:     hidden_remainder_z
      - .offset:         912
        .size:           8
        .value_kind:     hidden_global_offset_x
      - .offset:         920
        .size:           8
        .value_kind:     hidden_global_offset_y
      - .offset:         928
        .size:           8
        .value_kind:     hidden_global_offset_z
      - .offset:         936
        .size:           2
        .value_kind:     hidden_grid_dims
    .group_segment_fixed_size: 0
    .kernarg_segment_align: 8
    .kernarg_segment_size: 1128
    .language:       OpenCL C
    .language_version:
      - 2
      - 0
    .max_flat_workgroup_size: 512
    .name:           _ZN2at4cuda12_GLOBAL__N_121kernelPointwiseApply2IZNS_6native9templates4cuda28bernoulli_tensor_cuda_kernelIsfEEvRKNS_10TensorBaseES9_NS_15PhiloxCudaStateEEUliRsSB_SB_SB_RKfSD_SD_SD_E_sSC_mLin1ELin1ELi4ELi512ELi2EEEvNS0_6detail10TensorInfoIT0_T2_EENSG_IT1_SI_EESI_T_
    .private_segment_fixed_size: 0
    .sgpr_count:     48
    .sgpr_spill_count: 0
    .symbol:         _ZN2at4cuda12_GLOBAL__N_121kernelPointwiseApply2IZNS_6native9templates4cuda28bernoulli_tensor_cuda_kernelIsfEEvRKNS_10TensorBaseES9_NS_15PhiloxCudaStateEEUliRsSB_SB_SB_RKfSD_SD_SD_E_sSC_mLin1ELin1ELi4ELi512ELi2EEEvNS0_6detail10TensorInfoIT0_T2_EENSG_IT1_SI_EESI_T_.kd
    .uniform_work_group_size: 1
    .uses_dynamic_stack: false
    .vgpr_count:     44
    .vgpr_spill_count: 0
    .wavefront_size: 32
    .workgroup_processor_mode: 1
  - .args:
      - .offset:         0
        .size:           216
        .value_kind:     by_value
      - .offset:         216
        .size:           216
        .value_kind:     by_value
      - .offset:         432
        .size:           4
        .value_kind:     by_value
      - .offset:         440
        .size:           32
        .value_kind:     by_value
      - .offset:         472
        .size:           4
        .value_kind:     hidden_block_count_x
      - .offset:         476
        .size:           4
        .value_kind:     hidden_block_count_y
      - .offset:         480
        .size:           4
        .value_kind:     hidden_block_count_z
      - .offset:         484
        .size:           2
        .value_kind:     hidden_group_size_x
      - .offset:         486
        .size:           2
        .value_kind:     hidden_group_size_y
      - .offset:         488
        .size:           2
        .value_kind:     hidden_group_size_z
      - .offset:         490
        .size:           2
        .value_kind:     hidden_remainder_x
      - .offset:         492
        .size:           2
        .value_kind:     hidden_remainder_y
      - .offset:         494
        .size:           2
        .value_kind:     hidden_remainder_z
      - .offset:         512
        .size:           8
        .value_kind:     hidden_global_offset_x
      - .offset:         520
        .size:           8
        .value_kind:     hidden_global_offset_y
      - .offset:         528
        .size:           8
        .value_kind:     hidden_global_offset_z
      - .offset:         536
        .size:           2
        .value_kind:     hidden_grid_dims
    .group_segment_fixed_size: 0
    .kernarg_segment_align: 8
    .kernarg_segment_size: 728
    .language:       OpenCL C
    .language_version:
      - 2
      - 0
    .max_flat_workgroup_size: 512
    .name:           _ZN2at4cuda12_GLOBAL__N_121kernelPointwiseApply2IZNS_6native9templates4cuda28bernoulli_tensor_cuda_kernelIdfEEvRKNS_10TensorBaseES9_NS_15PhiloxCudaStateEEUliRdSB_SB_SB_RKfSD_SD_SD_E_dSC_jLi1ELi1ELi4ELi512ELi2EEEvNS0_6detail10TensorInfoIT0_T2_EENSG_IT1_SI_EESI_T_
    .private_segment_fixed_size: 0
    .sgpr_count:     40
    .sgpr_spill_count: 0
    .symbol:         _ZN2at4cuda12_GLOBAL__N_121kernelPointwiseApply2IZNS_6native9templates4cuda28bernoulli_tensor_cuda_kernelIdfEEvRKNS_10TensorBaseES9_NS_15PhiloxCudaStateEEUliRdSB_SB_SB_RKfSD_SD_SD_E_dSC_jLi1ELi1ELi4ELi512ELi2EEEvNS0_6detail10TensorInfoIT0_T2_EENSG_IT1_SI_EESI_T_.kd
    .uniform_work_group_size: 1
    .uses_dynamic_stack: false
    .vgpr_count:     44
    .vgpr_spill_count: 0
    .wavefront_size: 32
    .workgroup_processor_mode: 1
  - .args:
      - .offset:         0
        .size:           216
        .value_kind:     by_value
      - .offset:         216
        .size:           216
        .value_kind:     by_value
      - .offset:         432
        .size:           4
        .value_kind:     by_value
      - .offset:         440
        .size:           32
        .value_kind:     by_value
      - .offset:         472
        .size:           4
        .value_kind:     hidden_block_count_x
      - .offset:         476
        .size:           4
        .value_kind:     hidden_block_count_y
      - .offset:         480
        .size:           4
        .value_kind:     hidden_block_count_z
      - .offset:         484
        .size:           2
        .value_kind:     hidden_group_size_x
      - .offset:         486
        .size:           2
        .value_kind:     hidden_group_size_y
      - .offset:         488
        .size:           2
        .value_kind:     hidden_group_size_z
      - .offset:         490
        .size:           2
        .value_kind:     hidden_remainder_x
      - .offset:         492
        .size:           2
        .value_kind:     hidden_remainder_y
      - .offset:         494
        .size:           2
        .value_kind:     hidden_remainder_z
      - .offset:         512
        .size:           8
        .value_kind:     hidden_global_offset_x
      - .offset:         520
        .size:           8
        .value_kind:     hidden_global_offset_y
      - .offset:         528
        .size:           8
        .value_kind:     hidden_global_offset_z
      - .offset:         536
        .size:           2
        .value_kind:     hidden_grid_dims
    .group_segment_fixed_size: 0
    .kernarg_segment_align: 8
    .kernarg_segment_size: 728
    .language:       OpenCL C
    .language_version:
      - 2
      - 0
    .max_flat_workgroup_size: 512
    .name:           _ZN2at4cuda12_GLOBAL__N_121kernelPointwiseApply2IZNS_6native9templates4cuda28bernoulli_tensor_cuda_kernelIdfEEvRKNS_10TensorBaseES9_NS_15PhiloxCudaStateEEUliRdSB_SB_SB_RKfSD_SD_SD_E_dSC_jLi1ELi2ELi4ELi512ELi2EEEvNS0_6detail10TensorInfoIT0_T2_EENSG_IT1_SI_EESI_T_
    .private_segment_fixed_size: 0
    .sgpr_count:     42
    .sgpr_spill_count: 0
    .symbol:         _ZN2at4cuda12_GLOBAL__N_121kernelPointwiseApply2IZNS_6native9templates4cuda28bernoulli_tensor_cuda_kernelIdfEEvRKNS_10TensorBaseES9_NS_15PhiloxCudaStateEEUliRdSB_SB_SB_RKfSD_SD_SD_E_dSC_jLi1ELi2ELi4ELi512ELi2EEEvNS0_6detail10TensorInfoIT0_T2_EENSG_IT1_SI_EESI_T_.kd
    .uniform_work_group_size: 1
    .uses_dynamic_stack: false
    .vgpr_count:     41
    .vgpr_spill_count: 0
    .wavefront_size: 32
    .workgroup_processor_mode: 1
  - .args:
      - .offset:         0
        .size:           216
        .value_kind:     by_value
      - .offset:         216
        .size:           216
        .value_kind:     by_value
      - .offset:         432
        .size:           4
        .value_kind:     by_value
      - .offset:         440
        .size:           32
        .value_kind:     by_value
      - .offset:         472
        .size:           4
        .value_kind:     hidden_block_count_x
      - .offset:         476
        .size:           4
        .value_kind:     hidden_block_count_y
      - .offset:         480
        .size:           4
        .value_kind:     hidden_block_count_z
      - .offset:         484
        .size:           2
        .value_kind:     hidden_group_size_x
      - .offset:         486
        .size:           2
        .value_kind:     hidden_group_size_y
      - .offset:         488
        .size:           2
        .value_kind:     hidden_group_size_z
      - .offset:         490
        .size:           2
        .value_kind:     hidden_remainder_x
      - .offset:         492
        .size:           2
        .value_kind:     hidden_remainder_y
      - .offset:         494
        .size:           2
        .value_kind:     hidden_remainder_z
      - .offset:         512
        .size:           8
        .value_kind:     hidden_global_offset_x
      - .offset:         520
        .size:           8
        .value_kind:     hidden_global_offset_y
      - .offset:         528
        .size:           8
        .value_kind:     hidden_global_offset_z
      - .offset:         536
        .size:           2
        .value_kind:     hidden_grid_dims
    .group_segment_fixed_size: 0
    .kernarg_segment_align: 8
    .kernarg_segment_size: 728
    .language:       OpenCL C
    .language_version:
      - 2
      - 0
    .max_flat_workgroup_size: 512
    .name:           _ZN2at4cuda12_GLOBAL__N_121kernelPointwiseApply2IZNS_6native9templates4cuda28bernoulli_tensor_cuda_kernelIdfEEvRKNS_10TensorBaseES9_NS_15PhiloxCudaStateEEUliRdSB_SB_SB_RKfSD_SD_SD_E_dSC_jLi1ELin1ELi4ELi512ELi2EEEvNS0_6detail10TensorInfoIT0_T2_EENSG_IT1_SI_EESI_T_
    .private_segment_fixed_size: 0
    .sgpr_count:     43
    .sgpr_spill_count: 0
    .symbol:         _ZN2at4cuda12_GLOBAL__N_121kernelPointwiseApply2IZNS_6native9templates4cuda28bernoulli_tensor_cuda_kernelIdfEEvRKNS_10TensorBaseES9_NS_15PhiloxCudaStateEEUliRdSB_SB_SB_RKfSD_SD_SD_E_dSC_jLi1ELin1ELi4ELi512ELi2EEEvNS0_6detail10TensorInfoIT0_T2_EENSG_IT1_SI_EESI_T_.kd
    .uniform_work_group_size: 1
    .uses_dynamic_stack: false
    .vgpr_count:     39
    .vgpr_spill_count: 0
    .wavefront_size: 32
    .workgroup_processor_mode: 1
  - .args:
      - .offset:         0
        .size:           216
        .value_kind:     by_value
      - .offset:         216
        .size:           216
        .value_kind:     by_value
      - .offset:         432
        .size:           4
        .value_kind:     by_value
      - .offset:         440
        .size:           32
        .value_kind:     by_value
      - .offset:         472
        .size:           4
        .value_kind:     hidden_block_count_x
      - .offset:         476
        .size:           4
        .value_kind:     hidden_block_count_y
      - .offset:         480
        .size:           4
        .value_kind:     hidden_block_count_z
      - .offset:         484
        .size:           2
        .value_kind:     hidden_group_size_x
      - .offset:         486
        .size:           2
        .value_kind:     hidden_group_size_y
      - .offset:         488
        .size:           2
        .value_kind:     hidden_group_size_z
      - .offset:         490
        .size:           2
        .value_kind:     hidden_remainder_x
      - .offset:         492
        .size:           2
        .value_kind:     hidden_remainder_y
      - .offset:         494
        .size:           2
        .value_kind:     hidden_remainder_z
      - .offset:         512
        .size:           8
        .value_kind:     hidden_global_offset_x
      - .offset:         520
        .size:           8
        .value_kind:     hidden_global_offset_y
      - .offset:         528
        .size:           8
        .value_kind:     hidden_global_offset_z
      - .offset:         536
        .size:           2
        .value_kind:     hidden_grid_dims
    .group_segment_fixed_size: 0
    .kernarg_segment_align: 8
    .kernarg_segment_size: 728
    .language:       OpenCL C
    .language_version:
      - 2
      - 0
    .max_flat_workgroup_size: 512
    .name:           _ZN2at4cuda12_GLOBAL__N_121kernelPointwiseApply2IZNS_6native9templates4cuda28bernoulli_tensor_cuda_kernelIdfEEvRKNS_10TensorBaseES9_NS_15PhiloxCudaStateEEUliRdSB_SB_SB_RKfSD_SD_SD_E_dSC_jLi2ELi1ELi4ELi512ELi2EEEvNS0_6detail10TensorInfoIT0_T2_EENSG_IT1_SI_EESI_T_
    .private_segment_fixed_size: 0
    .sgpr_count:     40
    .sgpr_spill_count: 0
    .symbol:         _ZN2at4cuda12_GLOBAL__N_121kernelPointwiseApply2IZNS_6native9templates4cuda28bernoulli_tensor_cuda_kernelIdfEEvRKNS_10TensorBaseES9_NS_15PhiloxCudaStateEEUliRdSB_SB_SB_RKfSD_SD_SD_E_dSC_jLi2ELi1ELi4ELi512ELi2EEEvNS0_6detail10TensorInfoIT0_T2_EENSG_IT1_SI_EESI_T_.kd
    .uniform_work_group_size: 1
    .uses_dynamic_stack: false
    .vgpr_count:     48
    .vgpr_spill_count: 0
    .wavefront_size: 32
    .workgroup_processor_mode: 1
  - .args:
      - .offset:         0
        .size:           216
        .value_kind:     by_value
      - .offset:         216
        .size:           216
        .value_kind:     by_value
      - .offset:         432
        .size:           4
        .value_kind:     by_value
      - .offset:         440
        .size:           32
        .value_kind:     by_value
      - .offset:         472
        .size:           4
        .value_kind:     hidden_block_count_x
      - .offset:         476
        .size:           4
        .value_kind:     hidden_block_count_y
      - .offset:         480
        .size:           4
        .value_kind:     hidden_block_count_z
      - .offset:         484
        .size:           2
        .value_kind:     hidden_group_size_x
      - .offset:         486
        .size:           2
        .value_kind:     hidden_group_size_y
      - .offset:         488
        .size:           2
        .value_kind:     hidden_group_size_z
      - .offset:         490
        .size:           2
        .value_kind:     hidden_remainder_x
      - .offset:         492
        .size:           2
        .value_kind:     hidden_remainder_y
      - .offset:         494
        .size:           2
        .value_kind:     hidden_remainder_z
      - .offset:         512
        .size:           8
        .value_kind:     hidden_global_offset_x
      - .offset:         520
        .size:           8
        .value_kind:     hidden_global_offset_y
      - .offset:         528
        .size:           8
        .value_kind:     hidden_global_offset_z
      - .offset:         536
        .size:           2
        .value_kind:     hidden_grid_dims
    .group_segment_fixed_size: 0
    .kernarg_segment_align: 8
    .kernarg_segment_size: 728
    .language:       OpenCL C
    .language_version:
      - 2
      - 0
    .max_flat_workgroup_size: 512
    .name:           _ZN2at4cuda12_GLOBAL__N_121kernelPointwiseApply2IZNS_6native9templates4cuda28bernoulli_tensor_cuda_kernelIdfEEvRKNS_10TensorBaseES9_NS_15PhiloxCudaStateEEUliRdSB_SB_SB_RKfSD_SD_SD_E_dSC_jLi2ELi2ELi4ELi512ELi2EEEvNS0_6detail10TensorInfoIT0_T2_EENSG_IT1_SI_EESI_T_
    .private_segment_fixed_size: 0
    .sgpr_count:     42
    .sgpr_spill_count: 0
    .symbol:         _ZN2at4cuda12_GLOBAL__N_121kernelPointwiseApply2IZNS_6native9templates4cuda28bernoulli_tensor_cuda_kernelIdfEEvRKNS_10TensorBaseES9_NS_15PhiloxCudaStateEEUliRdSB_SB_SB_RKfSD_SD_SD_E_dSC_jLi2ELi2ELi4ELi512ELi2EEEvNS0_6detail10TensorInfoIT0_T2_EENSG_IT1_SI_EESI_T_.kd
    .uniform_work_group_size: 1
    .uses_dynamic_stack: false
    .vgpr_count:     44
    .vgpr_spill_count: 0
    .wavefront_size: 32
    .workgroup_processor_mode: 1
  - .args:
      - .offset:         0
        .size:           216
        .value_kind:     by_value
      - .offset:         216
        .size:           216
        .value_kind:     by_value
      - .offset:         432
        .size:           4
        .value_kind:     by_value
      - .offset:         440
        .size:           32
        .value_kind:     by_value
      - .offset:         472
        .size:           4
        .value_kind:     hidden_block_count_x
      - .offset:         476
        .size:           4
        .value_kind:     hidden_block_count_y
      - .offset:         480
        .size:           4
        .value_kind:     hidden_block_count_z
      - .offset:         484
        .size:           2
        .value_kind:     hidden_group_size_x
      - .offset:         486
        .size:           2
        .value_kind:     hidden_group_size_y
      - .offset:         488
        .size:           2
        .value_kind:     hidden_group_size_z
      - .offset:         490
        .size:           2
        .value_kind:     hidden_remainder_x
      - .offset:         492
        .size:           2
        .value_kind:     hidden_remainder_y
      - .offset:         494
        .size:           2
        .value_kind:     hidden_remainder_z
      - .offset:         512
        .size:           8
        .value_kind:     hidden_global_offset_x
      - .offset:         520
        .size:           8
        .value_kind:     hidden_global_offset_y
      - .offset:         528
        .size:           8
        .value_kind:     hidden_global_offset_z
      - .offset:         536
        .size:           2
        .value_kind:     hidden_grid_dims
    .group_segment_fixed_size: 0
    .kernarg_segment_align: 8
    .kernarg_segment_size: 728
    .language:       OpenCL C
    .language_version:
      - 2
      - 0
    .max_flat_workgroup_size: 512
    .name:           _ZN2at4cuda12_GLOBAL__N_121kernelPointwiseApply2IZNS_6native9templates4cuda28bernoulli_tensor_cuda_kernelIdfEEvRKNS_10TensorBaseES9_NS_15PhiloxCudaStateEEUliRdSB_SB_SB_RKfSD_SD_SD_E_dSC_jLi2ELin1ELi4ELi512ELi2EEEvNS0_6detail10TensorInfoIT0_T2_EENSG_IT1_SI_EESI_T_
    .private_segment_fixed_size: 0
    .sgpr_count:     42
    .sgpr_spill_count: 0
    .symbol:         _ZN2at4cuda12_GLOBAL__N_121kernelPointwiseApply2IZNS_6native9templates4cuda28bernoulli_tensor_cuda_kernelIdfEEvRKNS_10TensorBaseES9_NS_15PhiloxCudaStateEEUliRdSB_SB_SB_RKfSD_SD_SD_E_dSC_jLi2ELin1ELi4ELi512ELi2EEEvNS0_6detail10TensorInfoIT0_T2_EENSG_IT1_SI_EESI_T_.kd
    .uniform_work_group_size: 1
    .uses_dynamic_stack: false
    .vgpr_count:     41
    .vgpr_spill_count: 0
    .wavefront_size: 32
    .workgroup_processor_mode: 1
  - .args:
      - .offset:         0
        .size:           216
        .value_kind:     by_value
      - .offset:         216
        .size:           216
        .value_kind:     by_value
      - .offset:         432
        .size:           4
        .value_kind:     by_value
      - .offset:         440
        .size:           32
        .value_kind:     by_value
      - .offset:         472
        .size:           4
        .value_kind:     hidden_block_count_x
      - .offset:         476
        .size:           4
        .value_kind:     hidden_block_count_y
      - .offset:         480
        .size:           4
        .value_kind:     hidden_block_count_z
      - .offset:         484
        .size:           2
        .value_kind:     hidden_group_size_x
      - .offset:         486
        .size:           2
        .value_kind:     hidden_group_size_y
      - .offset:         488
        .size:           2
        .value_kind:     hidden_group_size_z
      - .offset:         490
        .size:           2
        .value_kind:     hidden_remainder_x
      - .offset:         492
        .size:           2
        .value_kind:     hidden_remainder_y
      - .offset:         494
        .size:           2
        .value_kind:     hidden_remainder_z
      - .offset:         512
        .size:           8
        .value_kind:     hidden_global_offset_x
      - .offset:         520
        .size:           8
        .value_kind:     hidden_global_offset_y
      - .offset:         528
        .size:           8
        .value_kind:     hidden_global_offset_z
      - .offset:         536
        .size:           2
        .value_kind:     hidden_grid_dims
    .group_segment_fixed_size: 0
    .kernarg_segment_align: 8
    .kernarg_segment_size: 728
    .language:       OpenCL C
    .language_version:
      - 2
      - 0
    .max_flat_workgroup_size: 512
    .name:           _ZN2at4cuda12_GLOBAL__N_121kernelPointwiseApply2IZNS_6native9templates4cuda28bernoulli_tensor_cuda_kernelIdfEEvRKNS_10TensorBaseES9_NS_15PhiloxCudaStateEEUliRdSB_SB_SB_RKfSD_SD_SD_E_dSC_jLin1ELi1ELi4ELi512ELi2EEEvNS0_6detail10TensorInfoIT0_T2_EENSG_IT1_SI_EESI_T_
    .private_segment_fixed_size: 0
    .sgpr_count:     42
    .sgpr_spill_count: 0
    .symbol:         _ZN2at4cuda12_GLOBAL__N_121kernelPointwiseApply2IZNS_6native9templates4cuda28bernoulli_tensor_cuda_kernelIdfEEvRKNS_10TensorBaseES9_NS_15PhiloxCudaStateEEUliRdSB_SB_SB_RKfSD_SD_SD_E_dSC_jLin1ELi1ELi4ELi512ELi2EEEvNS0_6detail10TensorInfoIT0_T2_EENSG_IT1_SI_EESI_T_.kd
    .uniform_work_group_size: 1
    .uses_dynamic_stack: false
    .vgpr_count:     41
    .vgpr_spill_count: 0
    .wavefront_size: 32
    .workgroup_processor_mode: 1
  - .args:
      - .offset:         0
        .size:           216
        .value_kind:     by_value
      - .offset:         216
        .size:           216
        .value_kind:     by_value
      - .offset:         432
        .size:           4
        .value_kind:     by_value
      - .offset:         440
        .size:           32
        .value_kind:     by_value
      - .offset:         472
        .size:           4
        .value_kind:     hidden_block_count_x
      - .offset:         476
        .size:           4
        .value_kind:     hidden_block_count_y
      - .offset:         480
        .size:           4
        .value_kind:     hidden_block_count_z
      - .offset:         484
        .size:           2
        .value_kind:     hidden_group_size_x
      - .offset:         486
        .size:           2
        .value_kind:     hidden_group_size_y
      - .offset:         488
        .size:           2
        .value_kind:     hidden_group_size_z
      - .offset:         490
        .size:           2
        .value_kind:     hidden_remainder_x
      - .offset:         492
        .size:           2
        .value_kind:     hidden_remainder_y
      - .offset:         494
        .size:           2
        .value_kind:     hidden_remainder_z
      - .offset:         512
        .size:           8
        .value_kind:     hidden_global_offset_x
      - .offset:         520
        .size:           8
        .value_kind:     hidden_global_offset_y
      - .offset:         528
        .size:           8
        .value_kind:     hidden_global_offset_z
      - .offset:         536
        .size:           2
        .value_kind:     hidden_grid_dims
    .group_segment_fixed_size: 0
    .kernarg_segment_align: 8
    .kernarg_segment_size: 728
    .language:       OpenCL C
    .language_version:
      - 2
      - 0
    .max_flat_workgroup_size: 512
    .name:           _ZN2at4cuda12_GLOBAL__N_121kernelPointwiseApply2IZNS_6native9templates4cuda28bernoulli_tensor_cuda_kernelIdfEEvRKNS_10TensorBaseES9_NS_15PhiloxCudaStateEEUliRdSB_SB_SB_RKfSD_SD_SD_E_dSC_jLin1ELi2ELi4ELi512ELi2EEEvNS0_6detail10TensorInfoIT0_T2_EENSG_IT1_SI_EESI_T_
    .private_segment_fixed_size: 0
    .sgpr_count:     42
    .sgpr_spill_count: 0
    .symbol:         _ZN2at4cuda12_GLOBAL__N_121kernelPointwiseApply2IZNS_6native9templates4cuda28bernoulli_tensor_cuda_kernelIdfEEvRKNS_10TensorBaseES9_NS_15PhiloxCudaStateEEUliRdSB_SB_SB_RKfSD_SD_SD_E_dSC_jLin1ELi2ELi4ELi512ELi2EEEvNS0_6detail10TensorInfoIT0_T2_EENSG_IT1_SI_EESI_T_.kd
    .uniform_work_group_size: 1
    .uses_dynamic_stack: false
    .vgpr_count:     42
    .vgpr_spill_count: 0
    .wavefront_size: 32
    .workgroup_processor_mode: 1
  - .args:
      - .offset:         0
        .size:           216
        .value_kind:     by_value
      - .offset:         216
        .size:           216
        .value_kind:     by_value
      - .offset:         432
        .size:           4
        .value_kind:     by_value
      - .offset:         440
        .size:           32
        .value_kind:     by_value
      - .offset:         472
        .size:           4
        .value_kind:     hidden_block_count_x
      - .offset:         476
        .size:           4
        .value_kind:     hidden_block_count_y
      - .offset:         480
        .size:           4
        .value_kind:     hidden_block_count_z
      - .offset:         484
        .size:           2
        .value_kind:     hidden_group_size_x
      - .offset:         486
        .size:           2
        .value_kind:     hidden_group_size_y
      - .offset:         488
        .size:           2
        .value_kind:     hidden_group_size_z
      - .offset:         490
        .size:           2
        .value_kind:     hidden_remainder_x
      - .offset:         492
        .size:           2
        .value_kind:     hidden_remainder_y
      - .offset:         494
        .size:           2
        .value_kind:     hidden_remainder_z
      - .offset:         512
        .size:           8
        .value_kind:     hidden_global_offset_x
      - .offset:         520
        .size:           8
        .value_kind:     hidden_global_offset_y
      - .offset:         528
        .size:           8
        .value_kind:     hidden_global_offset_z
      - .offset:         536
        .size:           2
        .value_kind:     hidden_grid_dims
    .group_segment_fixed_size: 0
    .kernarg_segment_align: 8
    .kernarg_segment_size: 728
    .language:       OpenCL C
    .language_version:
      - 2
      - 0
    .max_flat_workgroup_size: 512
    .name:           _ZN2at4cuda12_GLOBAL__N_121kernelPointwiseApply2IZNS_6native9templates4cuda28bernoulli_tensor_cuda_kernelIdfEEvRKNS_10TensorBaseES9_NS_15PhiloxCudaStateEEUliRdSB_SB_SB_RKfSD_SD_SD_E_dSC_jLin1ELin1ELi4ELi512ELi2EEEvNS0_6detail10TensorInfoIT0_T2_EENSG_IT1_SI_EESI_T_
    .private_segment_fixed_size: 0
    .sgpr_count:     44
    .sgpr_spill_count: 0
    .symbol:         _ZN2at4cuda12_GLOBAL__N_121kernelPointwiseApply2IZNS_6native9templates4cuda28bernoulli_tensor_cuda_kernelIdfEEvRKNS_10TensorBaseES9_NS_15PhiloxCudaStateEEUliRdSB_SB_SB_RKfSD_SD_SD_E_dSC_jLin1ELin1ELi4ELi512ELi2EEEvNS0_6detail10TensorInfoIT0_T2_EENSG_IT1_SI_EESI_T_.kd
    .uniform_work_group_size: 1
    .uses_dynamic_stack: false
    .vgpr_count:     40
    .vgpr_spill_count: 0
    .wavefront_size: 32
    .workgroup_processor_mode: 1
  - .args:
      - .offset:         0
        .size:           416
        .value_kind:     by_value
      - .offset:         416
        .size:           416
        .value_kind:     by_value
      - .offset:         832
        .size:           8
        .value_kind:     by_value
      - .offset:         840
        .size:           32
        .value_kind:     by_value
      - .offset:         872
        .size:           4
        .value_kind:     hidden_block_count_x
      - .offset:         876
        .size:           4
        .value_kind:     hidden_block_count_y
      - .offset:         880
        .size:           4
        .value_kind:     hidden_block_count_z
      - .offset:         884
        .size:           2
        .value_kind:     hidden_group_size_x
      - .offset:         886
        .size:           2
        .value_kind:     hidden_group_size_y
      - .offset:         888
        .size:           2
        .value_kind:     hidden_group_size_z
      - .offset:         890
        .size:           2
        .value_kind:     hidden_remainder_x
      - .offset:         892
        .size:           2
        .value_kind:     hidden_remainder_y
      - .offset:         894
        .size:           2
        .value_kind:     hidden_remainder_z
      - .offset:         912
        .size:           8
        .value_kind:     hidden_global_offset_x
      - .offset:         920
        .size:           8
        .value_kind:     hidden_global_offset_y
      - .offset:         928
        .size:           8
        .value_kind:     hidden_global_offset_z
      - .offset:         936
        .size:           2
        .value_kind:     hidden_grid_dims
    .group_segment_fixed_size: 0
    .kernarg_segment_align: 8
    .kernarg_segment_size: 1128
    .language:       OpenCL C
    .language_version:
      - 2
      - 0
    .max_flat_workgroup_size: 512
    .name:           _ZN2at4cuda12_GLOBAL__N_121kernelPointwiseApply2IZNS_6native9templates4cuda28bernoulli_tensor_cuda_kernelIdfEEvRKNS_10TensorBaseES9_NS_15PhiloxCudaStateEEUliRdSB_SB_SB_RKfSD_SD_SD_E_dSC_mLi1ELi1ELi4ELi512ELi2EEEvNS0_6detail10TensorInfoIT0_T2_EENSG_IT1_SI_EESI_T_
    .private_segment_fixed_size: 0
    .sgpr_count:     45
    .sgpr_spill_count: 0
    .symbol:         _ZN2at4cuda12_GLOBAL__N_121kernelPointwiseApply2IZNS_6native9templates4cuda28bernoulli_tensor_cuda_kernelIdfEEvRKNS_10TensorBaseES9_NS_15PhiloxCudaStateEEUliRdSB_SB_SB_RKfSD_SD_SD_E_dSC_mLi1ELi1ELi4ELi512ELi2EEEvNS0_6detail10TensorInfoIT0_T2_EENSG_IT1_SI_EESI_T_.kd
    .uniform_work_group_size: 1
    .uses_dynamic_stack: false
    .vgpr_count:     52
    .vgpr_spill_count: 0
    .wavefront_size: 32
    .workgroup_processor_mode: 1
  - .args:
      - .offset:         0
        .size:           416
        .value_kind:     by_value
      - .offset:         416
        .size:           416
        .value_kind:     by_value
      - .offset:         832
        .size:           8
        .value_kind:     by_value
      - .offset:         840
        .size:           32
        .value_kind:     by_value
      - .offset:         872
        .size:           4
        .value_kind:     hidden_block_count_x
      - .offset:         876
        .size:           4
        .value_kind:     hidden_block_count_y
      - .offset:         880
        .size:           4
        .value_kind:     hidden_block_count_z
      - .offset:         884
        .size:           2
        .value_kind:     hidden_group_size_x
      - .offset:         886
        .size:           2
        .value_kind:     hidden_group_size_y
      - .offset:         888
        .size:           2
        .value_kind:     hidden_group_size_z
      - .offset:         890
        .size:           2
        .value_kind:     hidden_remainder_x
      - .offset:         892
        .size:           2
        .value_kind:     hidden_remainder_y
      - .offset:         894
        .size:           2
        .value_kind:     hidden_remainder_z
      - .offset:         912
        .size:           8
        .value_kind:     hidden_global_offset_x
      - .offset:         920
        .size:           8
        .value_kind:     hidden_global_offset_y
      - .offset:         928
        .size:           8
        .value_kind:     hidden_global_offset_z
      - .offset:         936
        .size:           2
        .value_kind:     hidden_grid_dims
    .group_segment_fixed_size: 0
    .kernarg_segment_align: 8
    .kernarg_segment_size: 1128
    .language:       OpenCL C
    .language_version:
      - 2
      - 0
    .max_flat_workgroup_size: 512
    .name:           _ZN2at4cuda12_GLOBAL__N_121kernelPointwiseApply2IZNS_6native9templates4cuda28bernoulli_tensor_cuda_kernelIdfEEvRKNS_10TensorBaseES9_NS_15PhiloxCudaStateEEUliRdSB_SB_SB_RKfSD_SD_SD_E_dSC_mLin1ELin1ELi4ELi512ELi2EEEvNS0_6detail10TensorInfoIT0_T2_EENSG_IT1_SI_EESI_T_
    .private_segment_fixed_size: 0
    .sgpr_count:     48
    .sgpr_spill_count: 0
    .symbol:         _ZN2at4cuda12_GLOBAL__N_121kernelPointwiseApply2IZNS_6native9templates4cuda28bernoulli_tensor_cuda_kernelIdfEEvRKNS_10TensorBaseES9_NS_15PhiloxCudaStateEEUliRdSB_SB_SB_RKfSD_SD_SD_E_dSC_mLin1ELin1ELi4ELi512ELi2EEEvNS0_6detail10TensorInfoIT0_T2_EENSG_IT1_SI_EESI_T_.kd
    .uniform_work_group_size: 1
    .uses_dynamic_stack: false
    .vgpr_count:     44
    .vgpr_spill_count: 0
    .wavefront_size: 32
    .workgroup_processor_mode: 1
  - .args:
      - .offset:         0
        .size:           216
        .value_kind:     by_value
      - .offset:         216
        .size:           216
        .value_kind:     by_value
      - .offset:         432
        .size:           4
        .value_kind:     by_value
      - .offset:         440
        .size:           32
        .value_kind:     by_value
      - .offset:         472
        .size:           4
        .value_kind:     hidden_block_count_x
      - .offset:         476
        .size:           4
        .value_kind:     hidden_block_count_y
      - .offset:         480
        .size:           4
        .value_kind:     hidden_block_count_z
      - .offset:         484
        .size:           2
        .value_kind:     hidden_group_size_x
      - .offset:         486
        .size:           2
        .value_kind:     hidden_group_size_y
      - .offset:         488
        .size:           2
        .value_kind:     hidden_group_size_z
      - .offset:         490
        .size:           2
        .value_kind:     hidden_remainder_x
      - .offset:         492
        .size:           2
        .value_kind:     hidden_remainder_y
      - .offset:         494
        .size:           2
        .value_kind:     hidden_remainder_z
      - .offset:         512
        .size:           8
        .value_kind:     hidden_global_offset_x
      - .offset:         520
        .size:           8
        .value_kind:     hidden_global_offset_y
      - .offset:         528
        .size:           8
        .value_kind:     hidden_global_offset_z
      - .offset:         536
        .size:           2
        .value_kind:     hidden_grid_dims
    .group_segment_fixed_size: 0
    .kernarg_segment_align: 8
    .kernarg_segment_size: 728
    .language:       OpenCL C
    .language_version:
      - 2
      - 0
    .max_flat_workgroup_size: 512
    .name:           _ZN2at4cuda12_GLOBAL__N_121kernelPointwiseApply2IZNS_6native9templates4cuda28bernoulli_tensor_cuda_kernelIffEEvRKNS_10TensorBaseES9_NS_15PhiloxCudaStateEEUliRfSB_SB_SB_RKfSD_SD_SD_E_fSC_jLi1ELi1ELi4ELi512ELi2EEEvNS0_6detail10TensorInfoIT0_T2_EENSG_IT1_SI_EESI_T_
    .private_segment_fixed_size: 0
    .sgpr_count:     39
    .sgpr_spill_count: 0
    .symbol:         _ZN2at4cuda12_GLOBAL__N_121kernelPointwiseApply2IZNS_6native9templates4cuda28bernoulli_tensor_cuda_kernelIffEEvRKNS_10TensorBaseES9_NS_15PhiloxCudaStateEEUliRfSB_SB_SB_RKfSD_SD_SD_E_fSC_jLi1ELi1ELi4ELi512ELi2EEEvNS0_6detail10TensorInfoIT0_T2_EENSG_IT1_SI_EESI_T_.kd
    .uniform_work_group_size: 1
    .uses_dynamic_stack: false
    .vgpr_count:     41
    .vgpr_spill_count: 0
    .wavefront_size: 32
    .workgroup_processor_mode: 1
  - .args:
      - .offset:         0
        .size:           216
        .value_kind:     by_value
      - .offset:         216
        .size:           216
        .value_kind:     by_value
      - .offset:         432
        .size:           4
        .value_kind:     by_value
      - .offset:         440
        .size:           32
        .value_kind:     by_value
      - .offset:         472
        .size:           4
        .value_kind:     hidden_block_count_x
      - .offset:         476
        .size:           4
        .value_kind:     hidden_block_count_y
      - .offset:         480
        .size:           4
        .value_kind:     hidden_block_count_z
      - .offset:         484
        .size:           2
        .value_kind:     hidden_group_size_x
      - .offset:         486
        .size:           2
        .value_kind:     hidden_group_size_y
      - .offset:         488
        .size:           2
        .value_kind:     hidden_group_size_z
      - .offset:         490
        .size:           2
        .value_kind:     hidden_remainder_x
      - .offset:         492
        .size:           2
        .value_kind:     hidden_remainder_y
      - .offset:         494
        .size:           2
        .value_kind:     hidden_remainder_z
      - .offset:         512
        .size:           8
        .value_kind:     hidden_global_offset_x
      - .offset:         520
        .size:           8
        .value_kind:     hidden_global_offset_y
      - .offset:         528
        .size:           8
        .value_kind:     hidden_global_offset_z
      - .offset:         536
        .size:           2
        .value_kind:     hidden_grid_dims
    .group_segment_fixed_size: 0
    .kernarg_segment_align: 8
    .kernarg_segment_size: 728
    .language:       OpenCL C
    .language_version:
      - 2
      - 0
    .max_flat_workgroup_size: 512
    .name:           _ZN2at4cuda12_GLOBAL__N_121kernelPointwiseApply2IZNS_6native9templates4cuda28bernoulli_tensor_cuda_kernelIffEEvRKNS_10TensorBaseES9_NS_15PhiloxCudaStateEEUliRfSB_SB_SB_RKfSD_SD_SD_E_fSC_jLi1ELi2ELi4ELi512ELi2EEEvNS0_6detail10TensorInfoIT0_T2_EENSG_IT1_SI_EESI_T_
    .private_segment_fixed_size: 0
    .sgpr_count:     42
    .sgpr_spill_count: 0
    .symbol:         _ZN2at4cuda12_GLOBAL__N_121kernelPointwiseApply2IZNS_6native9templates4cuda28bernoulli_tensor_cuda_kernelIffEEvRKNS_10TensorBaseES9_NS_15PhiloxCudaStateEEUliRfSB_SB_SB_RKfSD_SD_SD_E_fSC_jLi1ELi2ELi4ELi512ELi2EEEvNS0_6detail10TensorInfoIT0_T2_EENSG_IT1_SI_EESI_T_.kd
    .uniform_work_group_size: 1
    .uses_dynamic_stack: false
    .vgpr_count:     44
    .vgpr_spill_count: 0
    .wavefront_size: 32
    .workgroup_processor_mode: 1
  - .args:
      - .offset:         0
        .size:           216
        .value_kind:     by_value
      - .offset:         216
        .size:           216
        .value_kind:     by_value
      - .offset:         432
        .size:           4
        .value_kind:     by_value
      - .offset:         440
        .size:           32
        .value_kind:     by_value
      - .offset:         472
        .size:           4
        .value_kind:     hidden_block_count_x
      - .offset:         476
        .size:           4
        .value_kind:     hidden_block_count_y
      - .offset:         480
        .size:           4
        .value_kind:     hidden_block_count_z
      - .offset:         484
        .size:           2
        .value_kind:     hidden_group_size_x
      - .offset:         486
        .size:           2
        .value_kind:     hidden_group_size_y
      - .offset:         488
        .size:           2
        .value_kind:     hidden_group_size_z
      - .offset:         490
        .size:           2
        .value_kind:     hidden_remainder_x
      - .offset:         492
        .size:           2
        .value_kind:     hidden_remainder_y
      - .offset:         494
        .size:           2
        .value_kind:     hidden_remainder_z
      - .offset:         512
        .size:           8
        .value_kind:     hidden_global_offset_x
      - .offset:         520
        .size:           8
        .value_kind:     hidden_global_offset_y
      - .offset:         528
        .size:           8
        .value_kind:     hidden_global_offset_z
      - .offset:         536
        .size:           2
        .value_kind:     hidden_grid_dims
    .group_segment_fixed_size: 0
    .kernarg_segment_align: 8
    .kernarg_segment_size: 728
    .language:       OpenCL C
    .language_version:
      - 2
      - 0
    .max_flat_workgroup_size: 512
    .name:           _ZN2at4cuda12_GLOBAL__N_121kernelPointwiseApply2IZNS_6native9templates4cuda28bernoulli_tensor_cuda_kernelIffEEvRKNS_10TensorBaseES9_NS_15PhiloxCudaStateEEUliRfSB_SB_SB_RKfSD_SD_SD_E_fSC_jLi1ELin1ELi4ELi512ELi2EEEvNS0_6detail10TensorInfoIT0_T2_EENSG_IT1_SI_EESI_T_
    .private_segment_fixed_size: 0
    .sgpr_count:     43
    .sgpr_spill_count: 0
    .symbol:         _ZN2at4cuda12_GLOBAL__N_121kernelPointwiseApply2IZNS_6native9templates4cuda28bernoulli_tensor_cuda_kernelIffEEvRKNS_10TensorBaseES9_NS_15PhiloxCudaStateEEUliRfSB_SB_SB_RKfSD_SD_SD_E_fSC_jLi1ELin1ELi4ELi512ELi2EEEvNS0_6detail10TensorInfoIT0_T2_EENSG_IT1_SI_EESI_T_.kd
    .uniform_work_group_size: 1
    .uses_dynamic_stack: false
    .vgpr_count:     41
    .vgpr_spill_count: 0
    .wavefront_size: 32
    .workgroup_processor_mode: 1
  - .args:
      - .offset:         0
        .size:           216
        .value_kind:     by_value
      - .offset:         216
        .size:           216
        .value_kind:     by_value
      - .offset:         432
        .size:           4
        .value_kind:     by_value
      - .offset:         440
        .size:           32
        .value_kind:     by_value
      - .offset:         472
        .size:           4
        .value_kind:     hidden_block_count_x
      - .offset:         476
        .size:           4
        .value_kind:     hidden_block_count_y
      - .offset:         480
        .size:           4
        .value_kind:     hidden_block_count_z
      - .offset:         484
        .size:           2
        .value_kind:     hidden_group_size_x
      - .offset:         486
        .size:           2
        .value_kind:     hidden_group_size_y
      - .offset:         488
        .size:           2
        .value_kind:     hidden_group_size_z
      - .offset:         490
        .size:           2
        .value_kind:     hidden_remainder_x
      - .offset:         492
        .size:           2
        .value_kind:     hidden_remainder_y
      - .offset:         494
        .size:           2
        .value_kind:     hidden_remainder_z
      - .offset:         512
        .size:           8
        .value_kind:     hidden_global_offset_x
      - .offset:         520
        .size:           8
        .value_kind:     hidden_global_offset_y
      - .offset:         528
        .size:           8
        .value_kind:     hidden_global_offset_z
      - .offset:         536
        .size:           2
        .value_kind:     hidden_grid_dims
    .group_segment_fixed_size: 0
    .kernarg_segment_align: 8
    .kernarg_segment_size: 728
    .language:       OpenCL C
    .language_version:
      - 2
      - 0
    .max_flat_workgroup_size: 512
    .name:           _ZN2at4cuda12_GLOBAL__N_121kernelPointwiseApply2IZNS_6native9templates4cuda28bernoulli_tensor_cuda_kernelIffEEvRKNS_10TensorBaseES9_NS_15PhiloxCudaStateEEUliRfSB_SB_SB_RKfSD_SD_SD_E_fSC_jLi2ELi1ELi4ELi512ELi2EEEvNS0_6detail10TensorInfoIT0_T2_EENSG_IT1_SI_EESI_T_
    .private_segment_fixed_size: 0
    .sgpr_count:     42
    .sgpr_spill_count: 0
    .symbol:         _ZN2at4cuda12_GLOBAL__N_121kernelPointwiseApply2IZNS_6native9templates4cuda28bernoulli_tensor_cuda_kernelIffEEvRKNS_10TensorBaseES9_NS_15PhiloxCudaStateEEUliRfSB_SB_SB_RKfSD_SD_SD_E_fSC_jLi2ELi1ELi4ELi512ELi2EEEvNS0_6detail10TensorInfoIT0_T2_EENSG_IT1_SI_EESI_T_.kd
    .uniform_work_group_size: 1
    .uses_dynamic_stack: false
    .vgpr_count:     44
    .vgpr_spill_count: 0
    .wavefront_size: 32
    .workgroup_processor_mode: 1
  - .args:
      - .offset:         0
        .size:           216
        .value_kind:     by_value
      - .offset:         216
        .size:           216
        .value_kind:     by_value
      - .offset:         432
        .size:           4
        .value_kind:     by_value
      - .offset:         440
        .size:           32
        .value_kind:     by_value
      - .offset:         472
        .size:           4
        .value_kind:     hidden_block_count_x
      - .offset:         476
        .size:           4
        .value_kind:     hidden_block_count_y
      - .offset:         480
        .size:           4
        .value_kind:     hidden_block_count_z
      - .offset:         484
        .size:           2
        .value_kind:     hidden_group_size_x
      - .offset:         486
        .size:           2
        .value_kind:     hidden_group_size_y
      - .offset:         488
        .size:           2
        .value_kind:     hidden_group_size_z
      - .offset:         490
        .size:           2
        .value_kind:     hidden_remainder_x
      - .offset:         492
        .size:           2
        .value_kind:     hidden_remainder_y
      - .offset:         494
        .size:           2
        .value_kind:     hidden_remainder_z
      - .offset:         512
        .size:           8
        .value_kind:     hidden_global_offset_x
      - .offset:         520
        .size:           8
        .value_kind:     hidden_global_offset_y
      - .offset:         528
        .size:           8
        .value_kind:     hidden_global_offset_z
      - .offset:         536
        .size:           2
        .value_kind:     hidden_grid_dims
    .group_segment_fixed_size: 0
    .kernarg_segment_align: 8
    .kernarg_segment_size: 728
    .language:       OpenCL C
    .language_version:
      - 2
      - 0
    .max_flat_workgroup_size: 512
    .name:           _ZN2at4cuda12_GLOBAL__N_121kernelPointwiseApply2IZNS_6native9templates4cuda28bernoulli_tensor_cuda_kernelIffEEvRKNS_10TensorBaseES9_NS_15PhiloxCudaStateEEUliRfSB_SB_SB_RKfSD_SD_SD_E_fSC_jLi2ELi2ELi4ELi512ELi2EEEvNS0_6detail10TensorInfoIT0_T2_EENSG_IT1_SI_EESI_T_
    .private_segment_fixed_size: 0
    .sgpr_count:     42
    .sgpr_spill_count: 0
    .symbol:         _ZN2at4cuda12_GLOBAL__N_121kernelPointwiseApply2IZNS_6native9templates4cuda28bernoulli_tensor_cuda_kernelIffEEvRKNS_10TensorBaseES9_NS_15PhiloxCudaStateEEUliRfSB_SB_SB_RKfSD_SD_SD_E_fSC_jLi2ELi2ELi4ELi512ELi2EEEvNS0_6detail10TensorInfoIT0_T2_EENSG_IT1_SI_EESI_T_.kd
    .uniform_work_group_size: 1
    .uses_dynamic_stack: false
    .vgpr_count:     45
    .vgpr_spill_count: 0
    .wavefront_size: 32
    .workgroup_processor_mode: 1
  - .args:
      - .offset:         0
        .size:           216
        .value_kind:     by_value
      - .offset:         216
        .size:           216
        .value_kind:     by_value
      - .offset:         432
        .size:           4
        .value_kind:     by_value
      - .offset:         440
        .size:           32
        .value_kind:     by_value
      - .offset:         472
        .size:           4
        .value_kind:     hidden_block_count_x
      - .offset:         476
        .size:           4
        .value_kind:     hidden_block_count_y
      - .offset:         480
        .size:           4
        .value_kind:     hidden_block_count_z
      - .offset:         484
        .size:           2
        .value_kind:     hidden_group_size_x
      - .offset:         486
        .size:           2
        .value_kind:     hidden_group_size_y
      - .offset:         488
        .size:           2
        .value_kind:     hidden_group_size_z
      - .offset:         490
        .size:           2
        .value_kind:     hidden_remainder_x
      - .offset:         492
        .size:           2
        .value_kind:     hidden_remainder_y
      - .offset:         494
        .size:           2
        .value_kind:     hidden_remainder_z
      - .offset:         512
        .size:           8
        .value_kind:     hidden_global_offset_x
      - .offset:         520
        .size:           8
        .value_kind:     hidden_global_offset_y
      - .offset:         528
        .size:           8
        .value_kind:     hidden_global_offset_z
      - .offset:         536
        .size:           2
        .value_kind:     hidden_grid_dims
    .group_segment_fixed_size: 0
    .kernarg_segment_align: 8
    .kernarg_segment_size: 728
    .language:       OpenCL C
    .language_version:
      - 2
      - 0
    .max_flat_workgroup_size: 512
    .name:           _ZN2at4cuda12_GLOBAL__N_121kernelPointwiseApply2IZNS_6native9templates4cuda28bernoulli_tensor_cuda_kernelIffEEvRKNS_10TensorBaseES9_NS_15PhiloxCudaStateEEUliRfSB_SB_SB_RKfSD_SD_SD_E_fSC_jLi2ELin1ELi4ELi512ELi2EEEvNS0_6detail10TensorInfoIT0_T2_EENSG_IT1_SI_EESI_T_
    .private_segment_fixed_size: 0
    .sgpr_count:     42
    .sgpr_spill_count: 0
    .symbol:         _ZN2at4cuda12_GLOBAL__N_121kernelPointwiseApply2IZNS_6native9templates4cuda28bernoulli_tensor_cuda_kernelIffEEvRKNS_10TensorBaseES9_NS_15PhiloxCudaStateEEUliRfSB_SB_SB_RKfSD_SD_SD_E_fSC_jLi2ELin1ELi4ELi512ELi2EEEvNS0_6detail10TensorInfoIT0_T2_EENSG_IT1_SI_EESI_T_.kd
    .uniform_work_group_size: 1
    .uses_dynamic_stack: false
    .vgpr_count:     42
    .vgpr_spill_count: 0
    .wavefront_size: 32
    .workgroup_processor_mode: 1
  - .args:
      - .offset:         0
        .size:           216
        .value_kind:     by_value
      - .offset:         216
        .size:           216
        .value_kind:     by_value
      - .offset:         432
        .size:           4
        .value_kind:     by_value
      - .offset:         440
        .size:           32
        .value_kind:     by_value
      - .offset:         472
        .size:           4
        .value_kind:     hidden_block_count_x
      - .offset:         476
        .size:           4
        .value_kind:     hidden_block_count_y
      - .offset:         480
        .size:           4
        .value_kind:     hidden_block_count_z
      - .offset:         484
        .size:           2
        .value_kind:     hidden_group_size_x
      - .offset:         486
        .size:           2
        .value_kind:     hidden_group_size_y
      - .offset:         488
        .size:           2
        .value_kind:     hidden_group_size_z
      - .offset:         490
        .size:           2
        .value_kind:     hidden_remainder_x
      - .offset:         492
        .size:           2
        .value_kind:     hidden_remainder_y
      - .offset:         494
        .size:           2
        .value_kind:     hidden_remainder_z
      - .offset:         512
        .size:           8
        .value_kind:     hidden_global_offset_x
      - .offset:         520
        .size:           8
        .value_kind:     hidden_global_offset_y
      - .offset:         528
        .size:           8
        .value_kind:     hidden_global_offset_z
      - .offset:         536
        .size:           2
        .value_kind:     hidden_grid_dims
    .group_segment_fixed_size: 0
    .kernarg_segment_align: 8
    .kernarg_segment_size: 728
    .language:       OpenCL C
    .language_version:
      - 2
      - 0
    .max_flat_workgroup_size: 512
    .name:           _ZN2at4cuda12_GLOBAL__N_121kernelPointwiseApply2IZNS_6native9templates4cuda28bernoulli_tensor_cuda_kernelIffEEvRKNS_10TensorBaseES9_NS_15PhiloxCudaStateEEUliRfSB_SB_SB_RKfSD_SD_SD_E_fSC_jLin1ELi1ELi4ELi512ELi2EEEvNS0_6detail10TensorInfoIT0_T2_EENSG_IT1_SI_EESI_T_
    .private_segment_fixed_size: 0
    .sgpr_count:     44
    .sgpr_spill_count: 0
    .symbol:         _ZN2at4cuda12_GLOBAL__N_121kernelPointwiseApply2IZNS_6native9templates4cuda28bernoulli_tensor_cuda_kernelIffEEvRKNS_10TensorBaseES9_NS_15PhiloxCudaStateEEUliRfSB_SB_SB_RKfSD_SD_SD_E_fSC_jLin1ELi1ELi4ELi512ELi2EEEvNS0_6detail10TensorInfoIT0_T2_EENSG_IT1_SI_EESI_T_.kd
    .uniform_work_group_size: 1
    .uses_dynamic_stack: false
    .vgpr_count:     41
    .vgpr_spill_count: 0
    .wavefront_size: 32
    .workgroup_processor_mode: 1
  - .args:
      - .offset:         0
        .size:           216
        .value_kind:     by_value
      - .offset:         216
        .size:           216
        .value_kind:     by_value
      - .offset:         432
        .size:           4
        .value_kind:     by_value
      - .offset:         440
        .size:           32
        .value_kind:     by_value
      - .offset:         472
        .size:           4
        .value_kind:     hidden_block_count_x
      - .offset:         476
        .size:           4
        .value_kind:     hidden_block_count_y
      - .offset:         480
        .size:           4
        .value_kind:     hidden_block_count_z
      - .offset:         484
        .size:           2
        .value_kind:     hidden_group_size_x
      - .offset:         486
        .size:           2
        .value_kind:     hidden_group_size_y
      - .offset:         488
        .size:           2
        .value_kind:     hidden_group_size_z
      - .offset:         490
        .size:           2
        .value_kind:     hidden_remainder_x
      - .offset:         492
        .size:           2
        .value_kind:     hidden_remainder_y
      - .offset:         494
        .size:           2
        .value_kind:     hidden_remainder_z
      - .offset:         512
        .size:           8
        .value_kind:     hidden_global_offset_x
      - .offset:         520
        .size:           8
        .value_kind:     hidden_global_offset_y
      - .offset:         528
        .size:           8
        .value_kind:     hidden_global_offset_z
      - .offset:         536
        .size:           2
        .value_kind:     hidden_grid_dims
    .group_segment_fixed_size: 0
    .kernarg_segment_align: 8
    .kernarg_segment_size: 728
    .language:       OpenCL C
    .language_version:
      - 2
      - 0
    .max_flat_workgroup_size: 512
    .name:           _ZN2at4cuda12_GLOBAL__N_121kernelPointwiseApply2IZNS_6native9templates4cuda28bernoulli_tensor_cuda_kernelIffEEvRKNS_10TensorBaseES9_NS_15PhiloxCudaStateEEUliRfSB_SB_SB_RKfSD_SD_SD_E_fSC_jLin1ELi2ELi4ELi512ELi2EEEvNS0_6detail10TensorInfoIT0_T2_EENSG_IT1_SI_EESI_T_
    .private_segment_fixed_size: 0
    .sgpr_count:     42
    .sgpr_spill_count: 0
    .symbol:         _ZN2at4cuda12_GLOBAL__N_121kernelPointwiseApply2IZNS_6native9templates4cuda28bernoulli_tensor_cuda_kernelIffEEvRKNS_10TensorBaseES9_NS_15PhiloxCudaStateEEUliRfSB_SB_SB_RKfSD_SD_SD_E_fSC_jLin1ELi2ELi4ELi512ELi2EEEvNS0_6detail10TensorInfoIT0_T2_EENSG_IT1_SI_EESI_T_.kd
    .uniform_work_group_size: 1
    .uses_dynamic_stack: false
    .vgpr_count:     43
    .vgpr_spill_count: 0
    .wavefront_size: 32
    .workgroup_processor_mode: 1
  - .args:
      - .offset:         0
        .size:           216
        .value_kind:     by_value
      - .offset:         216
        .size:           216
        .value_kind:     by_value
      - .offset:         432
        .size:           4
        .value_kind:     by_value
      - .offset:         440
        .size:           32
        .value_kind:     by_value
      - .offset:         472
        .size:           4
        .value_kind:     hidden_block_count_x
      - .offset:         476
        .size:           4
        .value_kind:     hidden_block_count_y
      - .offset:         480
        .size:           4
        .value_kind:     hidden_block_count_z
      - .offset:         484
        .size:           2
        .value_kind:     hidden_group_size_x
      - .offset:         486
        .size:           2
        .value_kind:     hidden_group_size_y
      - .offset:         488
        .size:           2
        .value_kind:     hidden_group_size_z
      - .offset:         490
        .size:           2
        .value_kind:     hidden_remainder_x
      - .offset:         492
        .size:           2
        .value_kind:     hidden_remainder_y
      - .offset:         494
        .size:           2
        .value_kind:     hidden_remainder_z
      - .offset:         512
        .size:           8
        .value_kind:     hidden_global_offset_x
      - .offset:         520
        .size:           8
        .value_kind:     hidden_global_offset_y
      - .offset:         528
        .size:           8
        .value_kind:     hidden_global_offset_z
      - .offset:         536
        .size:           2
        .value_kind:     hidden_grid_dims
    .group_segment_fixed_size: 0
    .kernarg_segment_align: 8
    .kernarg_segment_size: 728
    .language:       OpenCL C
    .language_version:
      - 2
      - 0
    .max_flat_workgroup_size: 512
    .name:           _ZN2at4cuda12_GLOBAL__N_121kernelPointwiseApply2IZNS_6native9templates4cuda28bernoulli_tensor_cuda_kernelIffEEvRKNS_10TensorBaseES9_NS_15PhiloxCudaStateEEUliRfSB_SB_SB_RKfSD_SD_SD_E_fSC_jLin1ELin1ELi4ELi512ELi2EEEvNS0_6detail10TensorInfoIT0_T2_EENSG_IT1_SI_EESI_T_
    .private_segment_fixed_size: 0
    .sgpr_count:     44
    .sgpr_spill_count: 0
    .symbol:         _ZN2at4cuda12_GLOBAL__N_121kernelPointwiseApply2IZNS_6native9templates4cuda28bernoulli_tensor_cuda_kernelIffEEvRKNS_10TensorBaseES9_NS_15PhiloxCudaStateEEUliRfSB_SB_SB_RKfSD_SD_SD_E_fSC_jLin1ELin1ELi4ELi512ELi2EEEvNS0_6detail10TensorInfoIT0_T2_EENSG_IT1_SI_EESI_T_.kd
    .uniform_work_group_size: 1
    .uses_dynamic_stack: false
    .vgpr_count:     41
    .vgpr_spill_count: 0
    .wavefront_size: 32
    .workgroup_processor_mode: 1
  - .args:
      - .offset:         0
        .size:           416
        .value_kind:     by_value
      - .offset:         416
        .size:           416
        .value_kind:     by_value
      - .offset:         832
        .size:           8
        .value_kind:     by_value
      - .offset:         840
        .size:           32
        .value_kind:     by_value
      - .offset:         872
        .size:           4
        .value_kind:     hidden_block_count_x
      - .offset:         876
        .size:           4
        .value_kind:     hidden_block_count_y
      - .offset:         880
        .size:           4
        .value_kind:     hidden_block_count_z
      - .offset:         884
        .size:           2
        .value_kind:     hidden_group_size_x
      - .offset:         886
        .size:           2
        .value_kind:     hidden_group_size_y
      - .offset:         888
        .size:           2
        .value_kind:     hidden_group_size_z
      - .offset:         890
        .size:           2
        .value_kind:     hidden_remainder_x
      - .offset:         892
        .size:           2
        .value_kind:     hidden_remainder_y
      - .offset:         894
        .size:           2
        .value_kind:     hidden_remainder_z
      - .offset:         912
        .size:           8
        .value_kind:     hidden_global_offset_x
      - .offset:         920
        .size:           8
        .value_kind:     hidden_global_offset_y
      - .offset:         928
        .size:           8
        .value_kind:     hidden_global_offset_z
      - .offset:         936
        .size:           2
        .value_kind:     hidden_grid_dims
    .group_segment_fixed_size: 0
    .kernarg_segment_align: 8
    .kernarg_segment_size: 1128
    .language:       OpenCL C
    .language_version:
      - 2
      - 0
    .max_flat_workgroup_size: 512
    .name:           _ZN2at4cuda12_GLOBAL__N_121kernelPointwiseApply2IZNS_6native9templates4cuda28bernoulli_tensor_cuda_kernelIffEEvRKNS_10TensorBaseES9_NS_15PhiloxCudaStateEEUliRfSB_SB_SB_RKfSD_SD_SD_E_fSC_mLi1ELi1ELi4ELi512ELi2EEEvNS0_6detail10TensorInfoIT0_T2_EENSG_IT1_SI_EESI_T_
    .private_segment_fixed_size: 0
    .sgpr_count:     43
    .sgpr_spill_count: 0
    .symbol:         _ZN2at4cuda12_GLOBAL__N_121kernelPointwiseApply2IZNS_6native9templates4cuda28bernoulli_tensor_cuda_kernelIffEEvRKNS_10TensorBaseES9_NS_15PhiloxCudaStateEEUliRfSB_SB_SB_RKfSD_SD_SD_E_fSC_mLi1ELi1ELi4ELi512ELi2EEEvNS0_6detail10TensorInfoIT0_T2_EENSG_IT1_SI_EESI_T_.kd
    .uniform_work_group_size: 1
    .uses_dynamic_stack: false
    .vgpr_count:     48
    .vgpr_spill_count: 0
    .wavefront_size: 32
    .workgroup_processor_mode: 1
  - .args:
      - .offset:         0
        .size:           416
        .value_kind:     by_value
      - .offset:         416
        .size:           416
        .value_kind:     by_value
      - .offset:         832
        .size:           8
        .value_kind:     by_value
      - .offset:         840
        .size:           32
        .value_kind:     by_value
      - .offset:         872
        .size:           4
        .value_kind:     hidden_block_count_x
      - .offset:         876
        .size:           4
        .value_kind:     hidden_block_count_y
      - .offset:         880
        .size:           4
        .value_kind:     hidden_block_count_z
      - .offset:         884
        .size:           2
        .value_kind:     hidden_group_size_x
      - .offset:         886
        .size:           2
        .value_kind:     hidden_group_size_y
      - .offset:         888
        .size:           2
        .value_kind:     hidden_group_size_z
      - .offset:         890
        .size:           2
        .value_kind:     hidden_remainder_x
      - .offset:         892
        .size:           2
        .value_kind:     hidden_remainder_y
      - .offset:         894
        .size:           2
        .value_kind:     hidden_remainder_z
      - .offset:         912
        .size:           8
        .value_kind:     hidden_global_offset_x
      - .offset:         920
        .size:           8
        .value_kind:     hidden_global_offset_y
      - .offset:         928
        .size:           8
        .value_kind:     hidden_global_offset_z
      - .offset:         936
        .size:           2
        .value_kind:     hidden_grid_dims
    .group_segment_fixed_size: 0
    .kernarg_segment_align: 8
    .kernarg_segment_size: 1128
    .language:       OpenCL C
    .language_version:
      - 2
      - 0
    .max_flat_workgroup_size: 512
    .name:           _ZN2at4cuda12_GLOBAL__N_121kernelPointwiseApply2IZNS_6native9templates4cuda28bernoulli_tensor_cuda_kernelIffEEvRKNS_10TensorBaseES9_NS_15PhiloxCudaStateEEUliRfSB_SB_SB_RKfSD_SD_SD_E_fSC_mLin1ELin1ELi4ELi512ELi2EEEvNS0_6detail10TensorInfoIT0_T2_EENSG_IT1_SI_EESI_T_
    .private_segment_fixed_size: 0
    .sgpr_count:     48
    .sgpr_spill_count: 0
    .symbol:         _ZN2at4cuda12_GLOBAL__N_121kernelPointwiseApply2IZNS_6native9templates4cuda28bernoulli_tensor_cuda_kernelIffEEvRKNS_10TensorBaseES9_NS_15PhiloxCudaStateEEUliRfSB_SB_SB_RKfSD_SD_SD_E_fSC_mLin1ELin1ELi4ELi512ELi2EEEvNS0_6detail10TensorInfoIT0_T2_EENSG_IT1_SI_EESI_T_.kd
    .uniform_work_group_size: 1
    .uses_dynamic_stack: false
    .vgpr_count:     47
    .vgpr_spill_count: 0
    .wavefront_size: 32
    .workgroup_processor_mode: 1
  - .args:
      - .offset:         0
        .size:           216
        .value_kind:     by_value
      - .offset:         216
        .size:           216
        .value_kind:     by_value
      - .offset:         432
        .size:           4
        .value_kind:     by_value
      - .offset:         440
        .size:           32
        .value_kind:     by_value
      - .offset:         472
        .size:           4
        .value_kind:     hidden_block_count_x
      - .offset:         476
        .size:           4
        .value_kind:     hidden_block_count_y
      - .offset:         480
        .size:           4
        .value_kind:     hidden_block_count_z
      - .offset:         484
        .size:           2
        .value_kind:     hidden_group_size_x
      - .offset:         486
        .size:           2
        .value_kind:     hidden_group_size_y
      - .offset:         488
        .size:           2
        .value_kind:     hidden_group_size_z
      - .offset:         490
        .size:           2
        .value_kind:     hidden_remainder_x
      - .offset:         492
        .size:           2
        .value_kind:     hidden_remainder_y
      - .offset:         494
        .size:           2
        .value_kind:     hidden_remainder_z
      - .offset:         512
        .size:           8
        .value_kind:     hidden_global_offset_x
      - .offset:         520
        .size:           8
        .value_kind:     hidden_global_offset_y
      - .offset:         528
        .size:           8
        .value_kind:     hidden_global_offset_z
      - .offset:         536
        .size:           2
        .value_kind:     hidden_grid_dims
    .group_segment_fixed_size: 0
    .kernarg_segment_align: 8
    .kernarg_segment_size: 728
    .language:       OpenCL C
    .language_version:
      - 2
      - 0
    .max_flat_workgroup_size: 512
    .name:           _ZN2at4cuda12_GLOBAL__N_121kernelPointwiseApply2IZNS_6native9templates4cuda28bernoulli_tensor_cuda_kernelIN3c104HalfEfEEvRKNS_10TensorBaseESB_NS_15PhiloxCudaStateEEUliRS8_SD_SD_SD_RKfSF_SF_SF_E_S8_SE_jLi1ELi1ELi4ELi512ELi2EEEvNS0_6detail10TensorInfoIT0_T2_EENSI_IT1_SK_EESK_T_
    .private_segment_fixed_size: 0
    .sgpr_count:     40
    .sgpr_spill_count: 0
    .symbol:         _ZN2at4cuda12_GLOBAL__N_121kernelPointwiseApply2IZNS_6native9templates4cuda28bernoulli_tensor_cuda_kernelIN3c104HalfEfEEvRKNS_10TensorBaseESB_NS_15PhiloxCudaStateEEUliRS8_SD_SD_SD_RKfSF_SF_SF_E_S8_SE_jLi1ELi1ELi4ELi512ELi2EEEvNS0_6detail10TensorInfoIT0_T2_EENSI_IT1_SK_EESK_T_.kd
    .uniform_work_group_size: 1
    .uses_dynamic_stack: false
    .vgpr_count:     44
    .vgpr_spill_count: 0
    .wavefront_size: 32
    .workgroup_processor_mode: 1
  - .args:
      - .offset:         0
        .size:           216
        .value_kind:     by_value
      - .offset:         216
        .size:           216
        .value_kind:     by_value
      - .offset:         432
        .size:           4
        .value_kind:     by_value
      - .offset:         440
        .size:           32
        .value_kind:     by_value
      - .offset:         472
        .size:           4
        .value_kind:     hidden_block_count_x
      - .offset:         476
        .size:           4
        .value_kind:     hidden_block_count_y
      - .offset:         480
        .size:           4
        .value_kind:     hidden_block_count_z
      - .offset:         484
        .size:           2
        .value_kind:     hidden_group_size_x
      - .offset:         486
        .size:           2
        .value_kind:     hidden_group_size_y
      - .offset:         488
        .size:           2
        .value_kind:     hidden_group_size_z
      - .offset:         490
        .size:           2
        .value_kind:     hidden_remainder_x
      - .offset:         492
        .size:           2
        .value_kind:     hidden_remainder_y
      - .offset:         494
        .size:           2
        .value_kind:     hidden_remainder_z
      - .offset:         512
        .size:           8
        .value_kind:     hidden_global_offset_x
      - .offset:         520
        .size:           8
        .value_kind:     hidden_global_offset_y
      - .offset:         528
        .size:           8
        .value_kind:     hidden_global_offset_z
      - .offset:         536
        .size:           2
        .value_kind:     hidden_grid_dims
    .group_segment_fixed_size: 0
    .kernarg_segment_align: 8
    .kernarg_segment_size: 728
    .language:       OpenCL C
    .language_version:
      - 2
      - 0
    .max_flat_workgroup_size: 512
    .name:           _ZN2at4cuda12_GLOBAL__N_121kernelPointwiseApply2IZNS_6native9templates4cuda28bernoulli_tensor_cuda_kernelIN3c104HalfEfEEvRKNS_10TensorBaseESB_NS_15PhiloxCudaStateEEUliRS8_SD_SD_SD_RKfSF_SF_SF_E_S8_SE_jLi1ELi2ELi4ELi512ELi2EEEvNS0_6detail10TensorInfoIT0_T2_EENSI_IT1_SK_EESK_T_
    .private_segment_fixed_size: 0
    .sgpr_count:     42
    .sgpr_spill_count: 0
    .symbol:         _ZN2at4cuda12_GLOBAL__N_121kernelPointwiseApply2IZNS_6native9templates4cuda28bernoulli_tensor_cuda_kernelIN3c104HalfEfEEvRKNS_10TensorBaseESB_NS_15PhiloxCudaStateEEUliRS8_SD_SD_SD_RKfSF_SF_SF_E_S8_SE_jLi1ELi2ELi4ELi512ELi2EEEvNS0_6detail10TensorInfoIT0_T2_EENSI_IT1_SK_EESK_T_.kd
    .uniform_work_group_size: 1
    .uses_dynamic_stack: false
    .vgpr_count:     42
    .vgpr_spill_count: 0
    .wavefront_size: 32
    .workgroup_processor_mode: 1
  - .args:
      - .offset:         0
        .size:           216
        .value_kind:     by_value
      - .offset:         216
        .size:           216
        .value_kind:     by_value
      - .offset:         432
        .size:           4
        .value_kind:     by_value
      - .offset:         440
        .size:           32
        .value_kind:     by_value
      - .offset:         472
        .size:           4
        .value_kind:     hidden_block_count_x
      - .offset:         476
        .size:           4
        .value_kind:     hidden_block_count_y
      - .offset:         480
        .size:           4
        .value_kind:     hidden_block_count_z
      - .offset:         484
        .size:           2
        .value_kind:     hidden_group_size_x
      - .offset:         486
        .size:           2
        .value_kind:     hidden_group_size_y
      - .offset:         488
        .size:           2
        .value_kind:     hidden_group_size_z
      - .offset:         490
        .size:           2
        .value_kind:     hidden_remainder_x
      - .offset:         492
        .size:           2
        .value_kind:     hidden_remainder_y
      - .offset:         494
        .size:           2
        .value_kind:     hidden_remainder_z
      - .offset:         512
        .size:           8
        .value_kind:     hidden_global_offset_x
      - .offset:         520
        .size:           8
        .value_kind:     hidden_global_offset_y
      - .offset:         528
        .size:           8
        .value_kind:     hidden_global_offset_z
      - .offset:         536
        .size:           2
        .value_kind:     hidden_grid_dims
    .group_segment_fixed_size: 0
    .kernarg_segment_align: 8
    .kernarg_segment_size: 728
    .language:       OpenCL C
    .language_version:
      - 2
      - 0
    .max_flat_workgroup_size: 512
    .name:           _ZN2at4cuda12_GLOBAL__N_121kernelPointwiseApply2IZNS_6native9templates4cuda28bernoulli_tensor_cuda_kernelIN3c104HalfEfEEvRKNS_10TensorBaseESB_NS_15PhiloxCudaStateEEUliRS8_SD_SD_SD_RKfSF_SF_SF_E_S8_SE_jLi1ELin1ELi4ELi512ELi2EEEvNS0_6detail10TensorInfoIT0_T2_EENSI_IT1_SK_EESK_T_
    .private_segment_fixed_size: 0
    .sgpr_count:     43
    .sgpr_spill_count: 0
    .symbol:         _ZN2at4cuda12_GLOBAL__N_121kernelPointwiseApply2IZNS_6native9templates4cuda28bernoulli_tensor_cuda_kernelIN3c104HalfEfEEvRKNS_10TensorBaseESB_NS_15PhiloxCudaStateEEUliRS8_SD_SD_SD_RKfSF_SF_SF_E_S8_SE_jLi1ELin1ELi4ELi512ELi2EEEvNS0_6detail10TensorInfoIT0_T2_EENSI_IT1_SK_EESK_T_.kd
    .uniform_work_group_size: 1
    .uses_dynamic_stack: false
    .vgpr_count:     39
    .vgpr_spill_count: 0
    .wavefront_size: 32
    .workgroup_processor_mode: 1
  - .args:
      - .offset:         0
        .size:           216
        .value_kind:     by_value
      - .offset:         216
        .size:           216
        .value_kind:     by_value
      - .offset:         432
        .size:           4
        .value_kind:     by_value
      - .offset:         440
        .size:           32
        .value_kind:     by_value
      - .offset:         472
        .size:           4
        .value_kind:     hidden_block_count_x
      - .offset:         476
        .size:           4
        .value_kind:     hidden_block_count_y
      - .offset:         480
        .size:           4
        .value_kind:     hidden_block_count_z
      - .offset:         484
        .size:           2
        .value_kind:     hidden_group_size_x
      - .offset:         486
        .size:           2
        .value_kind:     hidden_group_size_y
      - .offset:         488
        .size:           2
        .value_kind:     hidden_group_size_z
      - .offset:         490
        .size:           2
        .value_kind:     hidden_remainder_x
      - .offset:         492
        .size:           2
        .value_kind:     hidden_remainder_y
      - .offset:         494
        .size:           2
        .value_kind:     hidden_remainder_z
      - .offset:         512
        .size:           8
        .value_kind:     hidden_global_offset_x
      - .offset:         520
        .size:           8
        .value_kind:     hidden_global_offset_y
      - .offset:         528
        .size:           8
        .value_kind:     hidden_global_offset_z
      - .offset:         536
        .size:           2
        .value_kind:     hidden_grid_dims
    .group_segment_fixed_size: 0
    .kernarg_segment_align: 8
    .kernarg_segment_size: 728
    .language:       OpenCL C
    .language_version:
      - 2
      - 0
    .max_flat_workgroup_size: 512
    .name:           _ZN2at4cuda12_GLOBAL__N_121kernelPointwiseApply2IZNS_6native9templates4cuda28bernoulli_tensor_cuda_kernelIN3c104HalfEfEEvRKNS_10TensorBaseESB_NS_15PhiloxCudaStateEEUliRS8_SD_SD_SD_RKfSF_SF_SF_E_S8_SE_jLi2ELi1ELi4ELi512ELi2EEEvNS0_6detail10TensorInfoIT0_T2_EENSI_IT1_SK_EESK_T_
    .private_segment_fixed_size: 0
    .sgpr_count:     40
    .sgpr_spill_count: 0
    .symbol:         _ZN2at4cuda12_GLOBAL__N_121kernelPointwiseApply2IZNS_6native9templates4cuda28bernoulli_tensor_cuda_kernelIN3c104HalfEfEEvRKNS_10TensorBaseESB_NS_15PhiloxCudaStateEEUliRS8_SD_SD_SD_RKfSF_SF_SF_E_S8_SE_jLi2ELi1ELi4ELi512ELi2EEEvNS0_6detail10TensorInfoIT0_T2_EENSI_IT1_SK_EESK_T_.kd
    .uniform_work_group_size: 1
    .uses_dynamic_stack: false
    .vgpr_count:     48
    .vgpr_spill_count: 0
    .wavefront_size: 32
    .workgroup_processor_mode: 1
  - .args:
      - .offset:         0
        .size:           216
        .value_kind:     by_value
      - .offset:         216
        .size:           216
        .value_kind:     by_value
      - .offset:         432
        .size:           4
        .value_kind:     by_value
      - .offset:         440
        .size:           32
        .value_kind:     by_value
      - .offset:         472
        .size:           4
        .value_kind:     hidden_block_count_x
      - .offset:         476
        .size:           4
        .value_kind:     hidden_block_count_y
      - .offset:         480
        .size:           4
        .value_kind:     hidden_block_count_z
      - .offset:         484
        .size:           2
        .value_kind:     hidden_group_size_x
      - .offset:         486
        .size:           2
        .value_kind:     hidden_group_size_y
      - .offset:         488
        .size:           2
        .value_kind:     hidden_group_size_z
      - .offset:         490
        .size:           2
        .value_kind:     hidden_remainder_x
      - .offset:         492
        .size:           2
        .value_kind:     hidden_remainder_y
      - .offset:         494
        .size:           2
        .value_kind:     hidden_remainder_z
      - .offset:         512
        .size:           8
        .value_kind:     hidden_global_offset_x
      - .offset:         520
        .size:           8
        .value_kind:     hidden_global_offset_y
      - .offset:         528
        .size:           8
        .value_kind:     hidden_global_offset_z
      - .offset:         536
        .size:           2
        .value_kind:     hidden_grid_dims
    .group_segment_fixed_size: 0
    .kernarg_segment_align: 8
    .kernarg_segment_size: 728
    .language:       OpenCL C
    .language_version:
      - 2
      - 0
    .max_flat_workgroup_size: 512
    .name:           _ZN2at4cuda12_GLOBAL__N_121kernelPointwiseApply2IZNS_6native9templates4cuda28bernoulli_tensor_cuda_kernelIN3c104HalfEfEEvRKNS_10TensorBaseESB_NS_15PhiloxCudaStateEEUliRS8_SD_SD_SD_RKfSF_SF_SF_E_S8_SE_jLi2ELi2ELi4ELi512ELi2EEEvNS0_6detail10TensorInfoIT0_T2_EENSI_IT1_SK_EESK_T_
    .private_segment_fixed_size: 0
    .sgpr_count:     42
    .sgpr_spill_count: 0
    .symbol:         _ZN2at4cuda12_GLOBAL__N_121kernelPointwiseApply2IZNS_6native9templates4cuda28bernoulli_tensor_cuda_kernelIN3c104HalfEfEEvRKNS_10TensorBaseESB_NS_15PhiloxCudaStateEEUliRS8_SD_SD_SD_RKfSF_SF_SF_E_S8_SE_jLi2ELi2ELi4ELi512ELi2EEEvNS0_6detail10TensorInfoIT0_T2_EENSI_IT1_SK_EESK_T_.kd
    .uniform_work_group_size: 1
    .uses_dynamic_stack: false
    .vgpr_count:     44
    .vgpr_spill_count: 0
    .wavefront_size: 32
    .workgroup_processor_mode: 1
  - .args:
      - .offset:         0
        .size:           216
        .value_kind:     by_value
      - .offset:         216
        .size:           216
        .value_kind:     by_value
      - .offset:         432
        .size:           4
        .value_kind:     by_value
      - .offset:         440
        .size:           32
        .value_kind:     by_value
      - .offset:         472
        .size:           4
        .value_kind:     hidden_block_count_x
      - .offset:         476
        .size:           4
        .value_kind:     hidden_block_count_y
      - .offset:         480
        .size:           4
        .value_kind:     hidden_block_count_z
      - .offset:         484
        .size:           2
        .value_kind:     hidden_group_size_x
      - .offset:         486
        .size:           2
        .value_kind:     hidden_group_size_y
      - .offset:         488
        .size:           2
        .value_kind:     hidden_group_size_z
      - .offset:         490
        .size:           2
        .value_kind:     hidden_remainder_x
      - .offset:         492
        .size:           2
        .value_kind:     hidden_remainder_y
      - .offset:         494
        .size:           2
        .value_kind:     hidden_remainder_z
      - .offset:         512
        .size:           8
        .value_kind:     hidden_global_offset_x
      - .offset:         520
        .size:           8
        .value_kind:     hidden_global_offset_y
      - .offset:         528
        .size:           8
        .value_kind:     hidden_global_offset_z
      - .offset:         536
        .size:           2
        .value_kind:     hidden_grid_dims
    .group_segment_fixed_size: 0
    .kernarg_segment_align: 8
    .kernarg_segment_size: 728
    .language:       OpenCL C
    .language_version:
      - 2
      - 0
    .max_flat_workgroup_size: 512
    .name:           _ZN2at4cuda12_GLOBAL__N_121kernelPointwiseApply2IZNS_6native9templates4cuda28bernoulli_tensor_cuda_kernelIN3c104HalfEfEEvRKNS_10TensorBaseESB_NS_15PhiloxCudaStateEEUliRS8_SD_SD_SD_RKfSF_SF_SF_E_S8_SE_jLi2ELin1ELi4ELi512ELi2EEEvNS0_6detail10TensorInfoIT0_T2_EENSI_IT1_SK_EESK_T_
    .private_segment_fixed_size: 0
    .sgpr_count:     42
    .sgpr_spill_count: 0
    .symbol:         _ZN2at4cuda12_GLOBAL__N_121kernelPointwiseApply2IZNS_6native9templates4cuda28bernoulli_tensor_cuda_kernelIN3c104HalfEfEEvRKNS_10TensorBaseESB_NS_15PhiloxCudaStateEEUliRS8_SD_SD_SD_RKfSF_SF_SF_E_S8_SE_jLi2ELin1ELi4ELi512ELi2EEEvNS0_6detail10TensorInfoIT0_T2_EENSI_IT1_SK_EESK_T_.kd
    .uniform_work_group_size: 1
    .uses_dynamic_stack: false
    .vgpr_count:     41
    .vgpr_spill_count: 0
    .wavefront_size: 32
    .workgroup_processor_mode: 1
  - .args:
      - .offset:         0
        .size:           216
        .value_kind:     by_value
      - .offset:         216
        .size:           216
        .value_kind:     by_value
      - .offset:         432
        .size:           4
        .value_kind:     by_value
      - .offset:         440
        .size:           32
        .value_kind:     by_value
      - .offset:         472
        .size:           4
        .value_kind:     hidden_block_count_x
      - .offset:         476
        .size:           4
        .value_kind:     hidden_block_count_y
      - .offset:         480
        .size:           4
        .value_kind:     hidden_block_count_z
      - .offset:         484
        .size:           2
        .value_kind:     hidden_group_size_x
      - .offset:         486
        .size:           2
        .value_kind:     hidden_group_size_y
      - .offset:         488
        .size:           2
        .value_kind:     hidden_group_size_z
      - .offset:         490
        .size:           2
        .value_kind:     hidden_remainder_x
      - .offset:         492
        .size:           2
        .value_kind:     hidden_remainder_y
      - .offset:         494
        .size:           2
        .value_kind:     hidden_remainder_z
      - .offset:         512
        .size:           8
        .value_kind:     hidden_global_offset_x
      - .offset:         520
        .size:           8
        .value_kind:     hidden_global_offset_y
      - .offset:         528
        .size:           8
        .value_kind:     hidden_global_offset_z
      - .offset:         536
        .size:           2
        .value_kind:     hidden_grid_dims
    .group_segment_fixed_size: 0
    .kernarg_segment_align: 8
    .kernarg_segment_size: 728
    .language:       OpenCL C
    .language_version:
      - 2
      - 0
    .max_flat_workgroup_size: 512
    .name:           _ZN2at4cuda12_GLOBAL__N_121kernelPointwiseApply2IZNS_6native9templates4cuda28bernoulli_tensor_cuda_kernelIN3c104HalfEfEEvRKNS_10TensorBaseESB_NS_15PhiloxCudaStateEEUliRS8_SD_SD_SD_RKfSF_SF_SF_E_S8_SE_jLin1ELi1ELi4ELi512ELi2EEEvNS0_6detail10TensorInfoIT0_T2_EENSI_IT1_SK_EESK_T_
    .private_segment_fixed_size: 0
    .sgpr_count:     42
    .sgpr_spill_count: 0
    .symbol:         _ZN2at4cuda12_GLOBAL__N_121kernelPointwiseApply2IZNS_6native9templates4cuda28bernoulli_tensor_cuda_kernelIN3c104HalfEfEEvRKNS_10TensorBaseESB_NS_15PhiloxCudaStateEEUliRS8_SD_SD_SD_RKfSF_SF_SF_E_S8_SE_jLin1ELi1ELi4ELi512ELi2EEEvNS0_6detail10TensorInfoIT0_T2_EENSI_IT1_SK_EESK_T_.kd
    .uniform_work_group_size: 1
    .uses_dynamic_stack: false
    .vgpr_count:     41
    .vgpr_spill_count: 0
    .wavefront_size: 32
    .workgroup_processor_mode: 1
  - .args:
      - .offset:         0
        .size:           216
        .value_kind:     by_value
      - .offset:         216
        .size:           216
        .value_kind:     by_value
      - .offset:         432
        .size:           4
        .value_kind:     by_value
      - .offset:         440
        .size:           32
        .value_kind:     by_value
      - .offset:         472
        .size:           4
        .value_kind:     hidden_block_count_x
      - .offset:         476
        .size:           4
        .value_kind:     hidden_block_count_y
      - .offset:         480
        .size:           4
        .value_kind:     hidden_block_count_z
      - .offset:         484
        .size:           2
        .value_kind:     hidden_group_size_x
      - .offset:         486
        .size:           2
        .value_kind:     hidden_group_size_y
      - .offset:         488
        .size:           2
        .value_kind:     hidden_group_size_z
      - .offset:         490
        .size:           2
        .value_kind:     hidden_remainder_x
      - .offset:         492
        .size:           2
        .value_kind:     hidden_remainder_y
      - .offset:         494
        .size:           2
        .value_kind:     hidden_remainder_z
      - .offset:         512
        .size:           8
        .value_kind:     hidden_global_offset_x
      - .offset:         520
        .size:           8
        .value_kind:     hidden_global_offset_y
      - .offset:         528
        .size:           8
        .value_kind:     hidden_global_offset_z
      - .offset:         536
        .size:           2
        .value_kind:     hidden_grid_dims
    .group_segment_fixed_size: 0
    .kernarg_segment_align: 8
    .kernarg_segment_size: 728
    .language:       OpenCL C
    .language_version:
      - 2
      - 0
    .max_flat_workgroup_size: 512
    .name:           _ZN2at4cuda12_GLOBAL__N_121kernelPointwiseApply2IZNS_6native9templates4cuda28bernoulli_tensor_cuda_kernelIN3c104HalfEfEEvRKNS_10TensorBaseESB_NS_15PhiloxCudaStateEEUliRS8_SD_SD_SD_RKfSF_SF_SF_E_S8_SE_jLin1ELi2ELi4ELi512ELi2EEEvNS0_6detail10TensorInfoIT0_T2_EENSI_IT1_SK_EESK_T_
    .private_segment_fixed_size: 0
    .sgpr_count:     42
    .sgpr_spill_count: 0
    .symbol:         _ZN2at4cuda12_GLOBAL__N_121kernelPointwiseApply2IZNS_6native9templates4cuda28bernoulli_tensor_cuda_kernelIN3c104HalfEfEEvRKNS_10TensorBaseESB_NS_15PhiloxCudaStateEEUliRS8_SD_SD_SD_RKfSF_SF_SF_E_S8_SE_jLin1ELi2ELi4ELi512ELi2EEEvNS0_6detail10TensorInfoIT0_T2_EENSI_IT1_SK_EESK_T_.kd
    .uniform_work_group_size: 1
    .uses_dynamic_stack: false
    .vgpr_count:     42
    .vgpr_spill_count: 0
    .wavefront_size: 32
    .workgroup_processor_mode: 1
  - .args:
      - .offset:         0
        .size:           216
        .value_kind:     by_value
      - .offset:         216
        .size:           216
        .value_kind:     by_value
      - .offset:         432
        .size:           4
        .value_kind:     by_value
      - .offset:         440
        .size:           32
        .value_kind:     by_value
      - .offset:         472
        .size:           4
        .value_kind:     hidden_block_count_x
      - .offset:         476
        .size:           4
        .value_kind:     hidden_block_count_y
      - .offset:         480
        .size:           4
        .value_kind:     hidden_block_count_z
      - .offset:         484
        .size:           2
        .value_kind:     hidden_group_size_x
      - .offset:         486
        .size:           2
        .value_kind:     hidden_group_size_y
      - .offset:         488
        .size:           2
        .value_kind:     hidden_group_size_z
      - .offset:         490
        .size:           2
        .value_kind:     hidden_remainder_x
      - .offset:         492
        .size:           2
        .value_kind:     hidden_remainder_y
      - .offset:         494
        .size:           2
        .value_kind:     hidden_remainder_z
      - .offset:         512
        .size:           8
        .value_kind:     hidden_global_offset_x
      - .offset:         520
        .size:           8
        .value_kind:     hidden_global_offset_y
      - .offset:         528
        .size:           8
        .value_kind:     hidden_global_offset_z
      - .offset:         536
        .size:           2
        .value_kind:     hidden_grid_dims
    .group_segment_fixed_size: 0
    .kernarg_segment_align: 8
    .kernarg_segment_size: 728
    .language:       OpenCL C
    .language_version:
      - 2
      - 0
    .max_flat_workgroup_size: 512
    .name:           _ZN2at4cuda12_GLOBAL__N_121kernelPointwiseApply2IZNS_6native9templates4cuda28bernoulli_tensor_cuda_kernelIN3c104HalfEfEEvRKNS_10TensorBaseESB_NS_15PhiloxCudaStateEEUliRS8_SD_SD_SD_RKfSF_SF_SF_E_S8_SE_jLin1ELin1ELi4ELi512ELi2EEEvNS0_6detail10TensorInfoIT0_T2_EENSI_IT1_SK_EESK_T_
    .private_segment_fixed_size: 0
    .sgpr_count:     44
    .sgpr_spill_count: 0
    .symbol:         _ZN2at4cuda12_GLOBAL__N_121kernelPointwiseApply2IZNS_6native9templates4cuda28bernoulli_tensor_cuda_kernelIN3c104HalfEfEEvRKNS_10TensorBaseESB_NS_15PhiloxCudaStateEEUliRS8_SD_SD_SD_RKfSF_SF_SF_E_S8_SE_jLin1ELin1ELi4ELi512ELi2EEEvNS0_6detail10TensorInfoIT0_T2_EENSI_IT1_SK_EESK_T_.kd
    .uniform_work_group_size: 1
    .uses_dynamic_stack: false
    .vgpr_count:     40
    .vgpr_spill_count: 0
    .wavefront_size: 32
    .workgroup_processor_mode: 1
  - .args:
      - .offset:         0
        .size:           416
        .value_kind:     by_value
      - .offset:         416
        .size:           416
        .value_kind:     by_value
      - .offset:         832
        .size:           8
        .value_kind:     by_value
      - .offset:         840
        .size:           32
        .value_kind:     by_value
      - .offset:         872
        .size:           4
        .value_kind:     hidden_block_count_x
      - .offset:         876
        .size:           4
        .value_kind:     hidden_block_count_y
      - .offset:         880
        .size:           4
        .value_kind:     hidden_block_count_z
      - .offset:         884
        .size:           2
        .value_kind:     hidden_group_size_x
      - .offset:         886
        .size:           2
        .value_kind:     hidden_group_size_y
      - .offset:         888
        .size:           2
        .value_kind:     hidden_group_size_z
      - .offset:         890
        .size:           2
        .value_kind:     hidden_remainder_x
      - .offset:         892
        .size:           2
        .value_kind:     hidden_remainder_y
      - .offset:         894
        .size:           2
        .value_kind:     hidden_remainder_z
      - .offset:         912
        .size:           8
        .value_kind:     hidden_global_offset_x
      - .offset:         920
        .size:           8
        .value_kind:     hidden_global_offset_y
      - .offset:         928
        .size:           8
        .value_kind:     hidden_global_offset_z
      - .offset:         936
        .size:           2
        .value_kind:     hidden_grid_dims
    .group_segment_fixed_size: 0
    .kernarg_segment_align: 8
    .kernarg_segment_size: 1128
    .language:       OpenCL C
    .language_version:
      - 2
      - 0
    .max_flat_workgroup_size: 512
    .name:           _ZN2at4cuda12_GLOBAL__N_121kernelPointwiseApply2IZNS_6native9templates4cuda28bernoulli_tensor_cuda_kernelIN3c104HalfEfEEvRKNS_10TensorBaseESB_NS_15PhiloxCudaStateEEUliRS8_SD_SD_SD_RKfSF_SF_SF_E_S8_SE_mLi1ELi1ELi4ELi512ELi2EEEvNS0_6detail10TensorInfoIT0_T2_EENSI_IT1_SK_EESK_T_
    .private_segment_fixed_size: 0
    .sgpr_count:     45
    .sgpr_spill_count: 0
    .symbol:         _ZN2at4cuda12_GLOBAL__N_121kernelPointwiseApply2IZNS_6native9templates4cuda28bernoulli_tensor_cuda_kernelIN3c104HalfEfEEvRKNS_10TensorBaseESB_NS_15PhiloxCudaStateEEUliRS8_SD_SD_SD_RKfSF_SF_SF_E_S8_SE_mLi1ELi1ELi4ELi512ELi2EEEvNS0_6detail10TensorInfoIT0_T2_EENSI_IT1_SK_EESK_T_.kd
    .uniform_work_group_size: 1
    .uses_dynamic_stack: false
    .vgpr_count:     51
    .vgpr_spill_count: 0
    .wavefront_size: 32
    .workgroup_processor_mode: 1
  - .args:
      - .offset:         0
        .size:           416
        .value_kind:     by_value
      - .offset:         416
        .size:           416
        .value_kind:     by_value
      - .offset:         832
        .size:           8
        .value_kind:     by_value
      - .offset:         840
        .size:           32
        .value_kind:     by_value
      - .offset:         872
        .size:           4
        .value_kind:     hidden_block_count_x
      - .offset:         876
        .size:           4
        .value_kind:     hidden_block_count_y
      - .offset:         880
        .size:           4
        .value_kind:     hidden_block_count_z
      - .offset:         884
        .size:           2
        .value_kind:     hidden_group_size_x
      - .offset:         886
        .size:           2
        .value_kind:     hidden_group_size_y
      - .offset:         888
        .size:           2
        .value_kind:     hidden_group_size_z
      - .offset:         890
        .size:           2
        .value_kind:     hidden_remainder_x
      - .offset:         892
        .size:           2
        .value_kind:     hidden_remainder_y
      - .offset:         894
        .size:           2
        .value_kind:     hidden_remainder_z
      - .offset:         912
        .size:           8
        .value_kind:     hidden_global_offset_x
      - .offset:         920
        .size:           8
        .value_kind:     hidden_global_offset_y
      - .offset:         928
        .size:           8
        .value_kind:     hidden_global_offset_z
      - .offset:         936
        .size:           2
        .value_kind:     hidden_grid_dims
    .group_segment_fixed_size: 0
    .kernarg_segment_align: 8
    .kernarg_segment_size: 1128
    .language:       OpenCL C
    .language_version:
      - 2
      - 0
    .max_flat_workgroup_size: 512
    .name:           _ZN2at4cuda12_GLOBAL__N_121kernelPointwiseApply2IZNS_6native9templates4cuda28bernoulli_tensor_cuda_kernelIN3c104HalfEfEEvRKNS_10TensorBaseESB_NS_15PhiloxCudaStateEEUliRS8_SD_SD_SD_RKfSF_SF_SF_E_S8_SE_mLin1ELin1ELi4ELi512ELi2EEEvNS0_6detail10TensorInfoIT0_T2_EENSI_IT1_SK_EESK_T_
    .private_segment_fixed_size: 0
    .sgpr_count:     48
    .sgpr_spill_count: 0
    .symbol:         _ZN2at4cuda12_GLOBAL__N_121kernelPointwiseApply2IZNS_6native9templates4cuda28bernoulli_tensor_cuda_kernelIN3c104HalfEfEEvRKNS_10TensorBaseESB_NS_15PhiloxCudaStateEEUliRS8_SD_SD_SD_RKfSF_SF_SF_E_S8_SE_mLin1ELin1ELi4ELi512ELi2EEEvNS0_6detail10TensorInfoIT0_T2_EENSI_IT1_SK_EESK_T_.kd
    .uniform_work_group_size: 1
    .uses_dynamic_stack: false
    .vgpr_count:     44
    .vgpr_spill_count: 0
    .wavefront_size: 32
    .workgroup_processor_mode: 1
  - .args:
      - .offset:         0
        .size:           216
        .value_kind:     by_value
      - .offset:         216
        .size:           216
        .value_kind:     by_value
      - .offset:         432
        .size:           4
        .value_kind:     by_value
      - .offset:         440
        .size:           32
        .value_kind:     by_value
      - .offset:         472
        .size:           4
        .value_kind:     hidden_block_count_x
      - .offset:         476
        .size:           4
        .value_kind:     hidden_block_count_y
      - .offset:         480
        .size:           4
        .value_kind:     hidden_block_count_z
      - .offset:         484
        .size:           2
        .value_kind:     hidden_group_size_x
      - .offset:         486
        .size:           2
        .value_kind:     hidden_group_size_y
      - .offset:         488
        .size:           2
        .value_kind:     hidden_group_size_z
      - .offset:         490
        .size:           2
        .value_kind:     hidden_remainder_x
      - .offset:         492
        .size:           2
        .value_kind:     hidden_remainder_y
      - .offset:         494
        .size:           2
        .value_kind:     hidden_remainder_z
      - .offset:         512
        .size:           8
        .value_kind:     hidden_global_offset_x
      - .offset:         520
        .size:           8
        .value_kind:     hidden_global_offset_y
      - .offset:         528
        .size:           8
        .value_kind:     hidden_global_offset_z
      - .offset:         536
        .size:           2
        .value_kind:     hidden_grid_dims
    .group_segment_fixed_size: 0
    .kernarg_segment_align: 8
    .kernarg_segment_size: 728
    .language:       OpenCL C
    .language_version:
      - 2
      - 0
    .max_flat_workgroup_size: 512
    .name:           _ZN2at4cuda12_GLOBAL__N_121kernelPointwiseApply2IZNS_6native9templates4cuda28bernoulli_tensor_cuda_kernelIN3c108BFloat16EfEEvRKNS_10TensorBaseESB_NS_15PhiloxCudaStateEEUliRS8_SD_SD_SD_RKfSF_SF_SF_E_S8_SE_jLi1ELi1ELi4ELi512ELi2EEEvNS0_6detail10TensorInfoIT0_T2_EENSI_IT1_SK_EESK_T_
    .private_segment_fixed_size: 0
    .sgpr_count:     40
    .sgpr_spill_count: 0
    .symbol:         _ZN2at4cuda12_GLOBAL__N_121kernelPointwiseApply2IZNS_6native9templates4cuda28bernoulli_tensor_cuda_kernelIN3c108BFloat16EfEEvRKNS_10TensorBaseESB_NS_15PhiloxCudaStateEEUliRS8_SD_SD_SD_RKfSF_SF_SF_E_S8_SE_jLi1ELi1ELi4ELi512ELi2EEEvNS0_6detail10TensorInfoIT0_T2_EENSI_IT1_SK_EESK_T_.kd
    .uniform_work_group_size: 1
    .uses_dynamic_stack: false
    .vgpr_count:     44
    .vgpr_spill_count: 0
    .wavefront_size: 32
    .workgroup_processor_mode: 1
  - .args:
      - .offset:         0
        .size:           216
        .value_kind:     by_value
      - .offset:         216
        .size:           216
        .value_kind:     by_value
      - .offset:         432
        .size:           4
        .value_kind:     by_value
      - .offset:         440
        .size:           32
        .value_kind:     by_value
      - .offset:         472
        .size:           4
        .value_kind:     hidden_block_count_x
      - .offset:         476
        .size:           4
        .value_kind:     hidden_block_count_y
      - .offset:         480
        .size:           4
        .value_kind:     hidden_block_count_z
      - .offset:         484
        .size:           2
        .value_kind:     hidden_group_size_x
      - .offset:         486
        .size:           2
        .value_kind:     hidden_group_size_y
      - .offset:         488
        .size:           2
        .value_kind:     hidden_group_size_z
      - .offset:         490
        .size:           2
        .value_kind:     hidden_remainder_x
      - .offset:         492
        .size:           2
        .value_kind:     hidden_remainder_y
      - .offset:         494
        .size:           2
        .value_kind:     hidden_remainder_z
      - .offset:         512
        .size:           8
        .value_kind:     hidden_global_offset_x
      - .offset:         520
        .size:           8
        .value_kind:     hidden_global_offset_y
      - .offset:         528
        .size:           8
        .value_kind:     hidden_global_offset_z
      - .offset:         536
        .size:           2
        .value_kind:     hidden_grid_dims
    .group_segment_fixed_size: 0
    .kernarg_segment_align: 8
    .kernarg_segment_size: 728
    .language:       OpenCL C
    .language_version:
      - 2
      - 0
    .max_flat_workgroup_size: 512
    .name:           _ZN2at4cuda12_GLOBAL__N_121kernelPointwiseApply2IZNS_6native9templates4cuda28bernoulli_tensor_cuda_kernelIN3c108BFloat16EfEEvRKNS_10TensorBaseESB_NS_15PhiloxCudaStateEEUliRS8_SD_SD_SD_RKfSF_SF_SF_E_S8_SE_jLi1ELi2ELi4ELi512ELi2EEEvNS0_6detail10TensorInfoIT0_T2_EENSI_IT1_SK_EESK_T_
    .private_segment_fixed_size: 0
    .sgpr_count:     42
    .sgpr_spill_count: 0
    .symbol:         _ZN2at4cuda12_GLOBAL__N_121kernelPointwiseApply2IZNS_6native9templates4cuda28bernoulli_tensor_cuda_kernelIN3c108BFloat16EfEEvRKNS_10TensorBaseESB_NS_15PhiloxCudaStateEEUliRS8_SD_SD_SD_RKfSF_SF_SF_E_S8_SE_jLi1ELi2ELi4ELi512ELi2EEEvNS0_6detail10TensorInfoIT0_T2_EENSI_IT1_SK_EESK_T_.kd
    .uniform_work_group_size: 1
    .uses_dynamic_stack: false
    .vgpr_count:     42
    .vgpr_spill_count: 0
    .wavefront_size: 32
    .workgroup_processor_mode: 1
  - .args:
      - .offset:         0
        .size:           216
        .value_kind:     by_value
      - .offset:         216
        .size:           216
        .value_kind:     by_value
      - .offset:         432
        .size:           4
        .value_kind:     by_value
      - .offset:         440
        .size:           32
        .value_kind:     by_value
      - .offset:         472
        .size:           4
        .value_kind:     hidden_block_count_x
      - .offset:         476
        .size:           4
        .value_kind:     hidden_block_count_y
      - .offset:         480
        .size:           4
        .value_kind:     hidden_block_count_z
      - .offset:         484
        .size:           2
        .value_kind:     hidden_group_size_x
      - .offset:         486
        .size:           2
        .value_kind:     hidden_group_size_y
      - .offset:         488
        .size:           2
        .value_kind:     hidden_group_size_z
      - .offset:         490
        .size:           2
        .value_kind:     hidden_remainder_x
      - .offset:         492
        .size:           2
        .value_kind:     hidden_remainder_y
      - .offset:         494
        .size:           2
        .value_kind:     hidden_remainder_z
      - .offset:         512
        .size:           8
        .value_kind:     hidden_global_offset_x
      - .offset:         520
        .size:           8
        .value_kind:     hidden_global_offset_y
      - .offset:         528
        .size:           8
        .value_kind:     hidden_global_offset_z
      - .offset:         536
        .size:           2
        .value_kind:     hidden_grid_dims
    .group_segment_fixed_size: 0
    .kernarg_segment_align: 8
    .kernarg_segment_size: 728
    .language:       OpenCL C
    .language_version:
      - 2
      - 0
    .max_flat_workgroup_size: 512
    .name:           _ZN2at4cuda12_GLOBAL__N_121kernelPointwiseApply2IZNS_6native9templates4cuda28bernoulli_tensor_cuda_kernelIN3c108BFloat16EfEEvRKNS_10TensorBaseESB_NS_15PhiloxCudaStateEEUliRS8_SD_SD_SD_RKfSF_SF_SF_E_S8_SE_jLi1ELin1ELi4ELi512ELi2EEEvNS0_6detail10TensorInfoIT0_T2_EENSI_IT1_SK_EESK_T_
    .private_segment_fixed_size: 0
    .sgpr_count:     43
    .sgpr_spill_count: 0
    .symbol:         _ZN2at4cuda12_GLOBAL__N_121kernelPointwiseApply2IZNS_6native9templates4cuda28bernoulli_tensor_cuda_kernelIN3c108BFloat16EfEEvRKNS_10TensorBaseESB_NS_15PhiloxCudaStateEEUliRS8_SD_SD_SD_RKfSF_SF_SF_E_S8_SE_jLi1ELin1ELi4ELi512ELi2EEEvNS0_6detail10TensorInfoIT0_T2_EENSI_IT1_SK_EESK_T_.kd
    .uniform_work_group_size: 1
    .uses_dynamic_stack: false
    .vgpr_count:     39
    .vgpr_spill_count: 0
    .wavefront_size: 32
    .workgroup_processor_mode: 1
  - .args:
      - .offset:         0
        .size:           216
        .value_kind:     by_value
      - .offset:         216
        .size:           216
        .value_kind:     by_value
      - .offset:         432
        .size:           4
        .value_kind:     by_value
      - .offset:         440
        .size:           32
        .value_kind:     by_value
      - .offset:         472
        .size:           4
        .value_kind:     hidden_block_count_x
      - .offset:         476
        .size:           4
        .value_kind:     hidden_block_count_y
      - .offset:         480
        .size:           4
        .value_kind:     hidden_block_count_z
      - .offset:         484
        .size:           2
        .value_kind:     hidden_group_size_x
      - .offset:         486
        .size:           2
        .value_kind:     hidden_group_size_y
      - .offset:         488
        .size:           2
        .value_kind:     hidden_group_size_z
      - .offset:         490
        .size:           2
        .value_kind:     hidden_remainder_x
      - .offset:         492
        .size:           2
        .value_kind:     hidden_remainder_y
      - .offset:         494
        .size:           2
        .value_kind:     hidden_remainder_z
      - .offset:         512
        .size:           8
        .value_kind:     hidden_global_offset_x
      - .offset:         520
        .size:           8
        .value_kind:     hidden_global_offset_y
      - .offset:         528
        .size:           8
        .value_kind:     hidden_global_offset_z
      - .offset:         536
        .size:           2
        .value_kind:     hidden_grid_dims
    .group_segment_fixed_size: 0
    .kernarg_segment_align: 8
    .kernarg_segment_size: 728
    .language:       OpenCL C
    .language_version:
      - 2
      - 0
    .max_flat_workgroup_size: 512
    .name:           _ZN2at4cuda12_GLOBAL__N_121kernelPointwiseApply2IZNS_6native9templates4cuda28bernoulli_tensor_cuda_kernelIN3c108BFloat16EfEEvRKNS_10TensorBaseESB_NS_15PhiloxCudaStateEEUliRS8_SD_SD_SD_RKfSF_SF_SF_E_S8_SE_jLi2ELi1ELi4ELi512ELi2EEEvNS0_6detail10TensorInfoIT0_T2_EENSI_IT1_SK_EESK_T_
    .private_segment_fixed_size: 0
    .sgpr_count:     40
    .sgpr_spill_count: 0
    .symbol:         _ZN2at4cuda12_GLOBAL__N_121kernelPointwiseApply2IZNS_6native9templates4cuda28bernoulli_tensor_cuda_kernelIN3c108BFloat16EfEEvRKNS_10TensorBaseESB_NS_15PhiloxCudaStateEEUliRS8_SD_SD_SD_RKfSF_SF_SF_E_S8_SE_jLi2ELi1ELi4ELi512ELi2EEEvNS0_6detail10TensorInfoIT0_T2_EENSI_IT1_SK_EESK_T_.kd
    .uniform_work_group_size: 1
    .uses_dynamic_stack: false
    .vgpr_count:     48
    .vgpr_spill_count: 0
    .wavefront_size: 32
    .workgroup_processor_mode: 1
  - .args:
      - .offset:         0
        .size:           216
        .value_kind:     by_value
      - .offset:         216
        .size:           216
        .value_kind:     by_value
      - .offset:         432
        .size:           4
        .value_kind:     by_value
      - .offset:         440
        .size:           32
        .value_kind:     by_value
      - .offset:         472
        .size:           4
        .value_kind:     hidden_block_count_x
      - .offset:         476
        .size:           4
        .value_kind:     hidden_block_count_y
      - .offset:         480
        .size:           4
        .value_kind:     hidden_block_count_z
      - .offset:         484
        .size:           2
        .value_kind:     hidden_group_size_x
      - .offset:         486
        .size:           2
        .value_kind:     hidden_group_size_y
      - .offset:         488
        .size:           2
        .value_kind:     hidden_group_size_z
      - .offset:         490
        .size:           2
        .value_kind:     hidden_remainder_x
      - .offset:         492
        .size:           2
        .value_kind:     hidden_remainder_y
      - .offset:         494
        .size:           2
        .value_kind:     hidden_remainder_z
      - .offset:         512
        .size:           8
        .value_kind:     hidden_global_offset_x
      - .offset:         520
        .size:           8
        .value_kind:     hidden_global_offset_y
      - .offset:         528
        .size:           8
        .value_kind:     hidden_global_offset_z
      - .offset:         536
        .size:           2
        .value_kind:     hidden_grid_dims
    .group_segment_fixed_size: 0
    .kernarg_segment_align: 8
    .kernarg_segment_size: 728
    .language:       OpenCL C
    .language_version:
      - 2
      - 0
    .max_flat_workgroup_size: 512
    .name:           _ZN2at4cuda12_GLOBAL__N_121kernelPointwiseApply2IZNS_6native9templates4cuda28bernoulli_tensor_cuda_kernelIN3c108BFloat16EfEEvRKNS_10TensorBaseESB_NS_15PhiloxCudaStateEEUliRS8_SD_SD_SD_RKfSF_SF_SF_E_S8_SE_jLi2ELi2ELi4ELi512ELi2EEEvNS0_6detail10TensorInfoIT0_T2_EENSI_IT1_SK_EESK_T_
    .private_segment_fixed_size: 0
    .sgpr_count:     42
    .sgpr_spill_count: 0
    .symbol:         _ZN2at4cuda12_GLOBAL__N_121kernelPointwiseApply2IZNS_6native9templates4cuda28bernoulli_tensor_cuda_kernelIN3c108BFloat16EfEEvRKNS_10TensorBaseESB_NS_15PhiloxCudaStateEEUliRS8_SD_SD_SD_RKfSF_SF_SF_E_S8_SE_jLi2ELi2ELi4ELi512ELi2EEEvNS0_6detail10TensorInfoIT0_T2_EENSI_IT1_SK_EESK_T_.kd
    .uniform_work_group_size: 1
    .uses_dynamic_stack: false
    .vgpr_count:     44
    .vgpr_spill_count: 0
    .wavefront_size: 32
    .workgroup_processor_mode: 1
  - .args:
      - .offset:         0
        .size:           216
        .value_kind:     by_value
      - .offset:         216
        .size:           216
        .value_kind:     by_value
      - .offset:         432
        .size:           4
        .value_kind:     by_value
      - .offset:         440
        .size:           32
        .value_kind:     by_value
      - .offset:         472
        .size:           4
        .value_kind:     hidden_block_count_x
      - .offset:         476
        .size:           4
        .value_kind:     hidden_block_count_y
      - .offset:         480
        .size:           4
        .value_kind:     hidden_block_count_z
      - .offset:         484
        .size:           2
        .value_kind:     hidden_group_size_x
      - .offset:         486
        .size:           2
        .value_kind:     hidden_group_size_y
      - .offset:         488
        .size:           2
        .value_kind:     hidden_group_size_z
      - .offset:         490
        .size:           2
        .value_kind:     hidden_remainder_x
      - .offset:         492
        .size:           2
        .value_kind:     hidden_remainder_y
      - .offset:         494
        .size:           2
        .value_kind:     hidden_remainder_z
      - .offset:         512
        .size:           8
        .value_kind:     hidden_global_offset_x
      - .offset:         520
        .size:           8
        .value_kind:     hidden_global_offset_y
      - .offset:         528
        .size:           8
        .value_kind:     hidden_global_offset_z
      - .offset:         536
        .size:           2
        .value_kind:     hidden_grid_dims
    .group_segment_fixed_size: 0
    .kernarg_segment_align: 8
    .kernarg_segment_size: 728
    .language:       OpenCL C
    .language_version:
      - 2
      - 0
    .max_flat_workgroup_size: 512
    .name:           _ZN2at4cuda12_GLOBAL__N_121kernelPointwiseApply2IZNS_6native9templates4cuda28bernoulli_tensor_cuda_kernelIN3c108BFloat16EfEEvRKNS_10TensorBaseESB_NS_15PhiloxCudaStateEEUliRS8_SD_SD_SD_RKfSF_SF_SF_E_S8_SE_jLi2ELin1ELi4ELi512ELi2EEEvNS0_6detail10TensorInfoIT0_T2_EENSI_IT1_SK_EESK_T_
    .private_segment_fixed_size: 0
    .sgpr_count:     42
    .sgpr_spill_count: 0
    .symbol:         _ZN2at4cuda12_GLOBAL__N_121kernelPointwiseApply2IZNS_6native9templates4cuda28bernoulli_tensor_cuda_kernelIN3c108BFloat16EfEEvRKNS_10TensorBaseESB_NS_15PhiloxCudaStateEEUliRS8_SD_SD_SD_RKfSF_SF_SF_E_S8_SE_jLi2ELin1ELi4ELi512ELi2EEEvNS0_6detail10TensorInfoIT0_T2_EENSI_IT1_SK_EESK_T_.kd
    .uniform_work_group_size: 1
    .uses_dynamic_stack: false
    .vgpr_count:     41
    .vgpr_spill_count: 0
    .wavefront_size: 32
    .workgroup_processor_mode: 1
  - .args:
      - .offset:         0
        .size:           216
        .value_kind:     by_value
      - .offset:         216
        .size:           216
        .value_kind:     by_value
      - .offset:         432
        .size:           4
        .value_kind:     by_value
      - .offset:         440
        .size:           32
        .value_kind:     by_value
      - .offset:         472
        .size:           4
        .value_kind:     hidden_block_count_x
      - .offset:         476
        .size:           4
        .value_kind:     hidden_block_count_y
      - .offset:         480
        .size:           4
        .value_kind:     hidden_block_count_z
      - .offset:         484
        .size:           2
        .value_kind:     hidden_group_size_x
      - .offset:         486
        .size:           2
        .value_kind:     hidden_group_size_y
      - .offset:         488
        .size:           2
        .value_kind:     hidden_group_size_z
      - .offset:         490
        .size:           2
        .value_kind:     hidden_remainder_x
      - .offset:         492
        .size:           2
        .value_kind:     hidden_remainder_y
      - .offset:         494
        .size:           2
        .value_kind:     hidden_remainder_z
      - .offset:         512
        .size:           8
        .value_kind:     hidden_global_offset_x
      - .offset:         520
        .size:           8
        .value_kind:     hidden_global_offset_y
      - .offset:         528
        .size:           8
        .value_kind:     hidden_global_offset_z
      - .offset:         536
        .size:           2
        .value_kind:     hidden_grid_dims
    .group_segment_fixed_size: 0
    .kernarg_segment_align: 8
    .kernarg_segment_size: 728
    .language:       OpenCL C
    .language_version:
      - 2
      - 0
    .max_flat_workgroup_size: 512
    .name:           _ZN2at4cuda12_GLOBAL__N_121kernelPointwiseApply2IZNS_6native9templates4cuda28bernoulli_tensor_cuda_kernelIN3c108BFloat16EfEEvRKNS_10TensorBaseESB_NS_15PhiloxCudaStateEEUliRS8_SD_SD_SD_RKfSF_SF_SF_E_S8_SE_jLin1ELi1ELi4ELi512ELi2EEEvNS0_6detail10TensorInfoIT0_T2_EENSI_IT1_SK_EESK_T_
    .private_segment_fixed_size: 0
    .sgpr_count:     42
    .sgpr_spill_count: 0
    .symbol:         _ZN2at4cuda12_GLOBAL__N_121kernelPointwiseApply2IZNS_6native9templates4cuda28bernoulli_tensor_cuda_kernelIN3c108BFloat16EfEEvRKNS_10TensorBaseESB_NS_15PhiloxCudaStateEEUliRS8_SD_SD_SD_RKfSF_SF_SF_E_S8_SE_jLin1ELi1ELi4ELi512ELi2EEEvNS0_6detail10TensorInfoIT0_T2_EENSI_IT1_SK_EESK_T_.kd
    .uniform_work_group_size: 1
    .uses_dynamic_stack: false
    .vgpr_count:     41
    .vgpr_spill_count: 0
    .wavefront_size: 32
    .workgroup_processor_mode: 1
  - .args:
      - .offset:         0
        .size:           216
        .value_kind:     by_value
      - .offset:         216
        .size:           216
        .value_kind:     by_value
      - .offset:         432
        .size:           4
        .value_kind:     by_value
      - .offset:         440
        .size:           32
        .value_kind:     by_value
      - .offset:         472
        .size:           4
        .value_kind:     hidden_block_count_x
      - .offset:         476
        .size:           4
        .value_kind:     hidden_block_count_y
      - .offset:         480
        .size:           4
        .value_kind:     hidden_block_count_z
      - .offset:         484
        .size:           2
        .value_kind:     hidden_group_size_x
      - .offset:         486
        .size:           2
        .value_kind:     hidden_group_size_y
      - .offset:         488
        .size:           2
        .value_kind:     hidden_group_size_z
      - .offset:         490
        .size:           2
        .value_kind:     hidden_remainder_x
      - .offset:         492
        .size:           2
        .value_kind:     hidden_remainder_y
      - .offset:         494
        .size:           2
        .value_kind:     hidden_remainder_z
      - .offset:         512
        .size:           8
        .value_kind:     hidden_global_offset_x
      - .offset:         520
        .size:           8
        .value_kind:     hidden_global_offset_y
      - .offset:         528
        .size:           8
        .value_kind:     hidden_global_offset_z
      - .offset:         536
        .size:           2
        .value_kind:     hidden_grid_dims
    .group_segment_fixed_size: 0
    .kernarg_segment_align: 8
    .kernarg_segment_size: 728
    .language:       OpenCL C
    .language_version:
      - 2
      - 0
    .max_flat_workgroup_size: 512
    .name:           _ZN2at4cuda12_GLOBAL__N_121kernelPointwiseApply2IZNS_6native9templates4cuda28bernoulli_tensor_cuda_kernelIN3c108BFloat16EfEEvRKNS_10TensorBaseESB_NS_15PhiloxCudaStateEEUliRS8_SD_SD_SD_RKfSF_SF_SF_E_S8_SE_jLin1ELi2ELi4ELi512ELi2EEEvNS0_6detail10TensorInfoIT0_T2_EENSI_IT1_SK_EESK_T_
    .private_segment_fixed_size: 0
    .sgpr_count:     42
    .sgpr_spill_count: 0
    .symbol:         _ZN2at4cuda12_GLOBAL__N_121kernelPointwiseApply2IZNS_6native9templates4cuda28bernoulli_tensor_cuda_kernelIN3c108BFloat16EfEEvRKNS_10TensorBaseESB_NS_15PhiloxCudaStateEEUliRS8_SD_SD_SD_RKfSF_SF_SF_E_S8_SE_jLin1ELi2ELi4ELi512ELi2EEEvNS0_6detail10TensorInfoIT0_T2_EENSI_IT1_SK_EESK_T_.kd
    .uniform_work_group_size: 1
    .uses_dynamic_stack: false
    .vgpr_count:     42
    .vgpr_spill_count: 0
    .wavefront_size: 32
    .workgroup_processor_mode: 1
  - .args:
      - .offset:         0
        .size:           216
        .value_kind:     by_value
      - .offset:         216
        .size:           216
        .value_kind:     by_value
      - .offset:         432
        .size:           4
        .value_kind:     by_value
      - .offset:         440
        .size:           32
        .value_kind:     by_value
      - .offset:         472
        .size:           4
        .value_kind:     hidden_block_count_x
      - .offset:         476
        .size:           4
        .value_kind:     hidden_block_count_y
      - .offset:         480
        .size:           4
        .value_kind:     hidden_block_count_z
      - .offset:         484
        .size:           2
        .value_kind:     hidden_group_size_x
      - .offset:         486
        .size:           2
        .value_kind:     hidden_group_size_y
      - .offset:         488
        .size:           2
        .value_kind:     hidden_group_size_z
      - .offset:         490
        .size:           2
        .value_kind:     hidden_remainder_x
      - .offset:         492
        .size:           2
        .value_kind:     hidden_remainder_y
      - .offset:         494
        .size:           2
        .value_kind:     hidden_remainder_z
      - .offset:         512
        .size:           8
        .value_kind:     hidden_global_offset_x
      - .offset:         520
        .size:           8
        .value_kind:     hidden_global_offset_y
      - .offset:         528
        .size:           8
        .value_kind:     hidden_global_offset_z
      - .offset:         536
        .size:           2
        .value_kind:     hidden_grid_dims
    .group_segment_fixed_size: 0
    .kernarg_segment_align: 8
    .kernarg_segment_size: 728
    .language:       OpenCL C
    .language_version:
      - 2
      - 0
    .max_flat_workgroup_size: 512
    .name:           _ZN2at4cuda12_GLOBAL__N_121kernelPointwiseApply2IZNS_6native9templates4cuda28bernoulli_tensor_cuda_kernelIN3c108BFloat16EfEEvRKNS_10TensorBaseESB_NS_15PhiloxCudaStateEEUliRS8_SD_SD_SD_RKfSF_SF_SF_E_S8_SE_jLin1ELin1ELi4ELi512ELi2EEEvNS0_6detail10TensorInfoIT0_T2_EENSI_IT1_SK_EESK_T_
    .private_segment_fixed_size: 0
    .sgpr_count:     44
    .sgpr_spill_count: 0
    .symbol:         _ZN2at4cuda12_GLOBAL__N_121kernelPointwiseApply2IZNS_6native9templates4cuda28bernoulli_tensor_cuda_kernelIN3c108BFloat16EfEEvRKNS_10TensorBaseESB_NS_15PhiloxCudaStateEEUliRS8_SD_SD_SD_RKfSF_SF_SF_E_S8_SE_jLin1ELin1ELi4ELi512ELi2EEEvNS0_6detail10TensorInfoIT0_T2_EENSI_IT1_SK_EESK_T_.kd
    .uniform_work_group_size: 1
    .uses_dynamic_stack: false
    .vgpr_count:     40
    .vgpr_spill_count: 0
    .wavefront_size: 32
    .workgroup_processor_mode: 1
  - .args:
      - .offset:         0
        .size:           416
        .value_kind:     by_value
      - .offset:         416
        .size:           416
        .value_kind:     by_value
      - .offset:         832
        .size:           8
        .value_kind:     by_value
      - .offset:         840
        .size:           32
        .value_kind:     by_value
      - .offset:         872
        .size:           4
        .value_kind:     hidden_block_count_x
      - .offset:         876
        .size:           4
        .value_kind:     hidden_block_count_y
      - .offset:         880
        .size:           4
        .value_kind:     hidden_block_count_z
      - .offset:         884
        .size:           2
        .value_kind:     hidden_group_size_x
      - .offset:         886
        .size:           2
        .value_kind:     hidden_group_size_y
      - .offset:         888
        .size:           2
        .value_kind:     hidden_group_size_z
      - .offset:         890
        .size:           2
        .value_kind:     hidden_remainder_x
      - .offset:         892
        .size:           2
        .value_kind:     hidden_remainder_y
      - .offset:         894
        .size:           2
        .value_kind:     hidden_remainder_z
      - .offset:         912
        .size:           8
        .value_kind:     hidden_global_offset_x
      - .offset:         920
        .size:           8
        .value_kind:     hidden_global_offset_y
      - .offset:         928
        .size:           8
        .value_kind:     hidden_global_offset_z
      - .offset:         936
        .size:           2
        .value_kind:     hidden_grid_dims
    .group_segment_fixed_size: 0
    .kernarg_segment_align: 8
    .kernarg_segment_size: 1128
    .language:       OpenCL C
    .language_version:
      - 2
      - 0
    .max_flat_workgroup_size: 512
    .name:           _ZN2at4cuda12_GLOBAL__N_121kernelPointwiseApply2IZNS_6native9templates4cuda28bernoulli_tensor_cuda_kernelIN3c108BFloat16EfEEvRKNS_10TensorBaseESB_NS_15PhiloxCudaStateEEUliRS8_SD_SD_SD_RKfSF_SF_SF_E_S8_SE_mLi1ELi1ELi4ELi512ELi2EEEvNS0_6detail10TensorInfoIT0_T2_EENSI_IT1_SK_EESK_T_
    .private_segment_fixed_size: 0
    .sgpr_count:     45
    .sgpr_spill_count: 0
    .symbol:         _ZN2at4cuda12_GLOBAL__N_121kernelPointwiseApply2IZNS_6native9templates4cuda28bernoulli_tensor_cuda_kernelIN3c108BFloat16EfEEvRKNS_10TensorBaseESB_NS_15PhiloxCudaStateEEUliRS8_SD_SD_SD_RKfSF_SF_SF_E_S8_SE_mLi1ELi1ELi4ELi512ELi2EEEvNS0_6detail10TensorInfoIT0_T2_EENSI_IT1_SK_EESK_T_.kd
    .uniform_work_group_size: 1
    .uses_dynamic_stack: false
    .vgpr_count:     51
    .vgpr_spill_count: 0
    .wavefront_size: 32
    .workgroup_processor_mode: 1
  - .args:
      - .offset:         0
        .size:           416
        .value_kind:     by_value
      - .offset:         416
        .size:           416
        .value_kind:     by_value
      - .offset:         832
        .size:           8
        .value_kind:     by_value
      - .offset:         840
        .size:           32
        .value_kind:     by_value
      - .offset:         872
        .size:           4
        .value_kind:     hidden_block_count_x
      - .offset:         876
        .size:           4
        .value_kind:     hidden_block_count_y
      - .offset:         880
        .size:           4
        .value_kind:     hidden_block_count_z
      - .offset:         884
        .size:           2
        .value_kind:     hidden_group_size_x
      - .offset:         886
        .size:           2
        .value_kind:     hidden_group_size_y
      - .offset:         888
        .size:           2
        .value_kind:     hidden_group_size_z
      - .offset:         890
        .size:           2
        .value_kind:     hidden_remainder_x
      - .offset:         892
        .size:           2
        .value_kind:     hidden_remainder_y
      - .offset:         894
        .size:           2
        .value_kind:     hidden_remainder_z
      - .offset:         912
        .size:           8
        .value_kind:     hidden_global_offset_x
      - .offset:         920
        .size:           8
        .value_kind:     hidden_global_offset_y
      - .offset:         928
        .size:           8
        .value_kind:     hidden_global_offset_z
      - .offset:         936
        .size:           2
        .value_kind:     hidden_grid_dims
    .group_segment_fixed_size: 0
    .kernarg_segment_align: 8
    .kernarg_segment_size: 1128
    .language:       OpenCL C
    .language_version:
      - 2
      - 0
    .max_flat_workgroup_size: 512
    .name:           _ZN2at4cuda12_GLOBAL__N_121kernelPointwiseApply2IZNS_6native9templates4cuda28bernoulli_tensor_cuda_kernelIN3c108BFloat16EfEEvRKNS_10TensorBaseESB_NS_15PhiloxCudaStateEEUliRS8_SD_SD_SD_RKfSF_SF_SF_E_S8_SE_mLin1ELin1ELi4ELi512ELi2EEEvNS0_6detail10TensorInfoIT0_T2_EENSI_IT1_SK_EESK_T_
    .private_segment_fixed_size: 0
    .sgpr_count:     48
    .sgpr_spill_count: 0
    .symbol:         _ZN2at4cuda12_GLOBAL__N_121kernelPointwiseApply2IZNS_6native9templates4cuda28bernoulli_tensor_cuda_kernelIN3c108BFloat16EfEEvRKNS_10TensorBaseESB_NS_15PhiloxCudaStateEEUliRS8_SD_SD_SD_RKfSF_SF_SF_E_S8_SE_mLin1ELin1ELi4ELi512ELi2EEEvNS0_6detail10TensorInfoIT0_T2_EENSI_IT1_SK_EESK_T_.kd
    .uniform_work_group_size: 1
    .uses_dynamic_stack: false
    .vgpr_count:     44
    .vgpr_spill_count: 0
    .wavefront_size: 32
    .workgroup_processor_mode: 1
  - .args:
      - .offset:         0
        .size:           216
        .value_kind:     by_value
      - .offset:         216
        .size:           216
        .value_kind:     by_value
      - .offset:         432
        .size:           4
        .value_kind:     by_value
      - .offset:         440
        .size:           32
        .value_kind:     by_value
      - .offset:         472
        .size:           4
        .value_kind:     hidden_block_count_x
      - .offset:         476
        .size:           4
        .value_kind:     hidden_block_count_y
      - .offset:         480
        .size:           4
        .value_kind:     hidden_block_count_z
      - .offset:         484
        .size:           2
        .value_kind:     hidden_group_size_x
      - .offset:         486
        .size:           2
        .value_kind:     hidden_group_size_y
      - .offset:         488
        .size:           2
        .value_kind:     hidden_group_size_z
      - .offset:         490
        .size:           2
        .value_kind:     hidden_remainder_x
      - .offset:         492
        .size:           2
        .value_kind:     hidden_remainder_y
      - .offset:         494
        .size:           2
        .value_kind:     hidden_remainder_z
      - .offset:         512
        .size:           8
        .value_kind:     hidden_global_offset_x
      - .offset:         520
        .size:           8
        .value_kind:     hidden_global_offset_y
      - .offset:         528
        .size:           8
        .value_kind:     hidden_global_offset_z
      - .offset:         536
        .size:           2
        .value_kind:     hidden_grid_dims
    .group_segment_fixed_size: 0
    .kernarg_segment_align: 8
    .kernarg_segment_size: 728
    .language:       OpenCL C
    .language_version:
      - 2
      - 0
    .max_flat_workgroup_size: 512
    .name:           _ZN2at4cuda12_GLOBAL__N_121kernelPointwiseApply2IZNS_6native9templates4cuda28bernoulli_tensor_cuda_kernelIbfEEvRKNS_10TensorBaseES9_NS_15PhiloxCudaStateEEUliRbSB_SB_SB_RKfSD_SD_SD_E_bSC_jLi1ELi1ELi4ELi512ELi2EEEvNS0_6detail10TensorInfoIT0_T2_EENSG_IT1_SI_EESI_T_
    .private_segment_fixed_size: 0
    .sgpr_count:     40
    .sgpr_spill_count: 0
    .symbol:         _ZN2at4cuda12_GLOBAL__N_121kernelPointwiseApply2IZNS_6native9templates4cuda28bernoulli_tensor_cuda_kernelIbfEEvRKNS_10TensorBaseES9_NS_15PhiloxCudaStateEEUliRbSB_SB_SB_RKfSD_SD_SD_E_bSC_jLi1ELi1ELi4ELi512ELi2EEEvNS0_6detail10TensorInfoIT0_T2_EENSG_IT1_SI_EESI_T_.kd
    .uniform_work_group_size: 1
    .uses_dynamic_stack: false
    .vgpr_count:     43
    .vgpr_spill_count: 0
    .wavefront_size: 32
    .workgroup_processor_mode: 1
  - .args:
      - .offset:         0
        .size:           216
        .value_kind:     by_value
      - .offset:         216
        .size:           216
        .value_kind:     by_value
      - .offset:         432
        .size:           4
        .value_kind:     by_value
      - .offset:         440
        .size:           32
        .value_kind:     by_value
      - .offset:         472
        .size:           4
        .value_kind:     hidden_block_count_x
      - .offset:         476
        .size:           4
        .value_kind:     hidden_block_count_y
      - .offset:         480
        .size:           4
        .value_kind:     hidden_block_count_z
      - .offset:         484
        .size:           2
        .value_kind:     hidden_group_size_x
      - .offset:         486
        .size:           2
        .value_kind:     hidden_group_size_y
      - .offset:         488
        .size:           2
        .value_kind:     hidden_group_size_z
      - .offset:         490
        .size:           2
        .value_kind:     hidden_remainder_x
      - .offset:         492
        .size:           2
        .value_kind:     hidden_remainder_y
      - .offset:         494
        .size:           2
        .value_kind:     hidden_remainder_z
      - .offset:         512
        .size:           8
        .value_kind:     hidden_global_offset_x
      - .offset:         520
        .size:           8
        .value_kind:     hidden_global_offset_y
      - .offset:         528
        .size:           8
        .value_kind:     hidden_global_offset_z
      - .offset:         536
        .size:           2
        .value_kind:     hidden_grid_dims
    .group_segment_fixed_size: 0
    .kernarg_segment_align: 8
    .kernarg_segment_size: 728
    .language:       OpenCL C
    .language_version:
      - 2
      - 0
    .max_flat_workgroup_size: 512
    .name:           _ZN2at4cuda12_GLOBAL__N_121kernelPointwiseApply2IZNS_6native9templates4cuda28bernoulli_tensor_cuda_kernelIbfEEvRKNS_10TensorBaseES9_NS_15PhiloxCudaStateEEUliRbSB_SB_SB_RKfSD_SD_SD_E_bSC_jLi1ELi2ELi4ELi512ELi2EEEvNS0_6detail10TensorInfoIT0_T2_EENSG_IT1_SI_EESI_T_
    .private_segment_fixed_size: 0
    .sgpr_count:     42
    .sgpr_spill_count: 0
    .symbol:         _ZN2at4cuda12_GLOBAL__N_121kernelPointwiseApply2IZNS_6native9templates4cuda28bernoulli_tensor_cuda_kernelIbfEEvRKNS_10TensorBaseES9_NS_15PhiloxCudaStateEEUliRbSB_SB_SB_RKfSD_SD_SD_E_bSC_jLi1ELi2ELi4ELi512ELi2EEEvNS0_6detail10TensorInfoIT0_T2_EENSG_IT1_SI_EESI_T_.kd
    .uniform_work_group_size: 1
    .uses_dynamic_stack: false
    .vgpr_count:     42
    .vgpr_spill_count: 0
    .wavefront_size: 32
    .workgroup_processor_mode: 1
  - .args:
      - .offset:         0
        .size:           216
        .value_kind:     by_value
      - .offset:         216
        .size:           216
        .value_kind:     by_value
      - .offset:         432
        .size:           4
        .value_kind:     by_value
      - .offset:         440
        .size:           32
        .value_kind:     by_value
      - .offset:         472
        .size:           4
        .value_kind:     hidden_block_count_x
      - .offset:         476
        .size:           4
        .value_kind:     hidden_block_count_y
      - .offset:         480
        .size:           4
        .value_kind:     hidden_block_count_z
      - .offset:         484
        .size:           2
        .value_kind:     hidden_group_size_x
      - .offset:         486
        .size:           2
        .value_kind:     hidden_group_size_y
      - .offset:         488
        .size:           2
        .value_kind:     hidden_group_size_z
      - .offset:         490
        .size:           2
        .value_kind:     hidden_remainder_x
      - .offset:         492
        .size:           2
        .value_kind:     hidden_remainder_y
      - .offset:         494
        .size:           2
        .value_kind:     hidden_remainder_z
      - .offset:         512
        .size:           8
        .value_kind:     hidden_global_offset_x
      - .offset:         520
        .size:           8
        .value_kind:     hidden_global_offset_y
      - .offset:         528
        .size:           8
        .value_kind:     hidden_global_offset_z
      - .offset:         536
        .size:           2
        .value_kind:     hidden_grid_dims
    .group_segment_fixed_size: 0
    .kernarg_segment_align: 8
    .kernarg_segment_size: 728
    .language:       OpenCL C
    .language_version:
      - 2
      - 0
    .max_flat_workgroup_size: 512
    .name:           _ZN2at4cuda12_GLOBAL__N_121kernelPointwiseApply2IZNS_6native9templates4cuda28bernoulli_tensor_cuda_kernelIbfEEvRKNS_10TensorBaseES9_NS_15PhiloxCudaStateEEUliRbSB_SB_SB_RKfSD_SD_SD_E_bSC_jLi1ELin1ELi4ELi512ELi2EEEvNS0_6detail10TensorInfoIT0_T2_EENSG_IT1_SI_EESI_T_
    .private_segment_fixed_size: 0
    .sgpr_count:     43
    .sgpr_spill_count: 0
    .symbol:         _ZN2at4cuda12_GLOBAL__N_121kernelPointwiseApply2IZNS_6native9templates4cuda28bernoulli_tensor_cuda_kernelIbfEEvRKNS_10TensorBaseES9_NS_15PhiloxCudaStateEEUliRbSB_SB_SB_RKfSD_SD_SD_E_bSC_jLi1ELin1ELi4ELi512ELi2EEEvNS0_6detail10TensorInfoIT0_T2_EENSG_IT1_SI_EESI_T_.kd
    .uniform_work_group_size: 1
    .uses_dynamic_stack: false
    .vgpr_count:     39
    .vgpr_spill_count: 0
    .wavefront_size: 32
    .workgroup_processor_mode: 1
  - .args:
      - .offset:         0
        .size:           216
        .value_kind:     by_value
      - .offset:         216
        .size:           216
        .value_kind:     by_value
      - .offset:         432
        .size:           4
        .value_kind:     by_value
      - .offset:         440
        .size:           32
        .value_kind:     by_value
      - .offset:         472
        .size:           4
        .value_kind:     hidden_block_count_x
      - .offset:         476
        .size:           4
        .value_kind:     hidden_block_count_y
      - .offset:         480
        .size:           4
        .value_kind:     hidden_block_count_z
      - .offset:         484
        .size:           2
        .value_kind:     hidden_group_size_x
      - .offset:         486
        .size:           2
        .value_kind:     hidden_group_size_y
      - .offset:         488
        .size:           2
        .value_kind:     hidden_group_size_z
      - .offset:         490
        .size:           2
        .value_kind:     hidden_remainder_x
      - .offset:         492
        .size:           2
        .value_kind:     hidden_remainder_y
      - .offset:         494
        .size:           2
        .value_kind:     hidden_remainder_z
      - .offset:         512
        .size:           8
        .value_kind:     hidden_global_offset_x
      - .offset:         520
        .size:           8
        .value_kind:     hidden_global_offset_y
      - .offset:         528
        .size:           8
        .value_kind:     hidden_global_offset_z
      - .offset:         536
        .size:           2
        .value_kind:     hidden_grid_dims
    .group_segment_fixed_size: 0
    .kernarg_segment_align: 8
    .kernarg_segment_size: 728
    .language:       OpenCL C
    .language_version:
      - 2
      - 0
    .max_flat_workgroup_size: 512
    .name:           _ZN2at4cuda12_GLOBAL__N_121kernelPointwiseApply2IZNS_6native9templates4cuda28bernoulli_tensor_cuda_kernelIbfEEvRKNS_10TensorBaseES9_NS_15PhiloxCudaStateEEUliRbSB_SB_SB_RKfSD_SD_SD_E_bSC_jLi2ELi1ELi4ELi512ELi2EEEvNS0_6detail10TensorInfoIT0_T2_EENSG_IT1_SI_EESI_T_
    .private_segment_fixed_size: 0
    .sgpr_count:     40
    .sgpr_spill_count: 0
    .symbol:         _ZN2at4cuda12_GLOBAL__N_121kernelPointwiseApply2IZNS_6native9templates4cuda28bernoulli_tensor_cuda_kernelIbfEEvRKNS_10TensorBaseES9_NS_15PhiloxCudaStateEEUliRbSB_SB_SB_RKfSD_SD_SD_E_bSC_jLi2ELi1ELi4ELi512ELi2EEEvNS0_6detail10TensorInfoIT0_T2_EENSG_IT1_SI_EESI_T_.kd
    .uniform_work_group_size: 1
    .uses_dynamic_stack: false
    .vgpr_count:     48
    .vgpr_spill_count: 0
    .wavefront_size: 32
    .workgroup_processor_mode: 1
  - .args:
      - .offset:         0
        .size:           216
        .value_kind:     by_value
      - .offset:         216
        .size:           216
        .value_kind:     by_value
      - .offset:         432
        .size:           4
        .value_kind:     by_value
      - .offset:         440
        .size:           32
        .value_kind:     by_value
      - .offset:         472
        .size:           4
        .value_kind:     hidden_block_count_x
      - .offset:         476
        .size:           4
        .value_kind:     hidden_block_count_y
      - .offset:         480
        .size:           4
        .value_kind:     hidden_block_count_z
      - .offset:         484
        .size:           2
        .value_kind:     hidden_group_size_x
      - .offset:         486
        .size:           2
        .value_kind:     hidden_group_size_y
      - .offset:         488
        .size:           2
        .value_kind:     hidden_group_size_z
      - .offset:         490
        .size:           2
        .value_kind:     hidden_remainder_x
      - .offset:         492
        .size:           2
        .value_kind:     hidden_remainder_y
      - .offset:         494
        .size:           2
        .value_kind:     hidden_remainder_z
      - .offset:         512
        .size:           8
        .value_kind:     hidden_global_offset_x
      - .offset:         520
        .size:           8
        .value_kind:     hidden_global_offset_y
      - .offset:         528
        .size:           8
        .value_kind:     hidden_global_offset_z
      - .offset:         536
        .size:           2
        .value_kind:     hidden_grid_dims
    .group_segment_fixed_size: 0
    .kernarg_segment_align: 8
    .kernarg_segment_size: 728
    .language:       OpenCL C
    .language_version:
      - 2
      - 0
    .max_flat_workgroup_size: 512
    .name:           _ZN2at4cuda12_GLOBAL__N_121kernelPointwiseApply2IZNS_6native9templates4cuda28bernoulli_tensor_cuda_kernelIbfEEvRKNS_10TensorBaseES9_NS_15PhiloxCudaStateEEUliRbSB_SB_SB_RKfSD_SD_SD_E_bSC_jLi2ELi2ELi4ELi512ELi2EEEvNS0_6detail10TensorInfoIT0_T2_EENSG_IT1_SI_EESI_T_
    .private_segment_fixed_size: 0
    .sgpr_count:     42
    .sgpr_spill_count: 0
    .symbol:         _ZN2at4cuda12_GLOBAL__N_121kernelPointwiseApply2IZNS_6native9templates4cuda28bernoulli_tensor_cuda_kernelIbfEEvRKNS_10TensorBaseES9_NS_15PhiloxCudaStateEEUliRbSB_SB_SB_RKfSD_SD_SD_E_bSC_jLi2ELi2ELi4ELi512ELi2EEEvNS0_6detail10TensorInfoIT0_T2_EENSG_IT1_SI_EESI_T_.kd
    .uniform_work_group_size: 1
    .uses_dynamic_stack: false
    .vgpr_count:     44
    .vgpr_spill_count: 0
    .wavefront_size: 32
    .workgroup_processor_mode: 1
  - .args:
      - .offset:         0
        .size:           216
        .value_kind:     by_value
      - .offset:         216
        .size:           216
        .value_kind:     by_value
      - .offset:         432
        .size:           4
        .value_kind:     by_value
      - .offset:         440
        .size:           32
        .value_kind:     by_value
      - .offset:         472
        .size:           4
        .value_kind:     hidden_block_count_x
      - .offset:         476
        .size:           4
        .value_kind:     hidden_block_count_y
      - .offset:         480
        .size:           4
        .value_kind:     hidden_block_count_z
      - .offset:         484
        .size:           2
        .value_kind:     hidden_group_size_x
      - .offset:         486
        .size:           2
        .value_kind:     hidden_group_size_y
      - .offset:         488
        .size:           2
        .value_kind:     hidden_group_size_z
      - .offset:         490
        .size:           2
        .value_kind:     hidden_remainder_x
      - .offset:         492
        .size:           2
        .value_kind:     hidden_remainder_y
      - .offset:         494
        .size:           2
        .value_kind:     hidden_remainder_z
      - .offset:         512
        .size:           8
        .value_kind:     hidden_global_offset_x
      - .offset:         520
        .size:           8
        .value_kind:     hidden_global_offset_y
      - .offset:         528
        .size:           8
        .value_kind:     hidden_global_offset_z
      - .offset:         536
        .size:           2
        .value_kind:     hidden_grid_dims
    .group_segment_fixed_size: 0
    .kernarg_segment_align: 8
    .kernarg_segment_size: 728
    .language:       OpenCL C
    .language_version:
      - 2
      - 0
    .max_flat_workgroup_size: 512
    .name:           _ZN2at4cuda12_GLOBAL__N_121kernelPointwiseApply2IZNS_6native9templates4cuda28bernoulli_tensor_cuda_kernelIbfEEvRKNS_10TensorBaseES9_NS_15PhiloxCudaStateEEUliRbSB_SB_SB_RKfSD_SD_SD_E_bSC_jLi2ELin1ELi4ELi512ELi2EEEvNS0_6detail10TensorInfoIT0_T2_EENSG_IT1_SI_EESI_T_
    .private_segment_fixed_size: 0
    .sgpr_count:     42
    .sgpr_spill_count: 0
    .symbol:         _ZN2at4cuda12_GLOBAL__N_121kernelPointwiseApply2IZNS_6native9templates4cuda28bernoulli_tensor_cuda_kernelIbfEEvRKNS_10TensorBaseES9_NS_15PhiloxCudaStateEEUliRbSB_SB_SB_RKfSD_SD_SD_E_bSC_jLi2ELin1ELi4ELi512ELi2EEEvNS0_6detail10TensorInfoIT0_T2_EENSG_IT1_SI_EESI_T_.kd
    .uniform_work_group_size: 1
    .uses_dynamic_stack: false
    .vgpr_count:     41
    .vgpr_spill_count: 0
    .wavefront_size: 32
    .workgroup_processor_mode: 1
  - .args:
      - .offset:         0
        .size:           216
        .value_kind:     by_value
      - .offset:         216
        .size:           216
        .value_kind:     by_value
      - .offset:         432
        .size:           4
        .value_kind:     by_value
      - .offset:         440
        .size:           32
        .value_kind:     by_value
      - .offset:         472
        .size:           4
        .value_kind:     hidden_block_count_x
      - .offset:         476
        .size:           4
        .value_kind:     hidden_block_count_y
      - .offset:         480
        .size:           4
        .value_kind:     hidden_block_count_z
      - .offset:         484
        .size:           2
        .value_kind:     hidden_group_size_x
      - .offset:         486
        .size:           2
        .value_kind:     hidden_group_size_y
      - .offset:         488
        .size:           2
        .value_kind:     hidden_group_size_z
      - .offset:         490
        .size:           2
        .value_kind:     hidden_remainder_x
      - .offset:         492
        .size:           2
        .value_kind:     hidden_remainder_y
      - .offset:         494
        .size:           2
        .value_kind:     hidden_remainder_z
      - .offset:         512
        .size:           8
        .value_kind:     hidden_global_offset_x
      - .offset:         520
        .size:           8
        .value_kind:     hidden_global_offset_y
      - .offset:         528
        .size:           8
        .value_kind:     hidden_global_offset_z
      - .offset:         536
        .size:           2
        .value_kind:     hidden_grid_dims
    .group_segment_fixed_size: 0
    .kernarg_segment_align: 8
    .kernarg_segment_size: 728
    .language:       OpenCL C
    .language_version:
      - 2
      - 0
    .max_flat_workgroup_size: 512
    .name:           _ZN2at4cuda12_GLOBAL__N_121kernelPointwiseApply2IZNS_6native9templates4cuda28bernoulli_tensor_cuda_kernelIbfEEvRKNS_10TensorBaseES9_NS_15PhiloxCudaStateEEUliRbSB_SB_SB_RKfSD_SD_SD_E_bSC_jLin1ELi1ELi4ELi512ELi2EEEvNS0_6detail10TensorInfoIT0_T2_EENSG_IT1_SI_EESI_T_
    .private_segment_fixed_size: 0
    .sgpr_count:     42
    .sgpr_spill_count: 0
    .symbol:         _ZN2at4cuda12_GLOBAL__N_121kernelPointwiseApply2IZNS_6native9templates4cuda28bernoulli_tensor_cuda_kernelIbfEEvRKNS_10TensorBaseES9_NS_15PhiloxCudaStateEEUliRbSB_SB_SB_RKfSD_SD_SD_E_bSC_jLin1ELi1ELi4ELi512ELi2EEEvNS0_6detail10TensorInfoIT0_T2_EENSG_IT1_SI_EESI_T_.kd
    .uniform_work_group_size: 1
    .uses_dynamic_stack: false
    .vgpr_count:     41
    .vgpr_spill_count: 0
    .wavefront_size: 32
    .workgroup_processor_mode: 1
  - .args:
      - .offset:         0
        .size:           216
        .value_kind:     by_value
      - .offset:         216
        .size:           216
        .value_kind:     by_value
      - .offset:         432
        .size:           4
        .value_kind:     by_value
      - .offset:         440
        .size:           32
        .value_kind:     by_value
      - .offset:         472
        .size:           4
        .value_kind:     hidden_block_count_x
      - .offset:         476
        .size:           4
        .value_kind:     hidden_block_count_y
      - .offset:         480
        .size:           4
        .value_kind:     hidden_block_count_z
      - .offset:         484
        .size:           2
        .value_kind:     hidden_group_size_x
      - .offset:         486
        .size:           2
        .value_kind:     hidden_group_size_y
      - .offset:         488
        .size:           2
        .value_kind:     hidden_group_size_z
      - .offset:         490
        .size:           2
        .value_kind:     hidden_remainder_x
      - .offset:         492
        .size:           2
        .value_kind:     hidden_remainder_y
      - .offset:         494
        .size:           2
        .value_kind:     hidden_remainder_z
      - .offset:         512
        .size:           8
        .value_kind:     hidden_global_offset_x
      - .offset:         520
        .size:           8
        .value_kind:     hidden_global_offset_y
      - .offset:         528
        .size:           8
        .value_kind:     hidden_global_offset_z
      - .offset:         536
        .size:           2
        .value_kind:     hidden_grid_dims
    .group_segment_fixed_size: 0
    .kernarg_segment_align: 8
    .kernarg_segment_size: 728
    .language:       OpenCL C
    .language_version:
      - 2
      - 0
    .max_flat_workgroup_size: 512
    .name:           _ZN2at4cuda12_GLOBAL__N_121kernelPointwiseApply2IZNS_6native9templates4cuda28bernoulli_tensor_cuda_kernelIbfEEvRKNS_10TensorBaseES9_NS_15PhiloxCudaStateEEUliRbSB_SB_SB_RKfSD_SD_SD_E_bSC_jLin1ELi2ELi4ELi512ELi2EEEvNS0_6detail10TensorInfoIT0_T2_EENSG_IT1_SI_EESI_T_
    .private_segment_fixed_size: 0
    .sgpr_count:     42
    .sgpr_spill_count: 0
    .symbol:         _ZN2at4cuda12_GLOBAL__N_121kernelPointwiseApply2IZNS_6native9templates4cuda28bernoulli_tensor_cuda_kernelIbfEEvRKNS_10TensorBaseES9_NS_15PhiloxCudaStateEEUliRbSB_SB_SB_RKfSD_SD_SD_E_bSC_jLin1ELi2ELi4ELi512ELi2EEEvNS0_6detail10TensorInfoIT0_T2_EENSG_IT1_SI_EESI_T_.kd
    .uniform_work_group_size: 1
    .uses_dynamic_stack: false
    .vgpr_count:     42
    .vgpr_spill_count: 0
    .wavefront_size: 32
    .workgroup_processor_mode: 1
  - .args:
      - .offset:         0
        .size:           216
        .value_kind:     by_value
      - .offset:         216
        .size:           216
        .value_kind:     by_value
      - .offset:         432
        .size:           4
        .value_kind:     by_value
      - .offset:         440
        .size:           32
        .value_kind:     by_value
      - .offset:         472
        .size:           4
        .value_kind:     hidden_block_count_x
      - .offset:         476
        .size:           4
        .value_kind:     hidden_block_count_y
      - .offset:         480
        .size:           4
        .value_kind:     hidden_block_count_z
      - .offset:         484
        .size:           2
        .value_kind:     hidden_group_size_x
      - .offset:         486
        .size:           2
        .value_kind:     hidden_group_size_y
      - .offset:         488
        .size:           2
        .value_kind:     hidden_group_size_z
      - .offset:         490
        .size:           2
        .value_kind:     hidden_remainder_x
      - .offset:         492
        .size:           2
        .value_kind:     hidden_remainder_y
      - .offset:         494
        .size:           2
        .value_kind:     hidden_remainder_z
      - .offset:         512
        .size:           8
        .value_kind:     hidden_global_offset_x
      - .offset:         520
        .size:           8
        .value_kind:     hidden_global_offset_y
      - .offset:         528
        .size:           8
        .value_kind:     hidden_global_offset_z
      - .offset:         536
        .size:           2
        .value_kind:     hidden_grid_dims
    .group_segment_fixed_size: 0
    .kernarg_segment_align: 8
    .kernarg_segment_size: 728
    .language:       OpenCL C
    .language_version:
      - 2
      - 0
    .max_flat_workgroup_size: 512
    .name:           _ZN2at4cuda12_GLOBAL__N_121kernelPointwiseApply2IZNS_6native9templates4cuda28bernoulli_tensor_cuda_kernelIbfEEvRKNS_10TensorBaseES9_NS_15PhiloxCudaStateEEUliRbSB_SB_SB_RKfSD_SD_SD_E_bSC_jLin1ELin1ELi4ELi512ELi2EEEvNS0_6detail10TensorInfoIT0_T2_EENSG_IT1_SI_EESI_T_
    .private_segment_fixed_size: 0
    .sgpr_count:     44
    .sgpr_spill_count: 0
    .symbol:         _ZN2at4cuda12_GLOBAL__N_121kernelPointwiseApply2IZNS_6native9templates4cuda28bernoulli_tensor_cuda_kernelIbfEEvRKNS_10TensorBaseES9_NS_15PhiloxCudaStateEEUliRbSB_SB_SB_RKfSD_SD_SD_E_bSC_jLin1ELin1ELi4ELi512ELi2EEEvNS0_6detail10TensorInfoIT0_T2_EENSG_IT1_SI_EESI_T_.kd
    .uniform_work_group_size: 1
    .uses_dynamic_stack: false
    .vgpr_count:     40
    .vgpr_spill_count: 0
    .wavefront_size: 32
    .workgroup_processor_mode: 1
  - .args:
      - .offset:         0
        .size:           416
        .value_kind:     by_value
      - .offset:         416
        .size:           416
        .value_kind:     by_value
      - .offset:         832
        .size:           8
        .value_kind:     by_value
      - .offset:         840
        .size:           32
        .value_kind:     by_value
      - .offset:         872
        .size:           4
        .value_kind:     hidden_block_count_x
      - .offset:         876
        .size:           4
        .value_kind:     hidden_block_count_y
      - .offset:         880
        .size:           4
        .value_kind:     hidden_block_count_z
      - .offset:         884
        .size:           2
        .value_kind:     hidden_group_size_x
      - .offset:         886
        .size:           2
        .value_kind:     hidden_group_size_y
      - .offset:         888
        .size:           2
        .value_kind:     hidden_group_size_z
      - .offset:         890
        .size:           2
        .value_kind:     hidden_remainder_x
      - .offset:         892
        .size:           2
        .value_kind:     hidden_remainder_y
      - .offset:         894
        .size:           2
        .value_kind:     hidden_remainder_z
      - .offset:         912
        .size:           8
        .value_kind:     hidden_global_offset_x
      - .offset:         920
        .size:           8
        .value_kind:     hidden_global_offset_y
      - .offset:         928
        .size:           8
        .value_kind:     hidden_global_offset_z
      - .offset:         936
        .size:           2
        .value_kind:     hidden_grid_dims
    .group_segment_fixed_size: 0
    .kernarg_segment_align: 8
    .kernarg_segment_size: 1128
    .language:       OpenCL C
    .language_version:
      - 2
      - 0
    .max_flat_workgroup_size: 512
    .name:           _ZN2at4cuda12_GLOBAL__N_121kernelPointwiseApply2IZNS_6native9templates4cuda28bernoulli_tensor_cuda_kernelIbfEEvRKNS_10TensorBaseES9_NS_15PhiloxCudaStateEEUliRbSB_SB_SB_RKfSD_SD_SD_E_bSC_mLi1ELi1ELi4ELi512ELi2EEEvNS0_6detail10TensorInfoIT0_T2_EENSG_IT1_SI_EESI_T_
    .private_segment_fixed_size: 0
    .sgpr_count:     45
    .sgpr_spill_count: 0
    .symbol:         _ZN2at4cuda12_GLOBAL__N_121kernelPointwiseApply2IZNS_6native9templates4cuda28bernoulli_tensor_cuda_kernelIbfEEvRKNS_10TensorBaseES9_NS_15PhiloxCudaStateEEUliRbSB_SB_SB_RKfSD_SD_SD_E_bSC_mLi1ELi1ELi4ELi512ELi2EEEvNS0_6detail10TensorInfoIT0_T2_EENSG_IT1_SI_EESI_T_.kd
    .uniform_work_group_size: 1
    .uses_dynamic_stack: false
    .vgpr_count:     51
    .vgpr_spill_count: 0
    .wavefront_size: 32
    .workgroup_processor_mode: 1
  - .args:
      - .offset:         0
        .size:           416
        .value_kind:     by_value
      - .offset:         416
        .size:           416
        .value_kind:     by_value
      - .offset:         832
        .size:           8
        .value_kind:     by_value
      - .offset:         840
        .size:           32
        .value_kind:     by_value
      - .offset:         872
        .size:           4
        .value_kind:     hidden_block_count_x
      - .offset:         876
        .size:           4
        .value_kind:     hidden_block_count_y
      - .offset:         880
        .size:           4
        .value_kind:     hidden_block_count_z
      - .offset:         884
        .size:           2
        .value_kind:     hidden_group_size_x
      - .offset:         886
        .size:           2
        .value_kind:     hidden_group_size_y
      - .offset:         888
        .size:           2
        .value_kind:     hidden_group_size_z
      - .offset:         890
        .size:           2
        .value_kind:     hidden_remainder_x
      - .offset:         892
        .size:           2
        .value_kind:     hidden_remainder_y
      - .offset:         894
        .size:           2
        .value_kind:     hidden_remainder_z
      - .offset:         912
        .size:           8
        .value_kind:     hidden_global_offset_x
      - .offset:         920
        .size:           8
        .value_kind:     hidden_global_offset_y
      - .offset:         928
        .size:           8
        .value_kind:     hidden_global_offset_z
      - .offset:         936
        .size:           2
        .value_kind:     hidden_grid_dims
    .group_segment_fixed_size: 0
    .kernarg_segment_align: 8
    .kernarg_segment_size: 1128
    .language:       OpenCL C
    .language_version:
      - 2
      - 0
    .max_flat_workgroup_size: 512
    .name:           _ZN2at4cuda12_GLOBAL__N_121kernelPointwiseApply2IZNS_6native9templates4cuda28bernoulli_tensor_cuda_kernelIbfEEvRKNS_10TensorBaseES9_NS_15PhiloxCudaStateEEUliRbSB_SB_SB_RKfSD_SD_SD_E_bSC_mLin1ELin1ELi4ELi512ELi2EEEvNS0_6detail10TensorInfoIT0_T2_EENSG_IT1_SI_EESI_T_
    .private_segment_fixed_size: 0
    .sgpr_count:     48
    .sgpr_spill_count: 0
    .symbol:         _ZN2at4cuda12_GLOBAL__N_121kernelPointwiseApply2IZNS_6native9templates4cuda28bernoulli_tensor_cuda_kernelIbfEEvRKNS_10TensorBaseES9_NS_15PhiloxCudaStateEEUliRbSB_SB_SB_RKfSD_SD_SD_E_bSC_mLin1ELin1ELi4ELi512ELi2EEEvNS0_6detail10TensorInfoIT0_T2_EENSG_IT1_SI_EESI_T_.kd
    .uniform_work_group_size: 1
    .uses_dynamic_stack: false
    .vgpr_count:     44
    .vgpr_spill_count: 0
    .wavefront_size: 32
    .workgroup_processor_mode: 1
  - .args:
      - .offset:         0
        .size:           8
        .value_kind:     by_value
      - .offset:         8
        .size:           32
        .value_kind:     by_value
      - .offset:         40
        .size:           1
        .value_kind:     by_value
      - .offset:         48
        .size:           24
        .value_kind:     by_value
      - .offset:         72
        .size:           4
        .value_kind:     hidden_block_count_x
      - .offset:         76
        .size:           4
        .value_kind:     hidden_block_count_y
      - .offset:         80
        .size:           4
        .value_kind:     hidden_block_count_z
      - .offset:         84
        .size:           2
        .value_kind:     hidden_group_size_x
      - .offset:         86
        .size:           2
        .value_kind:     hidden_group_size_y
      - .offset:         88
        .size:           2
        .value_kind:     hidden_group_size_z
      - .offset:         90
        .size:           2
        .value_kind:     hidden_remainder_x
      - .offset:         92
        .size:           2
        .value_kind:     hidden_remainder_y
      - .offset:         94
        .size:           2
        .value_kind:     hidden_remainder_z
      - .offset:         112
        .size:           8
        .value_kind:     hidden_global_offset_x
      - .offset:         120
        .size:           8
        .value_kind:     hidden_global_offset_y
      - .offset:         128
        .size:           8
        .value_kind:     hidden_global_offset_z
      - .offset:         136
        .size:           2
        .value_kind:     hidden_grid_dims
    .group_segment_fixed_size: 0
    .kernarg_segment_align: 8
    .kernarg_segment_size: 328
    .language:       OpenCL C
    .language_version:
      - 2
      - 0
    .max_flat_workgroup_size: 256
    .name:           _ZN2at6native12_GLOBAL__N_143distribution_elementwise_grid_stride_kernelIfLi4EZNS0_9templates4cuda21uniform_and_transformIhfPNS_17CUDAGeneratorImplEZZZNS4_16bernoulli_kernelIS7_EEvRNS_18TensorIteratorBaseEdT_ENKUlvE_clEvENKUlvE_clEvEUlfE_EEvSA_T1_T2_EUlP25hiprandStatePhilox4_32_10E_ZNS1_27distribution_nullary_kernelIhf15HIP_vector_typeIdLj2EES7_SJ_SE_EEvSA_SG_RKT3_T4_EUlifE_EEvlNS_15PhiloxCudaStateESF_SG_
    .private_segment_fixed_size: 0
    .sgpr_count:     25
    .sgpr_spill_count: 0
    .symbol:         _ZN2at6native12_GLOBAL__N_143distribution_elementwise_grid_stride_kernelIfLi4EZNS0_9templates4cuda21uniform_and_transformIhfPNS_17CUDAGeneratorImplEZZZNS4_16bernoulli_kernelIS7_EEvRNS_18TensorIteratorBaseEdT_ENKUlvE_clEvENKUlvE_clEvEUlfE_EEvSA_T1_T2_EUlP25hiprandStatePhilox4_32_10E_ZNS1_27distribution_nullary_kernelIhf15HIP_vector_typeIdLj2EES7_SJ_SE_EEvSA_SG_RKT3_T4_EUlifE_EEvlNS_15PhiloxCudaStateESF_SG_.kd
    .uniform_work_group_size: 1
    .uses_dynamic_stack: false
    .vgpr_count:     43
    .vgpr_spill_count: 0
    .wavefront_size: 32
    .workgroup_processor_mode: 1
  - .args:
      - .offset:         0
        .size:           8
        .value_kind:     by_value
      - .offset:         8
        .size:           32
        .value_kind:     by_value
      - .offset:         40
        .size:           1
        .value_kind:     by_value
      - .offset:         48
        .size:           280
        .value_kind:     by_value
      - .offset:         328
        .size:           4
        .value_kind:     hidden_block_count_x
      - .offset:         332
        .size:           4
        .value_kind:     hidden_block_count_y
      - .offset:         336
        .size:           4
        .value_kind:     hidden_block_count_z
      - .offset:         340
        .size:           2
        .value_kind:     hidden_group_size_x
      - .offset:         342
        .size:           2
        .value_kind:     hidden_group_size_y
      - .offset:         344
        .size:           2
        .value_kind:     hidden_group_size_z
      - .offset:         346
        .size:           2
        .value_kind:     hidden_remainder_x
      - .offset:         348
        .size:           2
        .value_kind:     hidden_remainder_y
      - .offset:         350
        .size:           2
        .value_kind:     hidden_remainder_z
      - .offset:         368
        .size:           8
        .value_kind:     hidden_global_offset_x
      - .offset:         376
        .size:           8
        .value_kind:     hidden_global_offset_y
      - .offset:         384
        .size:           8
        .value_kind:     hidden_global_offset_z
      - .offset:         392
        .size:           2
        .value_kind:     hidden_grid_dims
    .group_segment_fixed_size: 0
    .kernarg_segment_align: 8
    .kernarg_segment_size: 584
    .language:       OpenCL C
    .language_version:
      - 2
      - 0
    .max_flat_workgroup_size: 256
    .name:           _ZN2at6native12_GLOBAL__N_143distribution_elementwise_grid_stride_kernelIfLi4EZNS0_9templates4cuda21uniform_and_transformIhfPNS_17CUDAGeneratorImplEZZZNS4_16bernoulli_kernelIS7_EEvRNS_18TensorIteratorBaseEdT_ENKUlvE_clEvENKUlvE_clEvEUlfE_EEvSA_T1_T2_EUlP25hiprandStatePhilox4_32_10E_ZNS1_27distribution_nullary_kernelIhf15HIP_vector_typeIdLj2EES7_SJ_SE_EEvSA_SG_RKT3_T4_EUlifE0_EEvlNS_15PhiloxCudaStateESF_SG_
    .private_segment_fixed_size: 0
    .sgpr_count:     54
    .sgpr_spill_count: 0
    .symbol:         _ZN2at6native12_GLOBAL__N_143distribution_elementwise_grid_stride_kernelIfLi4EZNS0_9templates4cuda21uniform_and_transformIhfPNS_17CUDAGeneratorImplEZZZNS4_16bernoulli_kernelIS7_EEvRNS_18TensorIteratorBaseEdT_ENKUlvE_clEvENKUlvE_clEvEUlfE_EEvSA_T1_T2_EUlP25hiprandStatePhilox4_32_10E_ZNS1_27distribution_nullary_kernelIhf15HIP_vector_typeIdLj2EES7_SJ_SE_EEvSA_SG_RKT3_T4_EUlifE0_EEvlNS_15PhiloxCudaStateESF_SG_.kd
    .uniform_work_group_size: 1
    .uses_dynamic_stack: false
    .vgpr_count:     45
    .vgpr_spill_count: 0
    .wavefront_size: 32
    .workgroup_processor_mode: 1
  - .args:
      - .offset:         0
        .size:           8
        .value_kind:     by_value
      - .offset:         8
        .size:           32
        .value_kind:     by_value
      - .offset:         40
        .size:           1
        .value_kind:     by_value
      - .offset:         48
        .size:           24
        .value_kind:     by_value
      - .offset:         72
        .size:           4
        .value_kind:     hidden_block_count_x
      - .offset:         76
        .size:           4
        .value_kind:     hidden_block_count_y
      - .offset:         80
        .size:           4
        .value_kind:     hidden_block_count_z
      - .offset:         84
        .size:           2
        .value_kind:     hidden_group_size_x
      - .offset:         86
        .size:           2
        .value_kind:     hidden_group_size_y
      - .offset:         88
        .size:           2
        .value_kind:     hidden_group_size_z
      - .offset:         90
        .size:           2
        .value_kind:     hidden_remainder_x
      - .offset:         92
        .size:           2
        .value_kind:     hidden_remainder_y
      - .offset:         94
        .size:           2
        .value_kind:     hidden_remainder_z
      - .offset:         112
        .size:           8
        .value_kind:     hidden_global_offset_x
      - .offset:         120
        .size:           8
        .value_kind:     hidden_global_offset_y
      - .offset:         128
        .size:           8
        .value_kind:     hidden_global_offset_z
      - .offset:         136
        .size:           2
        .value_kind:     hidden_grid_dims
    .group_segment_fixed_size: 0
    .kernarg_segment_align: 8
    .kernarg_segment_size: 328
    .language:       OpenCL C
    .language_version:
      - 2
      - 0
    .max_flat_workgroup_size: 256
    .name:           _ZN2at6native12_GLOBAL__N_143distribution_elementwise_grid_stride_kernelIfLi4EZNS0_9templates4cuda21uniform_and_transformIhfPNS_17CUDAGeneratorImplEZZZNS4_16bernoulli_kernelIS7_EEvRNS_18TensorIteratorBaseEdT_ENKUlvE_clEvENKUlvE_clEvEUlfE_EEvSA_T1_T2_EUlP25hiprandStatePhilox4_32_10E0_ZNS1_27distribution_nullary_kernelIhf15HIP_vector_typeIfLj4EES7_SJ_SE_EEvSA_SG_RKT3_T4_EUlifE_EEvlNS_15PhiloxCudaStateESF_SG_
    .private_segment_fixed_size: 0
    .sgpr_count:     25
    .sgpr_spill_count: 0
    .symbol:         _ZN2at6native12_GLOBAL__N_143distribution_elementwise_grid_stride_kernelIfLi4EZNS0_9templates4cuda21uniform_and_transformIhfPNS_17CUDAGeneratorImplEZZZNS4_16bernoulli_kernelIS7_EEvRNS_18TensorIteratorBaseEdT_ENKUlvE_clEvENKUlvE_clEvEUlfE_EEvSA_T1_T2_EUlP25hiprandStatePhilox4_32_10E0_ZNS1_27distribution_nullary_kernelIhf15HIP_vector_typeIfLj4EES7_SJ_SE_EEvSA_SG_RKT3_T4_EUlifE_EEvlNS_15PhiloxCudaStateESF_SG_.kd
    .uniform_work_group_size: 1
    .uses_dynamic_stack: false
    .vgpr_count:     45
    .vgpr_spill_count: 0
    .wavefront_size: 32
    .workgroup_processor_mode: 1
  - .args:
      - .offset:         0
        .size:           8
        .value_kind:     by_value
      - .offset:         8
        .size:           32
        .value_kind:     by_value
      - .offset:         40
        .size:           1
        .value_kind:     by_value
      - .offset:         48
        .size:           280
        .value_kind:     by_value
      - .offset:         328
        .size:           4
        .value_kind:     hidden_block_count_x
      - .offset:         332
        .size:           4
        .value_kind:     hidden_block_count_y
      - .offset:         336
        .size:           4
        .value_kind:     hidden_block_count_z
      - .offset:         340
        .size:           2
        .value_kind:     hidden_group_size_x
      - .offset:         342
        .size:           2
        .value_kind:     hidden_group_size_y
      - .offset:         344
        .size:           2
        .value_kind:     hidden_group_size_z
      - .offset:         346
        .size:           2
        .value_kind:     hidden_remainder_x
      - .offset:         348
        .size:           2
        .value_kind:     hidden_remainder_y
      - .offset:         350
        .size:           2
        .value_kind:     hidden_remainder_z
      - .offset:         368
        .size:           8
        .value_kind:     hidden_global_offset_x
      - .offset:         376
        .size:           8
        .value_kind:     hidden_global_offset_y
      - .offset:         384
        .size:           8
        .value_kind:     hidden_global_offset_z
      - .offset:         392
        .size:           2
        .value_kind:     hidden_grid_dims
    .group_segment_fixed_size: 0
    .kernarg_segment_align: 8
    .kernarg_segment_size: 584
    .language:       OpenCL C
    .language_version:
      - 2
      - 0
    .max_flat_workgroup_size: 256
    .name:           _ZN2at6native12_GLOBAL__N_143distribution_elementwise_grid_stride_kernelIfLi4EZNS0_9templates4cuda21uniform_and_transformIhfPNS_17CUDAGeneratorImplEZZZNS4_16bernoulli_kernelIS7_EEvRNS_18TensorIteratorBaseEdT_ENKUlvE_clEvENKUlvE_clEvEUlfE_EEvSA_T1_T2_EUlP25hiprandStatePhilox4_32_10E0_ZNS1_27distribution_nullary_kernelIhf15HIP_vector_typeIfLj4EES7_SJ_SE_EEvSA_SG_RKT3_T4_EUlifE0_EEvlNS_15PhiloxCudaStateESF_SG_
    .private_segment_fixed_size: 0
    .sgpr_count:     58
    .sgpr_spill_count: 0
    .symbol:         _ZN2at6native12_GLOBAL__N_143distribution_elementwise_grid_stride_kernelIfLi4EZNS0_9templates4cuda21uniform_and_transformIhfPNS_17CUDAGeneratorImplEZZZNS4_16bernoulli_kernelIS7_EEvRNS_18TensorIteratorBaseEdT_ENKUlvE_clEvENKUlvE_clEvEUlfE_EEvSA_T1_T2_EUlP25hiprandStatePhilox4_32_10E0_ZNS1_27distribution_nullary_kernelIhf15HIP_vector_typeIfLj4EES7_SJ_SE_EEvSA_SG_RKT3_T4_EUlifE0_EEvlNS_15PhiloxCudaStateESF_SG_.kd
    .uniform_work_group_size: 1
    .uses_dynamic_stack: false
    .vgpr_count:     45
    .vgpr_spill_count: 0
    .wavefront_size: 32
    .workgroup_processor_mode: 1
  - .args:
      - .offset:         0
        .size:           8
        .value_kind:     by_value
      - .offset:         8
        .size:           32
        .value_kind:     by_value
      - .offset:         40
        .size:           1
        .value_kind:     by_value
      - .offset:         48
        .size:           24
        .value_kind:     by_value
      - .offset:         72
        .size:           4
        .value_kind:     hidden_block_count_x
      - .offset:         76
        .size:           4
        .value_kind:     hidden_block_count_y
      - .offset:         80
        .size:           4
        .value_kind:     hidden_block_count_z
      - .offset:         84
        .size:           2
        .value_kind:     hidden_group_size_x
      - .offset:         86
        .size:           2
        .value_kind:     hidden_group_size_y
      - .offset:         88
        .size:           2
        .value_kind:     hidden_group_size_z
      - .offset:         90
        .size:           2
        .value_kind:     hidden_remainder_x
      - .offset:         92
        .size:           2
        .value_kind:     hidden_remainder_y
      - .offset:         94
        .size:           2
        .value_kind:     hidden_remainder_z
      - .offset:         112
        .size:           8
        .value_kind:     hidden_global_offset_x
      - .offset:         120
        .size:           8
        .value_kind:     hidden_global_offset_y
      - .offset:         128
        .size:           8
        .value_kind:     hidden_global_offset_z
      - .offset:         136
        .size:           2
        .value_kind:     hidden_grid_dims
    .group_segment_fixed_size: 0
    .kernarg_segment_align: 8
    .kernarg_segment_size: 328
    .language:       OpenCL C
    .language_version:
      - 2
      - 0
    .max_flat_workgroup_size: 256
    .name:           _ZN2at6native12_GLOBAL__N_143distribution_elementwise_grid_stride_kernelIfLi4EZNS0_9templates4cuda21uniform_and_transformIafPNS_17CUDAGeneratorImplEZZZNS4_16bernoulli_kernelIS7_EEvRNS_18TensorIteratorBaseEdT_ENKUlvE_clEvENKUlvE0_clEvEUlfE_EEvSA_T1_T2_EUlP25hiprandStatePhilox4_32_10E_ZNS1_27distribution_nullary_kernelIaf15HIP_vector_typeIdLj2EES7_SJ_SE_EEvSA_SG_RKT3_T4_EUlifE_EEvlNS_15PhiloxCudaStateESF_SG_
    .private_segment_fixed_size: 0
    .sgpr_count:     25
    .sgpr_spill_count: 0
    .symbol:         _ZN2at6native12_GLOBAL__N_143distribution_elementwise_grid_stride_kernelIfLi4EZNS0_9templates4cuda21uniform_and_transformIafPNS_17CUDAGeneratorImplEZZZNS4_16bernoulli_kernelIS7_EEvRNS_18TensorIteratorBaseEdT_ENKUlvE_clEvENKUlvE0_clEvEUlfE_EEvSA_T1_T2_EUlP25hiprandStatePhilox4_32_10E_ZNS1_27distribution_nullary_kernelIaf15HIP_vector_typeIdLj2EES7_SJ_SE_EEvSA_SG_RKT3_T4_EUlifE_EEvlNS_15PhiloxCudaStateESF_SG_.kd
    .uniform_work_group_size: 1
    .uses_dynamic_stack: false
    .vgpr_count:     43
    .vgpr_spill_count: 0
    .wavefront_size: 32
    .workgroup_processor_mode: 1
  - .args:
      - .offset:         0
        .size:           8
        .value_kind:     by_value
      - .offset:         8
        .size:           32
        .value_kind:     by_value
      - .offset:         40
        .size:           1
        .value_kind:     by_value
      - .offset:         48
        .size:           280
        .value_kind:     by_value
      - .offset:         328
        .size:           4
        .value_kind:     hidden_block_count_x
      - .offset:         332
        .size:           4
        .value_kind:     hidden_block_count_y
      - .offset:         336
        .size:           4
        .value_kind:     hidden_block_count_z
      - .offset:         340
        .size:           2
        .value_kind:     hidden_group_size_x
      - .offset:         342
        .size:           2
        .value_kind:     hidden_group_size_y
      - .offset:         344
        .size:           2
        .value_kind:     hidden_group_size_z
      - .offset:         346
        .size:           2
        .value_kind:     hidden_remainder_x
      - .offset:         348
        .size:           2
        .value_kind:     hidden_remainder_y
      - .offset:         350
        .size:           2
        .value_kind:     hidden_remainder_z
      - .offset:         368
        .size:           8
        .value_kind:     hidden_global_offset_x
      - .offset:         376
        .size:           8
        .value_kind:     hidden_global_offset_y
      - .offset:         384
        .size:           8
        .value_kind:     hidden_global_offset_z
      - .offset:         392
        .size:           2
        .value_kind:     hidden_grid_dims
    .group_segment_fixed_size: 0
    .kernarg_segment_align: 8
    .kernarg_segment_size: 584
    .language:       OpenCL C
    .language_version:
      - 2
      - 0
    .max_flat_workgroup_size: 256
    .name:           _ZN2at6native12_GLOBAL__N_143distribution_elementwise_grid_stride_kernelIfLi4EZNS0_9templates4cuda21uniform_and_transformIafPNS_17CUDAGeneratorImplEZZZNS4_16bernoulli_kernelIS7_EEvRNS_18TensorIteratorBaseEdT_ENKUlvE_clEvENKUlvE0_clEvEUlfE_EEvSA_T1_T2_EUlP25hiprandStatePhilox4_32_10E_ZNS1_27distribution_nullary_kernelIaf15HIP_vector_typeIdLj2EES7_SJ_SE_EEvSA_SG_RKT3_T4_EUlifE0_EEvlNS_15PhiloxCudaStateESF_SG_
    .private_segment_fixed_size: 0
    .sgpr_count:     54
    .sgpr_spill_count: 0
    .symbol:         _ZN2at6native12_GLOBAL__N_143distribution_elementwise_grid_stride_kernelIfLi4EZNS0_9templates4cuda21uniform_and_transformIafPNS_17CUDAGeneratorImplEZZZNS4_16bernoulli_kernelIS7_EEvRNS_18TensorIteratorBaseEdT_ENKUlvE_clEvENKUlvE0_clEvEUlfE_EEvSA_T1_T2_EUlP25hiprandStatePhilox4_32_10E_ZNS1_27distribution_nullary_kernelIaf15HIP_vector_typeIdLj2EES7_SJ_SE_EEvSA_SG_RKT3_T4_EUlifE0_EEvlNS_15PhiloxCudaStateESF_SG_.kd
    .uniform_work_group_size: 1
    .uses_dynamic_stack: false
    .vgpr_count:     45
    .vgpr_spill_count: 0
    .wavefront_size: 32
    .workgroup_processor_mode: 1
  - .args:
      - .offset:         0
        .size:           8
        .value_kind:     by_value
      - .offset:         8
        .size:           32
        .value_kind:     by_value
      - .offset:         40
        .size:           1
        .value_kind:     by_value
      - .offset:         48
        .size:           24
        .value_kind:     by_value
      - .offset:         72
        .size:           4
        .value_kind:     hidden_block_count_x
      - .offset:         76
        .size:           4
        .value_kind:     hidden_block_count_y
      - .offset:         80
        .size:           4
        .value_kind:     hidden_block_count_z
      - .offset:         84
        .size:           2
        .value_kind:     hidden_group_size_x
      - .offset:         86
        .size:           2
        .value_kind:     hidden_group_size_y
      - .offset:         88
        .size:           2
        .value_kind:     hidden_group_size_z
      - .offset:         90
        .size:           2
        .value_kind:     hidden_remainder_x
      - .offset:         92
        .size:           2
        .value_kind:     hidden_remainder_y
      - .offset:         94
        .size:           2
        .value_kind:     hidden_remainder_z
      - .offset:         112
        .size:           8
        .value_kind:     hidden_global_offset_x
      - .offset:         120
        .size:           8
        .value_kind:     hidden_global_offset_y
      - .offset:         128
        .size:           8
        .value_kind:     hidden_global_offset_z
      - .offset:         136
        .size:           2
        .value_kind:     hidden_grid_dims
    .group_segment_fixed_size: 0
    .kernarg_segment_align: 8
    .kernarg_segment_size: 328
    .language:       OpenCL C
    .language_version:
      - 2
      - 0
    .max_flat_workgroup_size: 256
    .name:           _ZN2at6native12_GLOBAL__N_143distribution_elementwise_grid_stride_kernelIfLi4EZNS0_9templates4cuda21uniform_and_transformIafPNS_17CUDAGeneratorImplEZZZNS4_16bernoulli_kernelIS7_EEvRNS_18TensorIteratorBaseEdT_ENKUlvE_clEvENKUlvE0_clEvEUlfE_EEvSA_T1_T2_EUlP25hiprandStatePhilox4_32_10E0_ZNS1_27distribution_nullary_kernelIaf15HIP_vector_typeIfLj4EES7_SJ_SE_EEvSA_SG_RKT3_T4_EUlifE_EEvlNS_15PhiloxCudaStateESF_SG_
    .private_segment_fixed_size: 0
    .sgpr_count:     25
    .sgpr_spill_count: 0
    .symbol:         _ZN2at6native12_GLOBAL__N_143distribution_elementwise_grid_stride_kernelIfLi4EZNS0_9templates4cuda21uniform_and_transformIafPNS_17CUDAGeneratorImplEZZZNS4_16bernoulli_kernelIS7_EEvRNS_18TensorIteratorBaseEdT_ENKUlvE_clEvENKUlvE0_clEvEUlfE_EEvSA_T1_T2_EUlP25hiprandStatePhilox4_32_10E0_ZNS1_27distribution_nullary_kernelIaf15HIP_vector_typeIfLj4EES7_SJ_SE_EEvSA_SG_RKT3_T4_EUlifE_EEvlNS_15PhiloxCudaStateESF_SG_.kd
    .uniform_work_group_size: 1
    .uses_dynamic_stack: false
    .vgpr_count:     45
    .vgpr_spill_count: 0
    .wavefront_size: 32
    .workgroup_processor_mode: 1
  - .args:
      - .offset:         0
        .size:           8
        .value_kind:     by_value
      - .offset:         8
        .size:           32
        .value_kind:     by_value
      - .offset:         40
        .size:           1
        .value_kind:     by_value
      - .offset:         48
        .size:           280
        .value_kind:     by_value
      - .offset:         328
        .size:           4
        .value_kind:     hidden_block_count_x
      - .offset:         332
        .size:           4
        .value_kind:     hidden_block_count_y
      - .offset:         336
        .size:           4
        .value_kind:     hidden_block_count_z
      - .offset:         340
        .size:           2
        .value_kind:     hidden_group_size_x
      - .offset:         342
        .size:           2
        .value_kind:     hidden_group_size_y
      - .offset:         344
        .size:           2
        .value_kind:     hidden_group_size_z
      - .offset:         346
        .size:           2
        .value_kind:     hidden_remainder_x
      - .offset:         348
        .size:           2
        .value_kind:     hidden_remainder_y
      - .offset:         350
        .size:           2
        .value_kind:     hidden_remainder_z
      - .offset:         368
        .size:           8
        .value_kind:     hidden_global_offset_x
      - .offset:         376
        .size:           8
        .value_kind:     hidden_global_offset_y
      - .offset:         384
        .size:           8
        .value_kind:     hidden_global_offset_z
      - .offset:         392
        .size:           2
        .value_kind:     hidden_grid_dims
    .group_segment_fixed_size: 0
    .kernarg_segment_align: 8
    .kernarg_segment_size: 584
    .language:       OpenCL C
    .language_version:
      - 2
      - 0
    .max_flat_workgroup_size: 256
    .name:           _ZN2at6native12_GLOBAL__N_143distribution_elementwise_grid_stride_kernelIfLi4EZNS0_9templates4cuda21uniform_and_transformIafPNS_17CUDAGeneratorImplEZZZNS4_16bernoulli_kernelIS7_EEvRNS_18TensorIteratorBaseEdT_ENKUlvE_clEvENKUlvE0_clEvEUlfE_EEvSA_T1_T2_EUlP25hiprandStatePhilox4_32_10E0_ZNS1_27distribution_nullary_kernelIaf15HIP_vector_typeIfLj4EES7_SJ_SE_EEvSA_SG_RKT3_T4_EUlifE0_EEvlNS_15PhiloxCudaStateESF_SG_
    .private_segment_fixed_size: 0
    .sgpr_count:     58
    .sgpr_spill_count: 0
    .symbol:         _ZN2at6native12_GLOBAL__N_143distribution_elementwise_grid_stride_kernelIfLi4EZNS0_9templates4cuda21uniform_and_transformIafPNS_17CUDAGeneratorImplEZZZNS4_16bernoulli_kernelIS7_EEvRNS_18TensorIteratorBaseEdT_ENKUlvE_clEvENKUlvE0_clEvEUlfE_EEvSA_T1_T2_EUlP25hiprandStatePhilox4_32_10E0_ZNS1_27distribution_nullary_kernelIaf15HIP_vector_typeIfLj4EES7_SJ_SE_EEvSA_SG_RKT3_T4_EUlifE0_EEvlNS_15PhiloxCudaStateESF_SG_.kd
    .uniform_work_group_size: 1
    .uses_dynamic_stack: false
    .vgpr_count:     45
    .vgpr_spill_count: 0
    .wavefront_size: 32
    .workgroup_processor_mode: 1
  - .args:
      - .offset:         0
        .size:           8
        .value_kind:     by_value
      - .offset:         8
        .size:           32
        .value_kind:     by_value
      - .offset:         40
        .size:           1
        .value_kind:     by_value
      - .offset:         48
        .size:           24
        .value_kind:     by_value
      - .offset:         72
        .size:           4
        .value_kind:     hidden_block_count_x
      - .offset:         76
        .size:           4
        .value_kind:     hidden_block_count_y
      - .offset:         80
        .size:           4
        .value_kind:     hidden_block_count_z
      - .offset:         84
        .size:           2
        .value_kind:     hidden_group_size_x
      - .offset:         86
        .size:           2
        .value_kind:     hidden_group_size_y
      - .offset:         88
        .size:           2
        .value_kind:     hidden_group_size_z
      - .offset:         90
        .size:           2
        .value_kind:     hidden_remainder_x
      - .offset:         92
        .size:           2
        .value_kind:     hidden_remainder_y
      - .offset:         94
        .size:           2
        .value_kind:     hidden_remainder_z
      - .offset:         112
        .size:           8
        .value_kind:     hidden_global_offset_x
      - .offset:         120
        .size:           8
        .value_kind:     hidden_global_offset_y
      - .offset:         128
        .size:           8
        .value_kind:     hidden_global_offset_z
      - .offset:         136
        .size:           2
        .value_kind:     hidden_grid_dims
    .group_segment_fixed_size: 0
    .kernarg_segment_align: 8
    .kernarg_segment_size: 328
    .language:       OpenCL C
    .language_version:
      - 2
      - 0
    .max_flat_workgroup_size: 256
    .name:           _ZN2at6native12_GLOBAL__N_143distribution_elementwise_grid_stride_kernelIfLi4EZNS0_9templates4cuda21uniform_and_transformIifPNS_17CUDAGeneratorImplEZZZNS4_16bernoulli_kernelIS7_EEvRNS_18TensorIteratorBaseEdT_ENKUlvE_clEvENKUlvE1_clEvEUlfE_EEvSA_T1_T2_EUlP25hiprandStatePhilox4_32_10E_ZNS1_27distribution_nullary_kernelIif15HIP_vector_typeIdLj2EES7_SJ_SE_EEvSA_SG_RKT3_T4_EUlifE_EEvlNS_15PhiloxCudaStateESF_SG_
    .private_segment_fixed_size: 0
    .sgpr_count:     25
    .sgpr_spill_count: 0
    .symbol:         _ZN2at6native12_GLOBAL__N_143distribution_elementwise_grid_stride_kernelIfLi4EZNS0_9templates4cuda21uniform_and_transformIifPNS_17CUDAGeneratorImplEZZZNS4_16bernoulli_kernelIS7_EEvRNS_18TensorIteratorBaseEdT_ENKUlvE_clEvENKUlvE1_clEvEUlfE_EEvSA_T1_T2_EUlP25hiprandStatePhilox4_32_10E_ZNS1_27distribution_nullary_kernelIif15HIP_vector_typeIdLj2EES7_SJ_SE_EEvSA_SG_RKT3_T4_EUlifE_EEvlNS_15PhiloxCudaStateESF_SG_.kd
    .uniform_work_group_size: 1
    .uses_dynamic_stack: false
    .vgpr_count:     43
    .vgpr_spill_count: 0
    .wavefront_size: 32
    .workgroup_processor_mode: 1
  - .args:
      - .offset:         0
        .size:           8
        .value_kind:     by_value
      - .offset:         8
        .size:           32
        .value_kind:     by_value
      - .offset:         40
        .size:           1
        .value_kind:     by_value
      - .offset:         48
        .size:           280
        .value_kind:     by_value
      - .offset:         328
        .size:           4
        .value_kind:     hidden_block_count_x
      - .offset:         332
        .size:           4
        .value_kind:     hidden_block_count_y
      - .offset:         336
        .size:           4
        .value_kind:     hidden_block_count_z
      - .offset:         340
        .size:           2
        .value_kind:     hidden_group_size_x
      - .offset:         342
        .size:           2
        .value_kind:     hidden_group_size_y
      - .offset:         344
        .size:           2
        .value_kind:     hidden_group_size_z
      - .offset:         346
        .size:           2
        .value_kind:     hidden_remainder_x
      - .offset:         348
        .size:           2
        .value_kind:     hidden_remainder_y
      - .offset:         350
        .size:           2
        .value_kind:     hidden_remainder_z
      - .offset:         368
        .size:           8
        .value_kind:     hidden_global_offset_x
      - .offset:         376
        .size:           8
        .value_kind:     hidden_global_offset_y
      - .offset:         384
        .size:           8
        .value_kind:     hidden_global_offset_z
      - .offset:         392
        .size:           2
        .value_kind:     hidden_grid_dims
    .group_segment_fixed_size: 0
    .kernarg_segment_align: 8
    .kernarg_segment_size: 584
    .language:       OpenCL C
    .language_version:
      - 2
      - 0
    .max_flat_workgroup_size: 256
    .name:           _ZN2at6native12_GLOBAL__N_143distribution_elementwise_grid_stride_kernelIfLi4EZNS0_9templates4cuda21uniform_and_transformIifPNS_17CUDAGeneratorImplEZZZNS4_16bernoulli_kernelIS7_EEvRNS_18TensorIteratorBaseEdT_ENKUlvE_clEvENKUlvE1_clEvEUlfE_EEvSA_T1_T2_EUlP25hiprandStatePhilox4_32_10E_ZNS1_27distribution_nullary_kernelIif15HIP_vector_typeIdLj2EES7_SJ_SE_EEvSA_SG_RKT3_T4_EUlifE0_EEvlNS_15PhiloxCudaStateESF_SG_
    .private_segment_fixed_size: 0
    .sgpr_count:     54
    .sgpr_spill_count: 0
    .symbol:         _ZN2at6native12_GLOBAL__N_143distribution_elementwise_grid_stride_kernelIfLi4EZNS0_9templates4cuda21uniform_and_transformIifPNS_17CUDAGeneratorImplEZZZNS4_16bernoulli_kernelIS7_EEvRNS_18TensorIteratorBaseEdT_ENKUlvE_clEvENKUlvE1_clEvEUlfE_EEvSA_T1_T2_EUlP25hiprandStatePhilox4_32_10E_ZNS1_27distribution_nullary_kernelIif15HIP_vector_typeIdLj2EES7_SJ_SE_EEvSA_SG_RKT3_T4_EUlifE0_EEvlNS_15PhiloxCudaStateESF_SG_.kd
    .uniform_work_group_size: 1
    .uses_dynamic_stack: false
    .vgpr_count:     45
    .vgpr_spill_count: 0
    .wavefront_size: 32
    .workgroup_processor_mode: 1
  - .args:
      - .offset:         0
        .size:           8
        .value_kind:     by_value
      - .offset:         8
        .size:           32
        .value_kind:     by_value
      - .offset:         40
        .size:           1
        .value_kind:     by_value
      - .offset:         48
        .size:           24
        .value_kind:     by_value
      - .offset:         72
        .size:           4
        .value_kind:     hidden_block_count_x
      - .offset:         76
        .size:           4
        .value_kind:     hidden_block_count_y
      - .offset:         80
        .size:           4
        .value_kind:     hidden_block_count_z
      - .offset:         84
        .size:           2
        .value_kind:     hidden_group_size_x
      - .offset:         86
        .size:           2
        .value_kind:     hidden_group_size_y
      - .offset:         88
        .size:           2
        .value_kind:     hidden_group_size_z
      - .offset:         90
        .size:           2
        .value_kind:     hidden_remainder_x
      - .offset:         92
        .size:           2
        .value_kind:     hidden_remainder_y
      - .offset:         94
        .size:           2
        .value_kind:     hidden_remainder_z
      - .offset:         112
        .size:           8
        .value_kind:     hidden_global_offset_x
      - .offset:         120
        .size:           8
        .value_kind:     hidden_global_offset_y
      - .offset:         128
        .size:           8
        .value_kind:     hidden_global_offset_z
      - .offset:         136
        .size:           2
        .value_kind:     hidden_grid_dims
    .group_segment_fixed_size: 0
    .kernarg_segment_align: 8
    .kernarg_segment_size: 328
    .language:       OpenCL C
    .language_version:
      - 2
      - 0
    .max_flat_workgroup_size: 256
    .name:           _ZN2at6native12_GLOBAL__N_143distribution_elementwise_grid_stride_kernelIfLi4EZNS0_9templates4cuda21uniform_and_transformIifPNS_17CUDAGeneratorImplEZZZNS4_16bernoulli_kernelIS7_EEvRNS_18TensorIteratorBaseEdT_ENKUlvE_clEvENKUlvE1_clEvEUlfE_EEvSA_T1_T2_EUlP25hiprandStatePhilox4_32_10E0_ZNS1_27distribution_nullary_kernelIif15HIP_vector_typeIfLj4EES7_SJ_SE_EEvSA_SG_RKT3_T4_EUlifE_EEvlNS_15PhiloxCudaStateESF_SG_
    .private_segment_fixed_size: 0
    .sgpr_count:     25
    .sgpr_spill_count: 0
    .symbol:         _ZN2at6native12_GLOBAL__N_143distribution_elementwise_grid_stride_kernelIfLi4EZNS0_9templates4cuda21uniform_and_transformIifPNS_17CUDAGeneratorImplEZZZNS4_16bernoulli_kernelIS7_EEvRNS_18TensorIteratorBaseEdT_ENKUlvE_clEvENKUlvE1_clEvEUlfE_EEvSA_T1_T2_EUlP25hiprandStatePhilox4_32_10E0_ZNS1_27distribution_nullary_kernelIif15HIP_vector_typeIfLj4EES7_SJ_SE_EEvSA_SG_RKT3_T4_EUlifE_EEvlNS_15PhiloxCudaStateESF_SG_.kd
    .uniform_work_group_size: 1
    .uses_dynamic_stack: false
    .vgpr_count:     45
    .vgpr_spill_count: 0
    .wavefront_size: 32
    .workgroup_processor_mode: 1
  - .args:
      - .offset:         0
        .size:           8
        .value_kind:     by_value
      - .offset:         8
        .size:           32
        .value_kind:     by_value
      - .offset:         40
        .size:           1
        .value_kind:     by_value
      - .offset:         48
        .size:           280
        .value_kind:     by_value
      - .offset:         328
        .size:           4
        .value_kind:     hidden_block_count_x
      - .offset:         332
        .size:           4
        .value_kind:     hidden_block_count_y
      - .offset:         336
        .size:           4
        .value_kind:     hidden_block_count_z
      - .offset:         340
        .size:           2
        .value_kind:     hidden_group_size_x
      - .offset:         342
        .size:           2
        .value_kind:     hidden_group_size_y
      - .offset:         344
        .size:           2
        .value_kind:     hidden_group_size_z
      - .offset:         346
        .size:           2
        .value_kind:     hidden_remainder_x
      - .offset:         348
        .size:           2
        .value_kind:     hidden_remainder_y
      - .offset:         350
        .size:           2
        .value_kind:     hidden_remainder_z
      - .offset:         368
        .size:           8
        .value_kind:     hidden_global_offset_x
      - .offset:         376
        .size:           8
        .value_kind:     hidden_global_offset_y
      - .offset:         384
        .size:           8
        .value_kind:     hidden_global_offset_z
      - .offset:         392
        .size:           2
        .value_kind:     hidden_grid_dims
    .group_segment_fixed_size: 0
    .kernarg_segment_align: 8
    .kernarg_segment_size: 584
    .language:       OpenCL C
    .language_version:
      - 2
      - 0
    .max_flat_workgroup_size: 256
    .name:           _ZN2at6native12_GLOBAL__N_143distribution_elementwise_grid_stride_kernelIfLi4EZNS0_9templates4cuda21uniform_and_transformIifPNS_17CUDAGeneratorImplEZZZNS4_16bernoulli_kernelIS7_EEvRNS_18TensorIteratorBaseEdT_ENKUlvE_clEvENKUlvE1_clEvEUlfE_EEvSA_T1_T2_EUlP25hiprandStatePhilox4_32_10E0_ZNS1_27distribution_nullary_kernelIif15HIP_vector_typeIfLj4EES7_SJ_SE_EEvSA_SG_RKT3_T4_EUlifE0_EEvlNS_15PhiloxCudaStateESF_SG_
    .private_segment_fixed_size: 0
    .sgpr_count:     58
    .sgpr_spill_count: 0
    .symbol:         _ZN2at6native12_GLOBAL__N_143distribution_elementwise_grid_stride_kernelIfLi4EZNS0_9templates4cuda21uniform_and_transformIifPNS_17CUDAGeneratorImplEZZZNS4_16bernoulli_kernelIS7_EEvRNS_18TensorIteratorBaseEdT_ENKUlvE_clEvENKUlvE1_clEvEUlfE_EEvSA_T1_T2_EUlP25hiprandStatePhilox4_32_10E0_ZNS1_27distribution_nullary_kernelIif15HIP_vector_typeIfLj4EES7_SJ_SE_EEvSA_SG_RKT3_T4_EUlifE0_EEvlNS_15PhiloxCudaStateESF_SG_.kd
    .uniform_work_group_size: 1
    .uses_dynamic_stack: false
    .vgpr_count:     45
    .vgpr_spill_count: 0
    .wavefront_size: 32
    .workgroup_processor_mode: 1
  - .args:
      - .offset:         0
        .size:           8
        .value_kind:     by_value
      - .offset:         8
        .size:           32
        .value_kind:     by_value
      - .offset:         40
        .size:           1
        .value_kind:     by_value
      - .offset:         48
        .size:           24
        .value_kind:     by_value
      - .offset:         72
        .size:           4
        .value_kind:     hidden_block_count_x
      - .offset:         76
        .size:           4
        .value_kind:     hidden_block_count_y
      - .offset:         80
        .size:           4
        .value_kind:     hidden_block_count_z
      - .offset:         84
        .size:           2
        .value_kind:     hidden_group_size_x
      - .offset:         86
        .size:           2
        .value_kind:     hidden_group_size_y
      - .offset:         88
        .size:           2
        .value_kind:     hidden_group_size_z
      - .offset:         90
        .size:           2
        .value_kind:     hidden_remainder_x
      - .offset:         92
        .size:           2
        .value_kind:     hidden_remainder_y
      - .offset:         94
        .size:           2
        .value_kind:     hidden_remainder_z
      - .offset:         112
        .size:           8
        .value_kind:     hidden_global_offset_x
      - .offset:         120
        .size:           8
        .value_kind:     hidden_global_offset_y
      - .offset:         128
        .size:           8
        .value_kind:     hidden_global_offset_z
      - .offset:         136
        .size:           2
        .value_kind:     hidden_grid_dims
    .group_segment_fixed_size: 0
    .kernarg_segment_align: 8
    .kernarg_segment_size: 328
    .language:       OpenCL C
    .language_version:
      - 2
      - 0
    .max_flat_workgroup_size: 256
    .name:           _ZN2at6native12_GLOBAL__N_143distribution_elementwise_grid_stride_kernelIfLi4EZNS0_9templates4cuda21uniform_and_transformIlfPNS_17CUDAGeneratorImplEZZZNS4_16bernoulli_kernelIS7_EEvRNS_18TensorIteratorBaseEdT_ENKUlvE_clEvENKUlvE2_clEvEUlfE_EEvSA_T1_T2_EUlP25hiprandStatePhilox4_32_10E_ZNS1_27distribution_nullary_kernelIlf15HIP_vector_typeIdLj2EES7_SJ_SE_EEvSA_SG_RKT3_T4_EUlifE_EEvlNS_15PhiloxCudaStateESF_SG_
    .private_segment_fixed_size: 0
    .sgpr_count:     25
    .sgpr_spill_count: 0
    .symbol:         _ZN2at6native12_GLOBAL__N_143distribution_elementwise_grid_stride_kernelIfLi4EZNS0_9templates4cuda21uniform_and_transformIlfPNS_17CUDAGeneratorImplEZZZNS4_16bernoulli_kernelIS7_EEvRNS_18TensorIteratorBaseEdT_ENKUlvE_clEvENKUlvE2_clEvEUlfE_EEvSA_T1_T2_EUlP25hiprandStatePhilox4_32_10E_ZNS1_27distribution_nullary_kernelIlf15HIP_vector_typeIdLj2EES7_SJ_SE_EEvSA_SG_RKT3_T4_EUlifE_EEvlNS_15PhiloxCudaStateESF_SG_.kd
    .uniform_work_group_size: 1
    .uses_dynamic_stack: false
    .vgpr_count:     43
    .vgpr_spill_count: 0
    .wavefront_size: 32
    .workgroup_processor_mode: 1
  - .args:
      - .offset:         0
        .size:           8
        .value_kind:     by_value
      - .offset:         8
        .size:           32
        .value_kind:     by_value
      - .offset:         40
        .size:           1
        .value_kind:     by_value
      - .offset:         48
        .size:           280
        .value_kind:     by_value
      - .offset:         328
        .size:           4
        .value_kind:     hidden_block_count_x
      - .offset:         332
        .size:           4
        .value_kind:     hidden_block_count_y
      - .offset:         336
        .size:           4
        .value_kind:     hidden_block_count_z
      - .offset:         340
        .size:           2
        .value_kind:     hidden_group_size_x
      - .offset:         342
        .size:           2
        .value_kind:     hidden_group_size_y
      - .offset:         344
        .size:           2
        .value_kind:     hidden_group_size_z
      - .offset:         346
        .size:           2
        .value_kind:     hidden_remainder_x
      - .offset:         348
        .size:           2
        .value_kind:     hidden_remainder_y
      - .offset:         350
        .size:           2
        .value_kind:     hidden_remainder_z
      - .offset:         368
        .size:           8
        .value_kind:     hidden_global_offset_x
      - .offset:         376
        .size:           8
        .value_kind:     hidden_global_offset_y
      - .offset:         384
        .size:           8
        .value_kind:     hidden_global_offset_z
      - .offset:         392
        .size:           2
        .value_kind:     hidden_grid_dims
    .group_segment_fixed_size: 0
    .kernarg_segment_align: 8
    .kernarg_segment_size: 584
    .language:       OpenCL C
    .language_version:
      - 2
      - 0
    .max_flat_workgroup_size: 256
    .name:           _ZN2at6native12_GLOBAL__N_143distribution_elementwise_grid_stride_kernelIfLi4EZNS0_9templates4cuda21uniform_and_transformIlfPNS_17CUDAGeneratorImplEZZZNS4_16bernoulli_kernelIS7_EEvRNS_18TensorIteratorBaseEdT_ENKUlvE_clEvENKUlvE2_clEvEUlfE_EEvSA_T1_T2_EUlP25hiprandStatePhilox4_32_10E_ZNS1_27distribution_nullary_kernelIlf15HIP_vector_typeIdLj2EES7_SJ_SE_EEvSA_SG_RKT3_T4_EUlifE0_EEvlNS_15PhiloxCudaStateESF_SG_
    .private_segment_fixed_size: 0
    .sgpr_count:     54
    .sgpr_spill_count: 0
    .symbol:         _ZN2at6native12_GLOBAL__N_143distribution_elementwise_grid_stride_kernelIfLi4EZNS0_9templates4cuda21uniform_and_transformIlfPNS_17CUDAGeneratorImplEZZZNS4_16bernoulli_kernelIS7_EEvRNS_18TensorIteratorBaseEdT_ENKUlvE_clEvENKUlvE2_clEvEUlfE_EEvSA_T1_T2_EUlP25hiprandStatePhilox4_32_10E_ZNS1_27distribution_nullary_kernelIlf15HIP_vector_typeIdLj2EES7_SJ_SE_EEvSA_SG_RKT3_T4_EUlifE0_EEvlNS_15PhiloxCudaStateESF_SG_.kd
    .uniform_work_group_size: 1
    .uses_dynamic_stack: false
    .vgpr_count:     45
    .vgpr_spill_count: 0
    .wavefront_size: 32
    .workgroup_processor_mode: 1
  - .args:
      - .offset:         0
        .size:           8
        .value_kind:     by_value
      - .offset:         8
        .size:           32
        .value_kind:     by_value
      - .offset:         40
        .size:           1
        .value_kind:     by_value
      - .offset:         48
        .size:           24
        .value_kind:     by_value
      - .offset:         72
        .size:           4
        .value_kind:     hidden_block_count_x
      - .offset:         76
        .size:           4
        .value_kind:     hidden_block_count_y
      - .offset:         80
        .size:           4
        .value_kind:     hidden_block_count_z
      - .offset:         84
        .size:           2
        .value_kind:     hidden_group_size_x
      - .offset:         86
        .size:           2
        .value_kind:     hidden_group_size_y
      - .offset:         88
        .size:           2
        .value_kind:     hidden_group_size_z
      - .offset:         90
        .size:           2
        .value_kind:     hidden_remainder_x
      - .offset:         92
        .size:           2
        .value_kind:     hidden_remainder_y
      - .offset:         94
        .size:           2
        .value_kind:     hidden_remainder_z
      - .offset:         112
        .size:           8
        .value_kind:     hidden_global_offset_x
      - .offset:         120
        .size:           8
        .value_kind:     hidden_global_offset_y
      - .offset:         128
        .size:           8
        .value_kind:     hidden_global_offset_z
      - .offset:         136
        .size:           2
        .value_kind:     hidden_grid_dims
    .group_segment_fixed_size: 0
    .kernarg_segment_align: 8
    .kernarg_segment_size: 328
    .language:       OpenCL C
    .language_version:
      - 2
      - 0
    .max_flat_workgroup_size: 256
    .name:           _ZN2at6native12_GLOBAL__N_143distribution_elementwise_grid_stride_kernelIfLi4EZNS0_9templates4cuda21uniform_and_transformIlfPNS_17CUDAGeneratorImplEZZZNS4_16bernoulli_kernelIS7_EEvRNS_18TensorIteratorBaseEdT_ENKUlvE_clEvENKUlvE2_clEvEUlfE_EEvSA_T1_T2_EUlP25hiprandStatePhilox4_32_10E0_ZNS1_27distribution_nullary_kernelIlf15HIP_vector_typeIfLj4EES7_SJ_SE_EEvSA_SG_RKT3_T4_EUlifE_EEvlNS_15PhiloxCudaStateESF_SG_
    .private_segment_fixed_size: 0
    .sgpr_count:     25
    .sgpr_spill_count: 0
    .symbol:         _ZN2at6native12_GLOBAL__N_143distribution_elementwise_grid_stride_kernelIfLi4EZNS0_9templates4cuda21uniform_and_transformIlfPNS_17CUDAGeneratorImplEZZZNS4_16bernoulli_kernelIS7_EEvRNS_18TensorIteratorBaseEdT_ENKUlvE_clEvENKUlvE2_clEvEUlfE_EEvSA_T1_T2_EUlP25hiprandStatePhilox4_32_10E0_ZNS1_27distribution_nullary_kernelIlf15HIP_vector_typeIfLj4EES7_SJ_SE_EEvSA_SG_RKT3_T4_EUlifE_EEvlNS_15PhiloxCudaStateESF_SG_.kd
    .uniform_work_group_size: 1
    .uses_dynamic_stack: false
    .vgpr_count:     45
    .vgpr_spill_count: 0
    .wavefront_size: 32
    .workgroup_processor_mode: 1
  - .args:
      - .offset:         0
        .size:           8
        .value_kind:     by_value
      - .offset:         8
        .size:           32
        .value_kind:     by_value
      - .offset:         40
        .size:           1
        .value_kind:     by_value
      - .offset:         48
        .size:           280
        .value_kind:     by_value
      - .offset:         328
        .size:           4
        .value_kind:     hidden_block_count_x
      - .offset:         332
        .size:           4
        .value_kind:     hidden_block_count_y
      - .offset:         336
        .size:           4
        .value_kind:     hidden_block_count_z
      - .offset:         340
        .size:           2
        .value_kind:     hidden_group_size_x
      - .offset:         342
        .size:           2
        .value_kind:     hidden_group_size_y
      - .offset:         344
        .size:           2
        .value_kind:     hidden_group_size_z
      - .offset:         346
        .size:           2
        .value_kind:     hidden_remainder_x
      - .offset:         348
        .size:           2
        .value_kind:     hidden_remainder_y
      - .offset:         350
        .size:           2
        .value_kind:     hidden_remainder_z
      - .offset:         368
        .size:           8
        .value_kind:     hidden_global_offset_x
      - .offset:         376
        .size:           8
        .value_kind:     hidden_global_offset_y
      - .offset:         384
        .size:           8
        .value_kind:     hidden_global_offset_z
      - .offset:         392
        .size:           2
        .value_kind:     hidden_grid_dims
    .group_segment_fixed_size: 0
    .kernarg_segment_align: 8
    .kernarg_segment_size: 584
    .language:       OpenCL C
    .language_version:
      - 2
      - 0
    .max_flat_workgroup_size: 256
    .name:           _ZN2at6native12_GLOBAL__N_143distribution_elementwise_grid_stride_kernelIfLi4EZNS0_9templates4cuda21uniform_and_transformIlfPNS_17CUDAGeneratorImplEZZZNS4_16bernoulli_kernelIS7_EEvRNS_18TensorIteratorBaseEdT_ENKUlvE_clEvENKUlvE2_clEvEUlfE_EEvSA_T1_T2_EUlP25hiprandStatePhilox4_32_10E0_ZNS1_27distribution_nullary_kernelIlf15HIP_vector_typeIfLj4EES7_SJ_SE_EEvSA_SG_RKT3_T4_EUlifE0_EEvlNS_15PhiloxCudaStateESF_SG_
    .private_segment_fixed_size: 0
    .sgpr_count:     58
    .sgpr_spill_count: 0
    .symbol:         _ZN2at6native12_GLOBAL__N_143distribution_elementwise_grid_stride_kernelIfLi4EZNS0_9templates4cuda21uniform_and_transformIlfPNS_17CUDAGeneratorImplEZZZNS4_16bernoulli_kernelIS7_EEvRNS_18TensorIteratorBaseEdT_ENKUlvE_clEvENKUlvE2_clEvEUlfE_EEvSA_T1_T2_EUlP25hiprandStatePhilox4_32_10E0_ZNS1_27distribution_nullary_kernelIlf15HIP_vector_typeIfLj4EES7_SJ_SE_EEvSA_SG_RKT3_T4_EUlifE0_EEvlNS_15PhiloxCudaStateESF_SG_.kd
    .uniform_work_group_size: 1
    .uses_dynamic_stack: false
    .vgpr_count:     45
    .vgpr_spill_count: 0
    .wavefront_size: 32
    .workgroup_processor_mode: 1
  - .args:
      - .offset:         0
        .size:           8
        .value_kind:     by_value
      - .offset:         8
        .size:           32
        .value_kind:     by_value
      - .offset:         40
        .size:           1
        .value_kind:     by_value
      - .offset:         48
        .size:           24
        .value_kind:     by_value
      - .offset:         72
        .size:           4
        .value_kind:     hidden_block_count_x
      - .offset:         76
        .size:           4
        .value_kind:     hidden_block_count_y
      - .offset:         80
        .size:           4
        .value_kind:     hidden_block_count_z
      - .offset:         84
        .size:           2
        .value_kind:     hidden_group_size_x
      - .offset:         86
        .size:           2
        .value_kind:     hidden_group_size_y
      - .offset:         88
        .size:           2
        .value_kind:     hidden_group_size_z
      - .offset:         90
        .size:           2
        .value_kind:     hidden_remainder_x
      - .offset:         92
        .size:           2
        .value_kind:     hidden_remainder_y
      - .offset:         94
        .size:           2
        .value_kind:     hidden_remainder_z
      - .offset:         112
        .size:           8
        .value_kind:     hidden_global_offset_x
      - .offset:         120
        .size:           8
        .value_kind:     hidden_global_offset_y
      - .offset:         128
        .size:           8
        .value_kind:     hidden_global_offset_z
      - .offset:         136
        .size:           2
        .value_kind:     hidden_grid_dims
    .group_segment_fixed_size: 0
    .kernarg_segment_align: 8
    .kernarg_segment_size: 328
    .language:       OpenCL C
    .language_version:
      - 2
      - 0
    .max_flat_workgroup_size: 256
    .name:           _ZN2at6native12_GLOBAL__N_143distribution_elementwise_grid_stride_kernelIfLi4EZNS0_9templates4cuda21uniform_and_transformIsfPNS_17CUDAGeneratorImplEZZZNS4_16bernoulli_kernelIS7_EEvRNS_18TensorIteratorBaseEdT_ENKUlvE_clEvENKUlvE3_clEvEUlfE_EEvSA_T1_T2_EUlP25hiprandStatePhilox4_32_10E_ZNS1_27distribution_nullary_kernelIsf15HIP_vector_typeIdLj2EES7_SJ_SE_EEvSA_SG_RKT3_T4_EUlifE_EEvlNS_15PhiloxCudaStateESF_SG_
    .private_segment_fixed_size: 0
    .sgpr_count:     25
    .sgpr_spill_count: 0
    .symbol:         _ZN2at6native12_GLOBAL__N_143distribution_elementwise_grid_stride_kernelIfLi4EZNS0_9templates4cuda21uniform_and_transformIsfPNS_17CUDAGeneratorImplEZZZNS4_16bernoulli_kernelIS7_EEvRNS_18TensorIteratorBaseEdT_ENKUlvE_clEvENKUlvE3_clEvEUlfE_EEvSA_T1_T2_EUlP25hiprandStatePhilox4_32_10E_ZNS1_27distribution_nullary_kernelIsf15HIP_vector_typeIdLj2EES7_SJ_SE_EEvSA_SG_RKT3_T4_EUlifE_EEvlNS_15PhiloxCudaStateESF_SG_.kd
    .uniform_work_group_size: 1
    .uses_dynamic_stack: false
    .vgpr_count:     43
    .vgpr_spill_count: 0
    .wavefront_size: 32
    .workgroup_processor_mode: 1
  - .args:
      - .offset:         0
        .size:           8
        .value_kind:     by_value
      - .offset:         8
        .size:           32
        .value_kind:     by_value
      - .offset:         40
        .size:           1
        .value_kind:     by_value
      - .offset:         48
        .size:           280
        .value_kind:     by_value
      - .offset:         328
        .size:           4
        .value_kind:     hidden_block_count_x
      - .offset:         332
        .size:           4
        .value_kind:     hidden_block_count_y
      - .offset:         336
        .size:           4
        .value_kind:     hidden_block_count_z
      - .offset:         340
        .size:           2
        .value_kind:     hidden_group_size_x
      - .offset:         342
        .size:           2
        .value_kind:     hidden_group_size_y
      - .offset:         344
        .size:           2
        .value_kind:     hidden_group_size_z
      - .offset:         346
        .size:           2
        .value_kind:     hidden_remainder_x
      - .offset:         348
        .size:           2
        .value_kind:     hidden_remainder_y
      - .offset:         350
        .size:           2
        .value_kind:     hidden_remainder_z
      - .offset:         368
        .size:           8
        .value_kind:     hidden_global_offset_x
      - .offset:         376
        .size:           8
        .value_kind:     hidden_global_offset_y
      - .offset:         384
        .size:           8
        .value_kind:     hidden_global_offset_z
      - .offset:         392
        .size:           2
        .value_kind:     hidden_grid_dims
    .group_segment_fixed_size: 0
    .kernarg_segment_align: 8
    .kernarg_segment_size: 584
    .language:       OpenCL C
    .language_version:
      - 2
      - 0
    .max_flat_workgroup_size: 256
    .name:           _ZN2at6native12_GLOBAL__N_143distribution_elementwise_grid_stride_kernelIfLi4EZNS0_9templates4cuda21uniform_and_transformIsfPNS_17CUDAGeneratorImplEZZZNS4_16bernoulli_kernelIS7_EEvRNS_18TensorIteratorBaseEdT_ENKUlvE_clEvENKUlvE3_clEvEUlfE_EEvSA_T1_T2_EUlP25hiprandStatePhilox4_32_10E_ZNS1_27distribution_nullary_kernelIsf15HIP_vector_typeIdLj2EES7_SJ_SE_EEvSA_SG_RKT3_T4_EUlifE0_EEvlNS_15PhiloxCudaStateESF_SG_
    .private_segment_fixed_size: 0
    .sgpr_count:     54
    .sgpr_spill_count: 0
    .symbol:         _ZN2at6native12_GLOBAL__N_143distribution_elementwise_grid_stride_kernelIfLi4EZNS0_9templates4cuda21uniform_and_transformIsfPNS_17CUDAGeneratorImplEZZZNS4_16bernoulli_kernelIS7_EEvRNS_18TensorIteratorBaseEdT_ENKUlvE_clEvENKUlvE3_clEvEUlfE_EEvSA_T1_T2_EUlP25hiprandStatePhilox4_32_10E_ZNS1_27distribution_nullary_kernelIsf15HIP_vector_typeIdLj2EES7_SJ_SE_EEvSA_SG_RKT3_T4_EUlifE0_EEvlNS_15PhiloxCudaStateESF_SG_.kd
    .uniform_work_group_size: 1
    .uses_dynamic_stack: false
    .vgpr_count:     45
    .vgpr_spill_count: 0
    .wavefront_size: 32
    .workgroup_processor_mode: 1
  - .args:
      - .offset:         0
        .size:           8
        .value_kind:     by_value
      - .offset:         8
        .size:           32
        .value_kind:     by_value
      - .offset:         40
        .size:           1
        .value_kind:     by_value
      - .offset:         48
        .size:           24
        .value_kind:     by_value
      - .offset:         72
        .size:           4
        .value_kind:     hidden_block_count_x
      - .offset:         76
        .size:           4
        .value_kind:     hidden_block_count_y
      - .offset:         80
        .size:           4
        .value_kind:     hidden_block_count_z
      - .offset:         84
        .size:           2
        .value_kind:     hidden_group_size_x
      - .offset:         86
        .size:           2
        .value_kind:     hidden_group_size_y
      - .offset:         88
        .size:           2
        .value_kind:     hidden_group_size_z
      - .offset:         90
        .size:           2
        .value_kind:     hidden_remainder_x
      - .offset:         92
        .size:           2
        .value_kind:     hidden_remainder_y
      - .offset:         94
        .size:           2
        .value_kind:     hidden_remainder_z
      - .offset:         112
        .size:           8
        .value_kind:     hidden_global_offset_x
      - .offset:         120
        .size:           8
        .value_kind:     hidden_global_offset_y
      - .offset:         128
        .size:           8
        .value_kind:     hidden_global_offset_z
      - .offset:         136
        .size:           2
        .value_kind:     hidden_grid_dims
    .group_segment_fixed_size: 0
    .kernarg_segment_align: 8
    .kernarg_segment_size: 328
    .language:       OpenCL C
    .language_version:
      - 2
      - 0
    .max_flat_workgroup_size: 256
    .name:           _ZN2at6native12_GLOBAL__N_143distribution_elementwise_grid_stride_kernelIfLi4EZNS0_9templates4cuda21uniform_and_transformIsfPNS_17CUDAGeneratorImplEZZZNS4_16bernoulli_kernelIS7_EEvRNS_18TensorIteratorBaseEdT_ENKUlvE_clEvENKUlvE3_clEvEUlfE_EEvSA_T1_T2_EUlP25hiprandStatePhilox4_32_10E0_ZNS1_27distribution_nullary_kernelIsf15HIP_vector_typeIfLj4EES7_SJ_SE_EEvSA_SG_RKT3_T4_EUlifE_EEvlNS_15PhiloxCudaStateESF_SG_
    .private_segment_fixed_size: 0
    .sgpr_count:     25
    .sgpr_spill_count: 0
    .symbol:         _ZN2at6native12_GLOBAL__N_143distribution_elementwise_grid_stride_kernelIfLi4EZNS0_9templates4cuda21uniform_and_transformIsfPNS_17CUDAGeneratorImplEZZZNS4_16bernoulli_kernelIS7_EEvRNS_18TensorIteratorBaseEdT_ENKUlvE_clEvENKUlvE3_clEvEUlfE_EEvSA_T1_T2_EUlP25hiprandStatePhilox4_32_10E0_ZNS1_27distribution_nullary_kernelIsf15HIP_vector_typeIfLj4EES7_SJ_SE_EEvSA_SG_RKT3_T4_EUlifE_EEvlNS_15PhiloxCudaStateESF_SG_.kd
    .uniform_work_group_size: 1
    .uses_dynamic_stack: false
    .vgpr_count:     45
    .vgpr_spill_count: 0
    .wavefront_size: 32
    .workgroup_processor_mode: 1
  - .args:
      - .offset:         0
        .size:           8
        .value_kind:     by_value
      - .offset:         8
        .size:           32
        .value_kind:     by_value
      - .offset:         40
        .size:           1
        .value_kind:     by_value
      - .offset:         48
        .size:           280
        .value_kind:     by_value
      - .offset:         328
        .size:           4
        .value_kind:     hidden_block_count_x
      - .offset:         332
        .size:           4
        .value_kind:     hidden_block_count_y
      - .offset:         336
        .size:           4
        .value_kind:     hidden_block_count_z
      - .offset:         340
        .size:           2
        .value_kind:     hidden_group_size_x
      - .offset:         342
        .size:           2
        .value_kind:     hidden_group_size_y
      - .offset:         344
        .size:           2
        .value_kind:     hidden_group_size_z
      - .offset:         346
        .size:           2
        .value_kind:     hidden_remainder_x
      - .offset:         348
        .size:           2
        .value_kind:     hidden_remainder_y
      - .offset:         350
        .size:           2
        .value_kind:     hidden_remainder_z
      - .offset:         368
        .size:           8
        .value_kind:     hidden_global_offset_x
      - .offset:         376
        .size:           8
        .value_kind:     hidden_global_offset_y
      - .offset:         384
        .size:           8
        .value_kind:     hidden_global_offset_z
      - .offset:         392
        .size:           2
        .value_kind:     hidden_grid_dims
    .group_segment_fixed_size: 0
    .kernarg_segment_align: 8
    .kernarg_segment_size: 584
    .language:       OpenCL C
    .language_version:
      - 2
      - 0
    .max_flat_workgroup_size: 256
    .name:           _ZN2at6native12_GLOBAL__N_143distribution_elementwise_grid_stride_kernelIfLi4EZNS0_9templates4cuda21uniform_and_transformIsfPNS_17CUDAGeneratorImplEZZZNS4_16bernoulli_kernelIS7_EEvRNS_18TensorIteratorBaseEdT_ENKUlvE_clEvENKUlvE3_clEvEUlfE_EEvSA_T1_T2_EUlP25hiprandStatePhilox4_32_10E0_ZNS1_27distribution_nullary_kernelIsf15HIP_vector_typeIfLj4EES7_SJ_SE_EEvSA_SG_RKT3_T4_EUlifE0_EEvlNS_15PhiloxCudaStateESF_SG_
    .private_segment_fixed_size: 0
    .sgpr_count:     58
    .sgpr_spill_count: 0
    .symbol:         _ZN2at6native12_GLOBAL__N_143distribution_elementwise_grid_stride_kernelIfLi4EZNS0_9templates4cuda21uniform_and_transformIsfPNS_17CUDAGeneratorImplEZZZNS4_16bernoulli_kernelIS7_EEvRNS_18TensorIteratorBaseEdT_ENKUlvE_clEvENKUlvE3_clEvEUlfE_EEvSA_T1_T2_EUlP25hiprandStatePhilox4_32_10E0_ZNS1_27distribution_nullary_kernelIsf15HIP_vector_typeIfLj4EES7_SJ_SE_EEvSA_SG_RKT3_T4_EUlifE0_EEvlNS_15PhiloxCudaStateESF_SG_.kd
    .uniform_work_group_size: 1
    .uses_dynamic_stack: false
    .vgpr_count:     45
    .vgpr_spill_count: 0
    .wavefront_size: 32
    .workgroup_processor_mode: 1
  - .args:
      - .offset:         0
        .size:           8
        .value_kind:     by_value
      - .offset:         8
        .size:           32
        .value_kind:     by_value
      - .offset:         40
        .size:           1
        .value_kind:     by_value
      - .offset:         48
        .size:           24
        .value_kind:     by_value
      - .offset:         72
        .size:           4
        .value_kind:     hidden_block_count_x
      - .offset:         76
        .size:           4
        .value_kind:     hidden_block_count_y
      - .offset:         80
        .size:           4
        .value_kind:     hidden_block_count_z
      - .offset:         84
        .size:           2
        .value_kind:     hidden_group_size_x
      - .offset:         86
        .size:           2
        .value_kind:     hidden_group_size_y
      - .offset:         88
        .size:           2
        .value_kind:     hidden_group_size_z
      - .offset:         90
        .size:           2
        .value_kind:     hidden_remainder_x
      - .offset:         92
        .size:           2
        .value_kind:     hidden_remainder_y
      - .offset:         94
        .size:           2
        .value_kind:     hidden_remainder_z
      - .offset:         112
        .size:           8
        .value_kind:     hidden_global_offset_x
      - .offset:         120
        .size:           8
        .value_kind:     hidden_global_offset_y
      - .offset:         128
        .size:           8
        .value_kind:     hidden_global_offset_z
      - .offset:         136
        .size:           2
        .value_kind:     hidden_grid_dims
    .group_segment_fixed_size: 0
    .kernarg_segment_align: 8
    .kernarg_segment_size: 328
    .language:       OpenCL C
    .language_version:
      - 2
      - 0
    .max_flat_workgroup_size: 256
    .name:           _ZN2at6native12_GLOBAL__N_143distribution_elementwise_grid_stride_kernelIdLi2EZNS0_9templates4cuda21uniform_and_transformIddPNS_17CUDAGeneratorImplEZZZNS4_16bernoulli_kernelIS7_EEvRNS_18TensorIteratorBaseEdT_ENKUlvE_clEvENKUlvE4_clEvEUldE_EEvSA_T1_T2_EUlP25hiprandStatePhilox4_32_10E_ZNS1_27distribution_nullary_kernelIdd15HIP_vector_typeIdLj2EES7_SJ_SE_EEvSA_SG_RKT3_T4_EUlidE_EEvlNS_15PhiloxCudaStateESF_SG_
    .private_segment_fixed_size: 0
    .sgpr_count:     25
    .sgpr_spill_count: 0
    .symbol:         _ZN2at6native12_GLOBAL__N_143distribution_elementwise_grid_stride_kernelIdLi2EZNS0_9templates4cuda21uniform_and_transformIddPNS_17CUDAGeneratorImplEZZZNS4_16bernoulli_kernelIS7_EEvRNS_18TensorIteratorBaseEdT_ENKUlvE_clEvENKUlvE4_clEvEUldE_EEvSA_T1_T2_EUlP25hiprandStatePhilox4_32_10E_ZNS1_27distribution_nullary_kernelIdd15HIP_vector_typeIdLj2EES7_SJ_SE_EEvSA_SG_RKT3_T4_EUlidE_EEvlNS_15PhiloxCudaStateESF_SG_.kd
    .uniform_work_group_size: 1
    .uses_dynamic_stack: false
    .vgpr_count:     44
    .vgpr_spill_count: 0
    .wavefront_size: 32
    .workgroup_processor_mode: 1
  - .args:
      - .offset:         0
        .size:           8
        .value_kind:     by_value
      - .offset:         8
        .size:           32
        .value_kind:     by_value
      - .offset:         40
        .size:           1
        .value_kind:     by_value
      - .offset:         48
        .size:           280
        .value_kind:     by_value
      - .offset:         328
        .size:           4
        .value_kind:     hidden_block_count_x
      - .offset:         332
        .size:           4
        .value_kind:     hidden_block_count_y
      - .offset:         336
        .size:           4
        .value_kind:     hidden_block_count_z
      - .offset:         340
        .size:           2
        .value_kind:     hidden_group_size_x
      - .offset:         342
        .size:           2
        .value_kind:     hidden_group_size_y
      - .offset:         344
        .size:           2
        .value_kind:     hidden_group_size_z
      - .offset:         346
        .size:           2
        .value_kind:     hidden_remainder_x
      - .offset:         348
        .size:           2
        .value_kind:     hidden_remainder_y
      - .offset:         350
        .size:           2
        .value_kind:     hidden_remainder_z
      - .offset:         368
        .size:           8
        .value_kind:     hidden_global_offset_x
      - .offset:         376
        .size:           8
        .value_kind:     hidden_global_offset_y
      - .offset:         384
        .size:           8
        .value_kind:     hidden_global_offset_z
      - .offset:         392
        .size:           2
        .value_kind:     hidden_grid_dims
    .group_segment_fixed_size: 0
    .kernarg_segment_align: 8
    .kernarg_segment_size: 584
    .language:       OpenCL C
    .language_version:
      - 2
      - 0
    .max_flat_workgroup_size: 256
    .name:           _ZN2at6native12_GLOBAL__N_143distribution_elementwise_grid_stride_kernelIdLi2EZNS0_9templates4cuda21uniform_and_transformIddPNS_17CUDAGeneratorImplEZZZNS4_16bernoulli_kernelIS7_EEvRNS_18TensorIteratorBaseEdT_ENKUlvE_clEvENKUlvE4_clEvEUldE_EEvSA_T1_T2_EUlP25hiprandStatePhilox4_32_10E_ZNS1_27distribution_nullary_kernelIdd15HIP_vector_typeIdLj2EES7_SJ_SE_EEvSA_SG_RKT3_T4_EUlidE0_EEvlNS_15PhiloxCudaStateESF_SG_
    .private_segment_fixed_size: 0
    .sgpr_count:     58
    .sgpr_spill_count: 0
    .symbol:         _ZN2at6native12_GLOBAL__N_143distribution_elementwise_grid_stride_kernelIdLi2EZNS0_9templates4cuda21uniform_and_transformIddPNS_17CUDAGeneratorImplEZZZNS4_16bernoulli_kernelIS7_EEvRNS_18TensorIteratorBaseEdT_ENKUlvE_clEvENKUlvE4_clEvEUldE_EEvSA_T1_T2_EUlP25hiprandStatePhilox4_32_10E_ZNS1_27distribution_nullary_kernelIdd15HIP_vector_typeIdLj2EES7_SJ_SE_EEvSA_SG_RKT3_T4_EUlidE0_EEvlNS_15PhiloxCudaStateESF_SG_.kd
    .uniform_work_group_size: 1
    .uses_dynamic_stack: false
    .vgpr_count:     45
    .vgpr_spill_count: 0
    .wavefront_size: 32
    .workgroup_processor_mode: 1
  - .args:
      - .offset:         0
        .size:           8
        .value_kind:     by_value
      - .offset:         8
        .size:           32
        .value_kind:     by_value
      - .offset:         40
        .size:           1
        .value_kind:     by_value
      - .offset:         48
        .size:           24
        .value_kind:     by_value
      - .offset:         72
        .size:           4
        .value_kind:     hidden_block_count_x
      - .offset:         76
        .size:           4
        .value_kind:     hidden_block_count_y
      - .offset:         80
        .size:           4
        .value_kind:     hidden_block_count_z
      - .offset:         84
        .size:           2
        .value_kind:     hidden_group_size_x
      - .offset:         86
        .size:           2
        .value_kind:     hidden_group_size_y
      - .offset:         88
        .size:           2
        .value_kind:     hidden_group_size_z
      - .offset:         90
        .size:           2
        .value_kind:     hidden_remainder_x
      - .offset:         92
        .size:           2
        .value_kind:     hidden_remainder_y
      - .offset:         94
        .size:           2
        .value_kind:     hidden_remainder_z
      - .offset:         112
        .size:           8
        .value_kind:     hidden_global_offset_x
      - .offset:         120
        .size:           8
        .value_kind:     hidden_global_offset_y
      - .offset:         128
        .size:           8
        .value_kind:     hidden_global_offset_z
      - .offset:         136
        .size:           2
        .value_kind:     hidden_grid_dims
    .group_segment_fixed_size: 0
    .kernarg_segment_align: 8
    .kernarg_segment_size: 328
    .language:       OpenCL C
    .language_version:
      - 2
      - 0
    .max_flat_workgroup_size: 256
    .name:           _ZN2at6native12_GLOBAL__N_143distribution_elementwise_grid_stride_kernelIdLi2EZNS0_9templates4cuda21uniform_and_transformIddPNS_17CUDAGeneratorImplEZZZNS4_16bernoulli_kernelIS7_EEvRNS_18TensorIteratorBaseEdT_ENKUlvE_clEvENKUlvE4_clEvEUldE_EEvSA_T1_T2_EUlP25hiprandStatePhilox4_32_10E0_ZNS1_27distribution_nullary_kernelIdd15HIP_vector_typeIfLj4EES7_SJ_SE_EEvSA_SG_RKT3_T4_EUlidE_EEvlNS_15PhiloxCudaStateESF_SG_
    .private_segment_fixed_size: 0
    .sgpr_count:     25
    .sgpr_spill_count: 0
    .symbol:         _ZN2at6native12_GLOBAL__N_143distribution_elementwise_grid_stride_kernelIdLi2EZNS0_9templates4cuda21uniform_and_transformIddPNS_17CUDAGeneratorImplEZZZNS4_16bernoulli_kernelIS7_EEvRNS_18TensorIteratorBaseEdT_ENKUlvE_clEvENKUlvE4_clEvEUldE_EEvSA_T1_T2_EUlP25hiprandStatePhilox4_32_10E0_ZNS1_27distribution_nullary_kernelIdd15HIP_vector_typeIfLj4EES7_SJ_SE_EEvSA_SG_RKT3_T4_EUlidE_EEvlNS_15PhiloxCudaStateESF_SG_.kd
    .uniform_work_group_size: 1
    .uses_dynamic_stack: false
    .vgpr_count:     44
    .vgpr_spill_count: 0
    .wavefront_size: 32
    .workgroup_processor_mode: 1
  - .args:
      - .offset:         0
        .size:           8
        .value_kind:     by_value
      - .offset:         8
        .size:           32
        .value_kind:     by_value
      - .offset:         40
        .size:           1
        .value_kind:     by_value
      - .offset:         48
        .size:           280
        .value_kind:     by_value
      - .offset:         328
        .size:           4
        .value_kind:     hidden_block_count_x
      - .offset:         332
        .size:           4
        .value_kind:     hidden_block_count_y
      - .offset:         336
        .size:           4
        .value_kind:     hidden_block_count_z
      - .offset:         340
        .size:           2
        .value_kind:     hidden_group_size_x
      - .offset:         342
        .size:           2
        .value_kind:     hidden_group_size_y
      - .offset:         344
        .size:           2
        .value_kind:     hidden_group_size_z
      - .offset:         346
        .size:           2
        .value_kind:     hidden_remainder_x
      - .offset:         348
        .size:           2
        .value_kind:     hidden_remainder_y
      - .offset:         350
        .size:           2
        .value_kind:     hidden_remainder_z
      - .offset:         368
        .size:           8
        .value_kind:     hidden_global_offset_x
      - .offset:         376
        .size:           8
        .value_kind:     hidden_global_offset_y
      - .offset:         384
        .size:           8
        .value_kind:     hidden_global_offset_z
      - .offset:         392
        .size:           2
        .value_kind:     hidden_grid_dims
    .group_segment_fixed_size: 0
    .kernarg_segment_align: 8
    .kernarg_segment_size: 584
    .language:       OpenCL C
    .language_version:
      - 2
      - 0
    .max_flat_workgroup_size: 256
    .name:           _ZN2at6native12_GLOBAL__N_143distribution_elementwise_grid_stride_kernelIdLi2EZNS0_9templates4cuda21uniform_and_transformIddPNS_17CUDAGeneratorImplEZZZNS4_16bernoulli_kernelIS7_EEvRNS_18TensorIteratorBaseEdT_ENKUlvE_clEvENKUlvE4_clEvEUldE_EEvSA_T1_T2_EUlP25hiprandStatePhilox4_32_10E0_ZNS1_27distribution_nullary_kernelIdd15HIP_vector_typeIfLj4EES7_SJ_SE_EEvSA_SG_RKT3_T4_EUlidE0_EEvlNS_15PhiloxCudaStateESF_SG_
    .private_segment_fixed_size: 0
    .sgpr_count:     58
    .sgpr_spill_count: 0
    .symbol:         _ZN2at6native12_GLOBAL__N_143distribution_elementwise_grid_stride_kernelIdLi2EZNS0_9templates4cuda21uniform_and_transformIddPNS_17CUDAGeneratorImplEZZZNS4_16bernoulli_kernelIS7_EEvRNS_18TensorIteratorBaseEdT_ENKUlvE_clEvENKUlvE4_clEvEUldE_EEvSA_T1_T2_EUlP25hiprandStatePhilox4_32_10E0_ZNS1_27distribution_nullary_kernelIdd15HIP_vector_typeIfLj4EES7_SJ_SE_EEvSA_SG_RKT3_T4_EUlidE0_EEvlNS_15PhiloxCudaStateESF_SG_.kd
    .uniform_work_group_size: 1
    .uses_dynamic_stack: false
    .vgpr_count:     43
    .vgpr_spill_count: 0
    .wavefront_size: 32
    .workgroup_processor_mode: 1
  - .args:
      - .offset:         0
        .size:           8
        .value_kind:     by_value
      - .offset:         8
        .size:           32
        .value_kind:     by_value
      - .offset:         40
        .size:           1
        .value_kind:     by_value
      - .offset:         48
        .size:           24
        .value_kind:     by_value
      - .offset:         72
        .size:           4
        .value_kind:     hidden_block_count_x
      - .offset:         76
        .size:           4
        .value_kind:     hidden_block_count_y
      - .offset:         80
        .size:           4
        .value_kind:     hidden_block_count_z
      - .offset:         84
        .size:           2
        .value_kind:     hidden_group_size_x
      - .offset:         86
        .size:           2
        .value_kind:     hidden_group_size_y
      - .offset:         88
        .size:           2
        .value_kind:     hidden_group_size_z
      - .offset:         90
        .size:           2
        .value_kind:     hidden_remainder_x
      - .offset:         92
        .size:           2
        .value_kind:     hidden_remainder_y
      - .offset:         94
        .size:           2
        .value_kind:     hidden_remainder_z
      - .offset:         112
        .size:           8
        .value_kind:     hidden_global_offset_x
      - .offset:         120
        .size:           8
        .value_kind:     hidden_global_offset_y
      - .offset:         128
        .size:           8
        .value_kind:     hidden_global_offset_z
      - .offset:         136
        .size:           2
        .value_kind:     hidden_grid_dims
    .group_segment_fixed_size: 0
    .kernarg_segment_align: 8
    .kernarg_segment_size: 328
    .language:       OpenCL C
    .language_version:
      - 2
      - 0
    .max_flat_workgroup_size: 256
    .name:           _ZN2at6native12_GLOBAL__N_143distribution_elementwise_grid_stride_kernelIfLi4EZNS0_9templates4cuda21uniform_and_transformIffPNS_17CUDAGeneratorImplEZZZNS4_16bernoulli_kernelIS7_EEvRNS_18TensorIteratorBaseEdT_ENKUlvE_clEvENKUlvE5_clEvEUlfE_EEvSA_T1_T2_EUlP25hiprandStatePhilox4_32_10E_ZNS1_27distribution_nullary_kernelIff15HIP_vector_typeIdLj2EES7_SJ_SE_EEvSA_SG_RKT3_T4_EUlifE_EEvlNS_15PhiloxCudaStateESF_SG_
    .private_segment_fixed_size: 0
    .sgpr_count:     25
    .sgpr_spill_count: 0
    .symbol:         _ZN2at6native12_GLOBAL__N_143distribution_elementwise_grid_stride_kernelIfLi4EZNS0_9templates4cuda21uniform_and_transformIffPNS_17CUDAGeneratorImplEZZZNS4_16bernoulli_kernelIS7_EEvRNS_18TensorIteratorBaseEdT_ENKUlvE_clEvENKUlvE5_clEvEUlfE_EEvSA_T1_T2_EUlP25hiprandStatePhilox4_32_10E_ZNS1_27distribution_nullary_kernelIff15HIP_vector_typeIdLj2EES7_SJ_SE_EEvSA_SG_RKT3_T4_EUlifE_EEvlNS_15PhiloxCudaStateESF_SG_.kd
    .uniform_work_group_size: 1
    .uses_dynamic_stack: false
    .vgpr_count:     43
    .vgpr_spill_count: 0
    .wavefront_size: 32
    .workgroup_processor_mode: 1
  - .args:
      - .offset:         0
        .size:           8
        .value_kind:     by_value
      - .offset:         8
        .size:           32
        .value_kind:     by_value
      - .offset:         40
        .size:           1
        .value_kind:     by_value
      - .offset:         48
        .size:           280
        .value_kind:     by_value
      - .offset:         328
        .size:           4
        .value_kind:     hidden_block_count_x
      - .offset:         332
        .size:           4
        .value_kind:     hidden_block_count_y
      - .offset:         336
        .size:           4
        .value_kind:     hidden_block_count_z
      - .offset:         340
        .size:           2
        .value_kind:     hidden_group_size_x
      - .offset:         342
        .size:           2
        .value_kind:     hidden_group_size_y
      - .offset:         344
        .size:           2
        .value_kind:     hidden_group_size_z
      - .offset:         346
        .size:           2
        .value_kind:     hidden_remainder_x
      - .offset:         348
        .size:           2
        .value_kind:     hidden_remainder_y
      - .offset:         350
        .size:           2
        .value_kind:     hidden_remainder_z
      - .offset:         368
        .size:           8
        .value_kind:     hidden_global_offset_x
      - .offset:         376
        .size:           8
        .value_kind:     hidden_global_offset_y
      - .offset:         384
        .size:           8
        .value_kind:     hidden_global_offset_z
      - .offset:         392
        .size:           2
        .value_kind:     hidden_grid_dims
    .group_segment_fixed_size: 0
    .kernarg_segment_align: 8
    .kernarg_segment_size: 584
    .language:       OpenCL C
    .language_version:
      - 2
      - 0
    .max_flat_workgroup_size: 256
    .name:           _ZN2at6native12_GLOBAL__N_143distribution_elementwise_grid_stride_kernelIfLi4EZNS0_9templates4cuda21uniform_and_transformIffPNS_17CUDAGeneratorImplEZZZNS4_16bernoulli_kernelIS7_EEvRNS_18TensorIteratorBaseEdT_ENKUlvE_clEvENKUlvE5_clEvEUlfE_EEvSA_T1_T2_EUlP25hiprandStatePhilox4_32_10E_ZNS1_27distribution_nullary_kernelIff15HIP_vector_typeIdLj2EES7_SJ_SE_EEvSA_SG_RKT3_T4_EUlifE0_EEvlNS_15PhiloxCudaStateESF_SG_
    .private_segment_fixed_size: 0
    .sgpr_count:     54
    .sgpr_spill_count: 0
    .symbol:         _ZN2at6native12_GLOBAL__N_143distribution_elementwise_grid_stride_kernelIfLi4EZNS0_9templates4cuda21uniform_and_transformIffPNS_17CUDAGeneratorImplEZZZNS4_16bernoulli_kernelIS7_EEvRNS_18TensorIteratorBaseEdT_ENKUlvE_clEvENKUlvE5_clEvEUlfE_EEvSA_T1_T2_EUlP25hiprandStatePhilox4_32_10E_ZNS1_27distribution_nullary_kernelIff15HIP_vector_typeIdLj2EES7_SJ_SE_EEvSA_SG_RKT3_T4_EUlifE0_EEvlNS_15PhiloxCudaStateESF_SG_.kd
    .uniform_work_group_size: 1
    .uses_dynamic_stack: false
    .vgpr_count:     45
    .vgpr_spill_count: 0
    .wavefront_size: 32
    .workgroup_processor_mode: 1
  - .args:
      - .offset:         0
        .size:           8
        .value_kind:     by_value
      - .offset:         8
        .size:           32
        .value_kind:     by_value
      - .offset:         40
        .size:           1
        .value_kind:     by_value
      - .offset:         48
        .size:           24
        .value_kind:     by_value
      - .offset:         72
        .size:           4
        .value_kind:     hidden_block_count_x
      - .offset:         76
        .size:           4
        .value_kind:     hidden_block_count_y
      - .offset:         80
        .size:           4
        .value_kind:     hidden_block_count_z
      - .offset:         84
        .size:           2
        .value_kind:     hidden_group_size_x
      - .offset:         86
        .size:           2
        .value_kind:     hidden_group_size_y
      - .offset:         88
        .size:           2
        .value_kind:     hidden_group_size_z
      - .offset:         90
        .size:           2
        .value_kind:     hidden_remainder_x
      - .offset:         92
        .size:           2
        .value_kind:     hidden_remainder_y
      - .offset:         94
        .size:           2
        .value_kind:     hidden_remainder_z
      - .offset:         112
        .size:           8
        .value_kind:     hidden_global_offset_x
      - .offset:         120
        .size:           8
        .value_kind:     hidden_global_offset_y
      - .offset:         128
        .size:           8
        .value_kind:     hidden_global_offset_z
      - .offset:         136
        .size:           2
        .value_kind:     hidden_grid_dims
    .group_segment_fixed_size: 0
    .kernarg_segment_align: 8
    .kernarg_segment_size: 328
    .language:       OpenCL C
    .language_version:
      - 2
      - 0
    .max_flat_workgroup_size: 256
    .name:           _ZN2at6native12_GLOBAL__N_143distribution_elementwise_grid_stride_kernelIfLi4EZNS0_9templates4cuda21uniform_and_transformIffPNS_17CUDAGeneratorImplEZZZNS4_16bernoulli_kernelIS7_EEvRNS_18TensorIteratorBaseEdT_ENKUlvE_clEvENKUlvE5_clEvEUlfE_EEvSA_T1_T2_EUlP25hiprandStatePhilox4_32_10E0_ZNS1_27distribution_nullary_kernelIff15HIP_vector_typeIfLj4EES7_SJ_SE_EEvSA_SG_RKT3_T4_EUlifE_EEvlNS_15PhiloxCudaStateESF_SG_
    .private_segment_fixed_size: 0
    .sgpr_count:     25
    .sgpr_spill_count: 0
    .symbol:         _ZN2at6native12_GLOBAL__N_143distribution_elementwise_grid_stride_kernelIfLi4EZNS0_9templates4cuda21uniform_and_transformIffPNS_17CUDAGeneratorImplEZZZNS4_16bernoulli_kernelIS7_EEvRNS_18TensorIteratorBaseEdT_ENKUlvE_clEvENKUlvE5_clEvEUlfE_EEvSA_T1_T2_EUlP25hiprandStatePhilox4_32_10E0_ZNS1_27distribution_nullary_kernelIff15HIP_vector_typeIfLj4EES7_SJ_SE_EEvSA_SG_RKT3_T4_EUlifE_EEvlNS_15PhiloxCudaStateESF_SG_.kd
    .uniform_work_group_size: 1
    .uses_dynamic_stack: false
    .vgpr_count:     45
    .vgpr_spill_count: 0
    .wavefront_size: 32
    .workgroup_processor_mode: 1
  - .args:
      - .offset:         0
        .size:           8
        .value_kind:     by_value
      - .offset:         8
        .size:           32
        .value_kind:     by_value
      - .offset:         40
        .size:           1
        .value_kind:     by_value
      - .offset:         48
        .size:           280
        .value_kind:     by_value
      - .offset:         328
        .size:           4
        .value_kind:     hidden_block_count_x
      - .offset:         332
        .size:           4
        .value_kind:     hidden_block_count_y
      - .offset:         336
        .size:           4
        .value_kind:     hidden_block_count_z
      - .offset:         340
        .size:           2
        .value_kind:     hidden_group_size_x
      - .offset:         342
        .size:           2
        .value_kind:     hidden_group_size_y
      - .offset:         344
        .size:           2
        .value_kind:     hidden_group_size_z
      - .offset:         346
        .size:           2
        .value_kind:     hidden_remainder_x
      - .offset:         348
        .size:           2
        .value_kind:     hidden_remainder_y
      - .offset:         350
        .size:           2
        .value_kind:     hidden_remainder_z
      - .offset:         368
        .size:           8
        .value_kind:     hidden_global_offset_x
      - .offset:         376
        .size:           8
        .value_kind:     hidden_global_offset_y
      - .offset:         384
        .size:           8
        .value_kind:     hidden_global_offset_z
      - .offset:         392
        .size:           2
        .value_kind:     hidden_grid_dims
    .group_segment_fixed_size: 0
    .kernarg_segment_align: 8
    .kernarg_segment_size: 584
    .language:       OpenCL C
    .language_version:
      - 2
      - 0
    .max_flat_workgroup_size: 256
    .name:           _ZN2at6native12_GLOBAL__N_143distribution_elementwise_grid_stride_kernelIfLi4EZNS0_9templates4cuda21uniform_and_transformIffPNS_17CUDAGeneratorImplEZZZNS4_16bernoulli_kernelIS7_EEvRNS_18TensorIteratorBaseEdT_ENKUlvE_clEvENKUlvE5_clEvEUlfE_EEvSA_T1_T2_EUlP25hiprandStatePhilox4_32_10E0_ZNS1_27distribution_nullary_kernelIff15HIP_vector_typeIfLj4EES7_SJ_SE_EEvSA_SG_RKT3_T4_EUlifE0_EEvlNS_15PhiloxCudaStateESF_SG_
    .private_segment_fixed_size: 0
    .sgpr_count:     58
    .sgpr_spill_count: 0
    .symbol:         _ZN2at6native12_GLOBAL__N_143distribution_elementwise_grid_stride_kernelIfLi4EZNS0_9templates4cuda21uniform_and_transformIffPNS_17CUDAGeneratorImplEZZZNS4_16bernoulli_kernelIS7_EEvRNS_18TensorIteratorBaseEdT_ENKUlvE_clEvENKUlvE5_clEvEUlfE_EEvSA_T1_T2_EUlP25hiprandStatePhilox4_32_10E0_ZNS1_27distribution_nullary_kernelIff15HIP_vector_typeIfLj4EES7_SJ_SE_EEvSA_SG_RKT3_T4_EUlifE0_EEvlNS_15PhiloxCudaStateESF_SG_.kd
    .uniform_work_group_size: 1
    .uses_dynamic_stack: false
    .vgpr_count:     45
    .vgpr_spill_count: 0
    .wavefront_size: 32
    .workgroup_processor_mode: 1
  - .args:
      - .offset:         0
        .size:           8
        .value_kind:     by_value
      - .offset:         8
        .size:           32
        .value_kind:     by_value
      - .offset:         40
        .size:           1
        .value_kind:     by_value
      - .offset:         48
        .size:           24
        .value_kind:     by_value
      - .offset:         72
        .size:           4
        .value_kind:     hidden_block_count_x
      - .offset:         76
        .size:           4
        .value_kind:     hidden_block_count_y
      - .offset:         80
        .size:           4
        .value_kind:     hidden_block_count_z
      - .offset:         84
        .size:           2
        .value_kind:     hidden_group_size_x
      - .offset:         86
        .size:           2
        .value_kind:     hidden_group_size_y
      - .offset:         88
        .size:           2
        .value_kind:     hidden_group_size_z
      - .offset:         90
        .size:           2
        .value_kind:     hidden_remainder_x
      - .offset:         92
        .size:           2
        .value_kind:     hidden_remainder_y
      - .offset:         94
        .size:           2
        .value_kind:     hidden_remainder_z
      - .offset:         112
        .size:           8
        .value_kind:     hidden_global_offset_x
      - .offset:         120
        .size:           8
        .value_kind:     hidden_global_offset_y
      - .offset:         128
        .size:           8
        .value_kind:     hidden_global_offset_z
      - .offset:         136
        .size:           2
        .value_kind:     hidden_grid_dims
    .group_segment_fixed_size: 0
    .kernarg_segment_align: 8
    .kernarg_segment_size: 328
    .language:       OpenCL C
    .language_version:
      - 2
      - 0
    .max_flat_workgroup_size: 256
    .name:           _ZN2at6native12_GLOBAL__N_143distribution_elementwise_grid_stride_kernelIfLi4EZNS0_9templates4cuda21uniform_and_transformIN3c104HalfEfPNS_17CUDAGeneratorImplEZZZNS4_16bernoulli_kernelIS9_EEvRNS_18TensorIteratorBaseEdT_ENKUlvE_clEvENKUlvE6_clEvEUlfE_EEvSC_T1_T2_EUlP25hiprandStatePhilox4_32_10E_ZNS1_27distribution_nullary_kernelIS7_f15HIP_vector_typeIdLj2EES9_SL_SG_EEvSC_SI_RKT3_T4_EUlifE_EEvlNS_15PhiloxCudaStateESH_SI_
    .private_segment_fixed_size: 0
    .sgpr_count:     25
    .sgpr_spill_count: 0
    .symbol:         _ZN2at6native12_GLOBAL__N_143distribution_elementwise_grid_stride_kernelIfLi4EZNS0_9templates4cuda21uniform_and_transformIN3c104HalfEfPNS_17CUDAGeneratorImplEZZZNS4_16bernoulli_kernelIS9_EEvRNS_18TensorIteratorBaseEdT_ENKUlvE_clEvENKUlvE6_clEvEUlfE_EEvSC_T1_T2_EUlP25hiprandStatePhilox4_32_10E_ZNS1_27distribution_nullary_kernelIS7_f15HIP_vector_typeIdLj2EES9_SL_SG_EEvSC_SI_RKT3_T4_EUlifE_EEvlNS_15PhiloxCudaStateESH_SI_.kd
    .uniform_work_group_size: 1
    .uses_dynamic_stack: false
    .vgpr_count:     43
    .vgpr_spill_count: 0
    .wavefront_size: 32
    .workgroup_processor_mode: 1
  - .args:
      - .offset:         0
        .size:           8
        .value_kind:     by_value
      - .offset:         8
        .size:           32
        .value_kind:     by_value
      - .offset:         40
        .size:           1
        .value_kind:     by_value
      - .offset:         48
        .size:           280
        .value_kind:     by_value
      - .offset:         328
        .size:           4
        .value_kind:     hidden_block_count_x
      - .offset:         332
        .size:           4
        .value_kind:     hidden_block_count_y
      - .offset:         336
        .size:           4
        .value_kind:     hidden_block_count_z
      - .offset:         340
        .size:           2
        .value_kind:     hidden_group_size_x
      - .offset:         342
        .size:           2
        .value_kind:     hidden_group_size_y
      - .offset:         344
        .size:           2
        .value_kind:     hidden_group_size_z
      - .offset:         346
        .size:           2
        .value_kind:     hidden_remainder_x
      - .offset:         348
        .size:           2
        .value_kind:     hidden_remainder_y
      - .offset:         350
        .size:           2
        .value_kind:     hidden_remainder_z
      - .offset:         368
        .size:           8
        .value_kind:     hidden_global_offset_x
      - .offset:         376
        .size:           8
        .value_kind:     hidden_global_offset_y
      - .offset:         384
        .size:           8
        .value_kind:     hidden_global_offset_z
      - .offset:         392
        .size:           2
        .value_kind:     hidden_grid_dims
    .group_segment_fixed_size: 0
    .kernarg_segment_align: 8
    .kernarg_segment_size: 584
    .language:       OpenCL C
    .language_version:
      - 2
      - 0
    .max_flat_workgroup_size: 256
    .name:           _ZN2at6native12_GLOBAL__N_143distribution_elementwise_grid_stride_kernelIfLi4EZNS0_9templates4cuda21uniform_and_transformIN3c104HalfEfPNS_17CUDAGeneratorImplEZZZNS4_16bernoulli_kernelIS9_EEvRNS_18TensorIteratorBaseEdT_ENKUlvE_clEvENKUlvE6_clEvEUlfE_EEvSC_T1_T2_EUlP25hiprandStatePhilox4_32_10E_ZNS1_27distribution_nullary_kernelIS7_f15HIP_vector_typeIdLj2EES9_SL_SG_EEvSC_SI_RKT3_T4_EUlifE0_EEvlNS_15PhiloxCudaStateESH_SI_
    .private_segment_fixed_size: 0
    .sgpr_count:     54
    .sgpr_spill_count: 0
    .symbol:         _ZN2at6native12_GLOBAL__N_143distribution_elementwise_grid_stride_kernelIfLi4EZNS0_9templates4cuda21uniform_and_transformIN3c104HalfEfPNS_17CUDAGeneratorImplEZZZNS4_16bernoulli_kernelIS9_EEvRNS_18TensorIteratorBaseEdT_ENKUlvE_clEvENKUlvE6_clEvEUlfE_EEvSC_T1_T2_EUlP25hiprandStatePhilox4_32_10E_ZNS1_27distribution_nullary_kernelIS7_f15HIP_vector_typeIdLj2EES9_SL_SG_EEvSC_SI_RKT3_T4_EUlifE0_EEvlNS_15PhiloxCudaStateESH_SI_.kd
    .uniform_work_group_size: 1
    .uses_dynamic_stack: false
    .vgpr_count:     45
    .vgpr_spill_count: 0
    .wavefront_size: 32
    .workgroup_processor_mode: 1
  - .args:
      - .offset:         0
        .size:           8
        .value_kind:     by_value
      - .offset:         8
        .size:           32
        .value_kind:     by_value
      - .offset:         40
        .size:           1
        .value_kind:     by_value
      - .offset:         48
        .size:           24
        .value_kind:     by_value
      - .offset:         72
        .size:           4
        .value_kind:     hidden_block_count_x
      - .offset:         76
        .size:           4
        .value_kind:     hidden_block_count_y
      - .offset:         80
        .size:           4
        .value_kind:     hidden_block_count_z
      - .offset:         84
        .size:           2
        .value_kind:     hidden_group_size_x
      - .offset:         86
        .size:           2
        .value_kind:     hidden_group_size_y
      - .offset:         88
        .size:           2
        .value_kind:     hidden_group_size_z
      - .offset:         90
        .size:           2
        .value_kind:     hidden_remainder_x
      - .offset:         92
        .size:           2
        .value_kind:     hidden_remainder_y
      - .offset:         94
        .size:           2
        .value_kind:     hidden_remainder_z
      - .offset:         112
        .size:           8
        .value_kind:     hidden_global_offset_x
      - .offset:         120
        .size:           8
        .value_kind:     hidden_global_offset_y
      - .offset:         128
        .size:           8
        .value_kind:     hidden_global_offset_z
      - .offset:         136
        .size:           2
        .value_kind:     hidden_grid_dims
    .group_segment_fixed_size: 0
    .kernarg_segment_align: 8
    .kernarg_segment_size: 328
    .language:       OpenCL C
    .language_version:
      - 2
      - 0
    .max_flat_workgroup_size: 256
    .name:           _ZN2at6native12_GLOBAL__N_143distribution_elementwise_grid_stride_kernelIfLi4EZNS0_9templates4cuda21uniform_and_transformIN3c104HalfEfPNS_17CUDAGeneratorImplEZZZNS4_16bernoulli_kernelIS9_EEvRNS_18TensorIteratorBaseEdT_ENKUlvE_clEvENKUlvE6_clEvEUlfE_EEvSC_T1_T2_EUlP25hiprandStatePhilox4_32_10E0_ZNS1_27distribution_nullary_kernelIS7_f15HIP_vector_typeIfLj4EES9_SL_SG_EEvSC_SI_RKT3_T4_EUlifE_EEvlNS_15PhiloxCudaStateESH_SI_
    .private_segment_fixed_size: 0
    .sgpr_count:     25
    .sgpr_spill_count: 0
    .symbol:         _ZN2at6native12_GLOBAL__N_143distribution_elementwise_grid_stride_kernelIfLi4EZNS0_9templates4cuda21uniform_and_transformIN3c104HalfEfPNS_17CUDAGeneratorImplEZZZNS4_16bernoulli_kernelIS9_EEvRNS_18TensorIteratorBaseEdT_ENKUlvE_clEvENKUlvE6_clEvEUlfE_EEvSC_T1_T2_EUlP25hiprandStatePhilox4_32_10E0_ZNS1_27distribution_nullary_kernelIS7_f15HIP_vector_typeIfLj4EES9_SL_SG_EEvSC_SI_RKT3_T4_EUlifE_EEvlNS_15PhiloxCudaStateESH_SI_.kd
    .uniform_work_group_size: 1
    .uses_dynamic_stack: false
    .vgpr_count:     45
    .vgpr_spill_count: 0
    .wavefront_size: 32
    .workgroup_processor_mode: 1
  - .args:
      - .offset:         0
        .size:           8
        .value_kind:     by_value
      - .offset:         8
        .size:           32
        .value_kind:     by_value
      - .offset:         40
        .size:           1
        .value_kind:     by_value
      - .offset:         48
        .size:           280
        .value_kind:     by_value
      - .offset:         328
        .size:           4
        .value_kind:     hidden_block_count_x
      - .offset:         332
        .size:           4
        .value_kind:     hidden_block_count_y
      - .offset:         336
        .size:           4
        .value_kind:     hidden_block_count_z
      - .offset:         340
        .size:           2
        .value_kind:     hidden_group_size_x
      - .offset:         342
        .size:           2
        .value_kind:     hidden_group_size_y
      - .offset:         344
        .size:           2
        .value_kind:     hidden_group_size_z
      - .offset:         346
        .size:           2
        .value_kind:     hidden_remainder_x
      - .offset:         348
        .size:           2
        .value_kind:     hidden_remainder_y
      - .offset:         350
        .size:           2
        .value_kind:     hidden_remainder_z
      - .offset:         368
        .size:           8
        .value_kind:     hidden_global_offset_x
      - .offset:         376
        .size:           8
        .value_kind:     hidden_global_offset_y
      - .offset:         384
        .size:           8
        .value_kind:     hidden_global_offset_z
      - .offset:         392
        .size:           2
        .value_kind:     hidden_grid_dims
    .group_segment_fixed_size: 0
    .kernarg_segment_align: 8
    .kernarg_segment_size: 584
    .language:       OpenCL C
    .language_version:
      - 2
      - 0
    .max_flat_workgroup_size: 256
    .name:           _ZN2at6native12_GLOBAL__N_143distribution_elementwise_grid_stride_kernelIfLi4EZNS0_9templates4cuda21uniform_and_transformIN3c104HalfEfPNS_17CUDAGeneratorImplEZZZNS4_16bernoulli_kernelIS9_EEvRNS_18TensorIteratorBaseEdT_ENKUlvE_clEvENKUlvE6_clEvEUlfE_EEvSC_T1_T2_EUlP25hiprandStatePhilox4_32_10E0_ZNS1_27distribution_nullary_kernelIS7_f15HIP_vector_typeIfLj4EES9_SL_SG_EEvSC_SI_RKT3_T4_EUlifE0_EEvlNS_15PhiloxCudaStateESH_SI_
    .private_segment_fixed_size: 0
    .sgpr_count:     58
    .sgpr_spill_count: 0
    .symbol:         _ZN2at6native12_GLOBAL__N_143distribution_elementwise_grid_stride_kernelIfLi4EZNS0_9templates4cuda21uniform_and_transformIN3c104HalfEfPNS_17CUDAGeneratorImplEZZZNS4_16bernoulli_kernelIS9_EEvRNS_18TensorIteratorBaseEdT_ENKUlvE_clEvENKUlvE6_clEvEUlfE_EEvSC_T1_T2_EUlP25hiprandStatePhilox4_32_10E0_ZNS1_27distribution_nullary_kernelIS7_f15HIP_vector_typeIfLj4EES9_SL_SG_EEvSC_SI_RKT3_T4_EUlifE0_EEvlNS_15PhiloxCudaStateESH_SI_.kd
    .uniform_work_group_size: 1
    .uses_dynamic_stack: false
    .vgpr_count:     45
    .vgpr_spill_count: 0
    .wavefront_size: 32
    .workgroup_processor_mode: 1
  - .args:
      - .offset:         0
        .size:           8
        .value_kind:     by_value
      - .offset:         8
        .size:           32
        .value_kind:     by_value
      - .offset:         40
        .size:           1
        .value_kind:     by_value
      - .offset:         48
        .size:           24
        .value_kind:     by_value
      - .offset:         72
        .size:           4
        .value_kind:     hidden_block_count_x
      - .offset:         76
        .size:           4
        .value_kind:     hidden_block_count_y
      - .offset:         80
        .size:           4
        .value_kind:     hidden_block_count_z
      - .offset:         84
        .size:           2
        .value_kind:     hidden_group_size_x
      - .offset:         86
        .size:           2
        .value_kind:     hidden_group_size_y
      - .offset:         88
        .size:           2
        .value_kind:     hidden_group_size_z
      - .offset:         90
        .size:           2
        .value_kind:     hidden_remainder_x
      - .offset:         92
        .size:           2
        .value_kind:     hidden_remainder_y
      - .offset:         94
        .size:           2
        .value_kind:     hidden_remainder_z
      - .offset:         112
        .size:           8
        .value_kind:     hidden_global_offset_x
      - .offset:         120
        .size:           8
        .value_kind:     hidden_global_offset_y
      - .offset:         128
        .size:           8
        .value_kind:     hidden_global_offset_z
      - .offset:         136
        .size:           2
        .value_kind:     hidden_grid_dims
    .group_segment_fixed_size: 0
    .kernarg_segment_align: 8
    .kernarg_segment_size: 328
    .language:       OpenCL C
    .language_version:
      - 2
      - 0
    .max_flat_workgroup_size: 256
    .name:           _ZN2at6native12_GLOBAL__N_143distribution_elementwise_grid_stride_kernelIfLi4EZNS0_9templates4cuda21uniform_and_transformIN3c108BFloat16EfPNS_17CUDAGeneratorImplEZZZNS4_16bernoulli_kernelIS9_EEvRNS_18TensorIteratorBaseEdT_ENKUlvE_clEvENKUlvE7_clEvEUlfE_EEvSC_T1_T2_EUlP25hiprandStatePhilox4_32_10E_ZNS1_27distribution_nullary_kernelIS7_f15HIP_vector_typeIdLj2EES9_SL_SG_EEvSC_SI_RKT3_T4_EUlifE_EEvlNS_15PhiloxCudaStateESH_SI_
    .private_segment_fixed_size: 0
    .sgpr_count:     25
    .sgpr_spill_count: 0
    .symbol:         _ZN2at6native12_GLOBAL__N_143distribution_elementwise_grid_stride_kernelIfLi4EZNS0_9templates4cuda21uniform_and_transformIN3c108BFloat16EfPNS_17CUDAGeneratorImplEZZZNS4_16bernoulli_kernelIS9_EEvRNS_18TensorIteratorBaseEdT_ENKUlvE_clEvENKUlvE7_clEvEUlfE_EEvSC_T1_T2_EUlP25hiprandStatePhilox4_32_10E_ZNS1_27distribution_nullary_kernelIS7_f15HIP_vector_typeIdLj2EES9_SL_SG_EEvSC_SI_RKT3_T4_EUlifE_EEvlNS_15PhiloxCudaStateESH_SI_.kd
    .uniform_work_group_size: 1
    .uses_dynamic_stack: false
    .vgpr_count:     43
    .vgpr_spill_count: 0
    .wavefront_size: 32
    .workgroup_processor_mode: 1
  - .args:
      - .offset:         0
        .size:           8
        .value_kind:     by_value
      - .offset:         8
        .size:           32
        .value_kind:     by_value
      - .offset:         40
        .size:           1
        .value_kind:     by_value
      - .offset:         48
        .size:           280
        .value_kind:     by_value
      - .offset:         328
        .size:           4
        .value_kind:     hidden_block_count_x
      - .offset:         332
        .size:           4
        .value_kind:     hidden_block_count_y
      - .offset:         336
        .size:           4
        .value_kind:     hidden_block_count_z
      - .offset:         340
        .size:           2
        .value_kind:     hidden_group_size_x
      - .offset:         342
        .size:           2
        .value_kind:     hidden_group_size_y
      - .offset:         344
        .size:           2
        .value_kind:     hidden_group_size_z
      - .offset:         346
        .size:           2
        .value_kind:     hidden_remainder_x
      - .offset:         348
        .size:           2
        .value_kind:     hidden_remainder_y
      - .offset:         350
        .size:           2
        .value_kind:     hidden_remainder_z
      - .offset:         368
        .size:           8
        .value_kind:     hidden_global_offset_x
      - .offset:         376
        .size:           8
        .value_kind:     hidden_global_offset_y
      - .offset:         384
        .size:           8
        .value_kind:     hidden_global_offset_z
      - .offset:         392
        .size:           2
        .value_kind:     hidden_grid_dims
    .group_segment_fixed_size: 0
    .kernarg_segment_align: 8
    .kernarg_segment_size: 584
    .language:       OpenCL C
    .language_version:
      - 2
      - 0
    .max_flat_workgroup_size: 256
    .name:           _ZN2at6native12_GLOBAL__N_143distribution_elementwise_grid_stride_kernelIfLi4EZNS0_9templates4cuda21uniform_and_transformIN3c108BFloat16EfPNS_17CUDAGeneratorImplEZZZNS4_16bernoulli_kernelIS9_EEvRNS_18TensorIteratorBaseEdT_ENKUlvE_clEvENKUlvE7_clEvEUlfE_EEvSC_T1_T2_EUlP25hiprandStatePhilox4_32_10E_ZNS1_27distribution_nullary_kernelIS7_f15HIP_vector_typeIdLj2EES9_SL_SG_EEvSC_SI_RKT3_T4_EUlifE0_EEvlNS_15PhiloxCudaStateESH_SI_
    .private_segment_fixed_size: 0
    .sgpr_count:     54
    .sgpr_spill_count: 0
    .symbol:         _ZN2at6native12_GLOBAL__N_143distribution_elementwise_grid_stride_kernelIfLi4EZNS0_9templates4cuda21uniform_and_transformIN3c108BFloat16EfPNS_17CUDAGeneratorImplEZZZNS4_16bernoulli_kernelIS9_EEvRNS_18TensorIteratorBaseEdT_ENKUlvE_clEvENKUlvE7_clEvEUlfE_EEvSC_T1_T2_EUlP25hiprandStatePhilox4_32_10E_ZNS1_27distribution_nullary_kernelIS7_f15HIP_vector_typeIdLj2EES9_SL_SG_EEvSC_SI_RKT3_T4_EUlifE0_EEvlNS_15PhiloxCudaStateESH_SI_.kd
    .uniform_work_group_size: 1
    .uses_dynamic_stack: false
    .vgpr_count:     45
    .vgpr_spill_count: 0
    .wavefront_size: 32
    .workgroup_processor_mode: 1
  - .args:
      - .offset:         0
        .size:           8
        .value_kind:     by_value
      - .offset:         8
        .size:           32
        .value_kind:     by_value
      - .offset:         40
        .size:           1
        .value_kind:     by_value
      - .offset:         48
        .size:           24
        .value_kind:     by_value
      - .offset:         72
        .size:           4
        .value_kind:     hidden_block_count_x
      - .offset:         76
        .size:           4
        .value_kind:     hidden_block_count_y
      - .offset:         80
        .size:           4
        .value_kind:     hidden_block_count_z
      - .offset:         84
        .size:           2
        .value_kind:     hidden_group_size_x
      - .offset:         86
        .size:           2
        .value_kind:     hidden_group_size_y
      - .offset:         88
        .size:           2
        .value_kind:     hidden_group_size_z
      - .offset:         90
        .size:           2
        .value_kind:     hidden_remainder_x
      - .offset:         92
        .size:           2
        .value_kind:     hidden_remainder_y
      - .offset:         94
        .size:           2
        .value_kind:     hidden_remainder_z
      - .offset:         112
        .size:           8
        .value_kind:     hidden_global_offset_x
      - .offset:         120
        .size:           8
        .value_kind:     hidden_global_offset_y
      - .offset:         128
        .size:           8
        .value_kind:     hidden_global_offset_z
      - .offset:         136
        .size:           2
        .value_kind:     hidden_grid_dims
    .group_segment_fixed_size: 0
    .kernarg_segment_align: 8
    .kernarg_segment_size: 328
    .language:       OpenCL C
    .language_version:
      - 2
      - 0
    .max_flat_workgroup_size: 256
    .name:           _ZN2at6native12_GLOBAL__N_143distribution_elementwise_grid_stride_kernelIfLi4EZNS0_9templates4cuda21uniform_and_transformIN3c108BFloat16EfPNS_17CUDAGeneratorImplEZZZNS4_16bernoulli_kernelIS9_EEvRNS_18TensorIteratorBaseEdT_ENKUlvE_clEvENKUlvE7_clEvEUlfE_EEvSC_T1_T2_EUlP25hiprandStatePhilox4_32_10E0_ZNS1_27distribution_nullary_kernelIS7_f15HIP_vector_typeIfLj4EES9_SL_SG_EEvSC_SI_RKT3_T4_EUlifE_EEvlNS_15PhiloxCudaStateESH_SI_
    .private_segment_fixed_size: 0
    .sgpr_count:     25
    .sgpr_spill_count: 0
    .symbol:         _ZN2at6native12_GLOBAL__N_143distribution_elementwise_grid_stride_kernelIfLi4EZNS0_9templates4cuda21uniform_and_transformIN3c108BFloat16EfPNS_17CUDAGeneratorImplEZZZNS4_16bernoulli_kernelIS9_EEvRNS_18TensorIteratorBaseEdT_ENKUlvE_clEvENKUlvE7_clEvEUlfE_EEvSC_T1_T2_EUlP25hiprandStatePhilox4_32_10E0_ZNS1_27distribution_nullary_kernelIS7_f15HIP_vector_typeIfLj4EES9_SL_SG_EEvSC_SI_RKT3_T4_EUlifE_EEvlNS_15PhiloxCudaStateESH_SI_.kd
    .uniform_work_group_size: 1
    .uses_dynamic_stack: false
    .vgpr_count:     45
    .vgpr_spill_count: 0
    .wavefront_size: 32
    .workgroup_processor_mode: 1
  - .args:
      - .offset:         0
        .size:           8
        .value_kind:     by_value
      - .offset:         8
        .size:           32
        .value_kind:     by_value
      - .offset:         40
        .size:           1
        .value_kind:     by_value
      - .offset:         48
        .size:           280
        .value_kind:     by_value
      - .offset:         328
        .size:           4
        .value_kind:     hidden_block_count_x
      - .offset:         332
        .size:           4
        .value_kind:     hidden_block_count_y
      - .offset:         336
        .size:           4
        .value_kind:     hidden_block_count_z
      - .offset:         340
        .size:           2
        .value_kind:     hidden_group_size_x
      - .offset:         342
        .size:           2
        .value_kind:     hidden_group_size_y
      - .offset:         344
        .size:           2
        .value_kind:     hidden_group_size_z
      - .offset:         346
        .size:           2
        .value_kind:     hidden_remainder_x
      - .offset:         348
        .size:           2
        .value_kind:     hidden_remainder_y
      - .offset:         350
        .size:           2
        .value_kind:     hidden_remainder_z
      - .offset:         368
        .size:           8
        .value_kind:     hidden_global_offset_x
      - .offset:         376
        .size:           8
        .value_kind:     hidden_global_offset_y
      - .offset:         384
        .size:           8
        .value_kind:     hidden_global_offset_z
      - .offset:         392
        .size:           2
        .value_kind:     hidden_grid_dims
    .group_segment_fixed_size: 0
    .kernarg_segment_align: 8
    .kernarg_segment_size: 584
    .language:       OpenCL C
    .language_version:
      - 2
      - 0
    .max_flat_workgroup_size: 256
    .name:           _ZN2at6native12_GLOBAL__N_143distribution_elementwise_grid_stride_kernelIfLi4EZNS0_9templates4cuda21uniform_and_transformIN3c108BFloat16EfPNS_17CUDAGeneratorImplEZZZNS4_16bernoulli_kernelIS9_EEvRNS_18TensorIteratorBaseEdT_ENKUlvE_clEvENKUlvE7_clEvEUlfE_EEvSC_T1_T2_EUlP25hiprandStatePhilox4_32_10E0_ZNS1_27distribution_nullary_kernelIS7_f15HIP_vector_typeIfLj4EES9_SL_SG_EEvSC_SI_RKT3_T4_EUlifE0_EEvlNS_15PhiloxCudaStateESH_SI_
    .private_segment_fixed_size: 0
    .sgpr_count:     58
    .sgpr_spill_count: 0
    .symbol:         _ZN2at6native12_GLOBAL__N_143distribution_elementwise_grid_stride_kernelIfLi4EZNS0_9templates4cuda21uniform_and_transformIN3c108BFloat16EfPNS_17CUDAGeneratorImplEZZZNS4_16bernoulli_kernelIS9_EEvRNS_18TensorIteratorBaseEdT_ENKUlvE_clEvENKUlvE7_clEvEUlfE_EEvSC_T1_T2_EUlP25hiprandStatePhilox4_32_10E0_ZNS1_27distribution_nullary_kernelIS7_f15HIP_vector_typeIfLj4EES9_SL_SG_EEvSC_SI_RKT3_T4_EUlifE0_EEvlNS_15PhiloxCudaStateESH_SI_.kd
    .uniform_work_group_size: 1
    .uses_dynamic_stack: false
    .vgpr_count:     45
    .vgpr_spill_count: 0
    .wavefront_size: 32
    .workgroup_processor_mode: 1
  - .args:
      - .offset:         0
        .size:           8
        .value_kind:     by_value
      - .offset:         8
        .size:           32
        .value_kind:     by_value
      - .offset:         40
        .size:           1
        .value_kind:     by_value
      - .offset:         48
        .size:           24
        .value_kind:     by_value
      - .offset:         72
        .size:           4
        .value_kind:     hidden_block_count_x
      - .offset:         76
        .size:           4
        .value_kind:     hidden_block_count_y
      - .offset:         80
        .size:           4
        .value_kind:     hidden_block_count_z
      - .offset:         84
        .size:           2
        .value_kind:     hidden_group_size_x
      - .offset:         86
        .size:           2
        .value_kind:     hidden_group_size_y
      - .offset:         88
        .size:           2
        .value_kind:     hidden_group_size_z
      - .offset:         90
        .size:           2
        .value_kind:     hidden_remainder_x
      - .offset:         92
        .size:           2
        .value_kind:     hidden_remainder_y
      - .offset:         94
        .size:           2
        .value_kind:     hidden_remainder_z
      - .offset:         112
        .size:           8
        .value_kind:     hidden_global_offset_x
      - .offset:         120
        .size:           8
        .value_kind:     hidden_global_offset_y
      - .offset:         128
        .size:           8
        .value_kind:     hidden_global_offset_z
      - .offset:         136
        .size:           2
        .value_kind:     hidden_grid_dims
    .group_segment_fixed_size: 0
    .kernarg_segment_align: 8
    .kernarg_segment_size: 328
    .language:       OpenCL C
    .language_version:
      - 2
      - 0
    .max_flat_workgroup_size: 256
    .name:           _ZN2at6native12_GLOBAL__N_143distribution_elementwise_grid_stride_kernelIfLi4EZNS0_9templates4cuda21uniform_and_transformIbfPNS_17CUDAGeneratorImplEZZZNS4_16bernoulli_kernelIS7_EEvRNS_18TensorIteratorBaseEdT_ENKUlvE_clEvENKUlvE8_clEvEUlfE_EEvSA_T1_T2_EUlP25hiprandStatePhilox4_32_10E_ZNS1_27distribution_nullary_kernelIbf15HIP_vector_typeIdLj2EES7_SJ_SE_EEvSA_SG_RKT3_T4_EUlifE_EEvlNS_15PhiloxCudaStateESF_SG_
    .private_segment_fixed_size: 0
    .sgpr_count:     25
    .sgpr_spill_count: 0
    .symbol:         _ZN2at6native12_GLOBAL__N_143distribution_elementwise_grid_stride_kernelIfLi4EZNS0_9templates4cuda21uniform_and_transformIbfPNS_17CUDAGeneratorImplEZZZNS4_16bernoulli_kernelIS7_EEvRNS_18TensorIteratorBaseEdT_ENKUlvE_clEvENKUlvE8_clEvEUlfE_EEvSA_T1_T2_EUlP25hiprandStatePhilox4_32_10E_ZNS1_27distribution_nullary_kernelIbf15HIP_vector_typeIdLj2EES7_SJ_SE_EEvSA_SG_RKT3_T4_EUlifE_EEvlNS_15PhiloxCudaStateESF_SG_.kd
    .uniform_work_group_size: 1
    .uses_dynamic_stack: false
    .vgpr_count:     43
    .vgpr_spill_count: 0
    .wavefront_size: 32
    .workgroup_processor_mode: 1
  - .args:
      - .offset:         0
        .size:           8
        .value_kind:     by_value
      - .offset:         8
        .size:           32
        .value_kind:     by_value
      - .offset:         40
        .size:           1
        .value_kind:     by_value
      - .offset:         48
        .size:           280
        .value_kind:     by_value
      - .offset:         328
        .size:           4
        .value_kind:     hidden_block_count_x
      - .offset:         332
        .size:           4
        .value_kind:     hidden_block_count_y
      - .offset:         336
        .size:           4
        .value_kind:     hidden_block_count_z
      - .offset:         340
        .size:           2
        .value_kind:     hidden_group_size_x
      - .offset:         342
        .size:           2
        .value_kind:     hidden_group_size_y
      - .offset:         344
        .size:           2
        .value_kind:     hidden_group_size_z
      - .offset:         346
        .size:           2
        .value_kind:     hidden_remainder_x
      - .offset:         348
        .size:           2
        .value_kind:     hidden_remainder_y
      - .offset:         350
        .size:           2
        .value_kind:     hidden_remainder_z
      - .offset:         368
        .size:           8
        .value_kind:     hidden_global_offset_x
      - .offset:         376
        .size:           8
        .value_kind:     hidden_global_offset_y
      - .offset:         384
        .size:           8
        .value_kind:     hidden_global_offset_z
      - .offset:         392
        .size:           2
        .value_kind:     hidden_grid_dims
    .group_segment_fixed_size: 0
    .kernarg_segment_align: 8
    .kernarg_segment_size: 584
    .language:       OpenCL C
    .language_version:
      - 2
      - 0
    .max_flat_workgroup_size: 256
    .name:           _ZN2at6native12_GLOBAL__N_143distribution_elementwise_grid_stride_kernelIfLi4EZNS0_9templates4cuda21uniform_and_transformIbfPNS_17CUDAGeneratorImplEZZZNS4_16bernoulli_kernelIS7_EEvRNS_18TensorIteratorBaseEdT_ENKUlvE_clEvENKUlvE8_clEvEUlfE_EEvSA_T1_T2_EUlP25hiprandStatePhilox4_32_10E_ZNS1_27distribution_nullary_kernelIbf15HIP_vector_typeIdLj2EES7_SJ_SE_EEvSA_SG_RKT3_T4_EUlifE0_EEvlNS_15PhiloxCudaStateESF_SG_
    .private_segment_fixed_size: 0
    .sgpr_count:     54
    .sgpr_spill_count: 0
    .symbol:         _ZN2at6native12_GLOBAL__N_143distribution_elementwise_grid_stride_kernelIfLi4EZNS0_9templates4cuda21uniform_and_transformIbfPNS_17CUDAGeneratorImplEZZZNS4_16bernoulli_kernelIS7_EEvRNS_18TensorIteratorBaseEdT_ENKUlvE_clEvENKUlvE8_clEvEUlfE_EEvSA_T1_T2_EUlP25hiprandStatePhilox4_32_10E_ZNS1_27distribution_nullary_kernelIbf15HIP_vector_typeIdLj2EES7_SJ_SE_EEvSA_SG_RKT3_T4_EUlifE0_EEvlNS_15PhiloxCudaStateESF_SG_.kd
    .uniform_work_group_size: 1
    .uses_dynamic_stack: false
    .vgpr_count:     45
    .vgpr_spill_count: 0
    .wavefront_size: 32
    .workgroup_processor_mode: 1
  - .args:
      - .offset:         0
        .size:           8
        .value_kind:     by_value
      - .offset:         8
        .size:           32
        .value_kind:     by_value
      - .offset:         40
        .size:           1
        .value_kind:     by_value
      - .offset:         48
        .size:           24
        .value_kind:     by_value
      - .offset:         72
        .size:           4
        .value_kind:     hidden_block_count_x
      - .offset:         76
        .size:           4
        .value_kind:     hidden_block_count_y
      - .offset:         80
        .size:           4
        .value_kind:     hidden_block_count_z
      - .offset:         84
        .size:           2
        .value_kind:     hidden_group_size_x
      - .offset:         86
        .size:           2
        .value_kind:     hidden_group_size_y
      - .offset:         88
        .size:           2
        .value_kind:     hidden_group_size_z
      - .offset:         90
        .size:           2
        .value_kind:     hidden_remainder_x
      - .offset:         92
        .size:           2
        .value_kind:     hidden_remainder_y
      - .offset:         94
        .size:           2
        .value_kind:     hidden_remainder_z
      - .offset:         112
        .size:           8
        .value_kind:     hidden_global_offset_x
      - .offset:         120
        .size:           8
        .value_kind:     hidden_global_offset_y
      - .offset:         128
        .size:           8
        .value_kind:     hidden_global_offset_z
      - .offset:         136
        .size:           2
        .value_kind:     hidden_grid_dims
    .group_segment_fixed_size: 0
    .kernarg_segment_align: 8
    .kernarg_segment_size: 328
    .language:       OpenCL C
    .language_version:
      - 2
      - 0
    .max_flat_workgroup_size: 256
    .name:           _ZN2at6native12_GLOBAL__N_143distribution_elementwise_grid_stride_kernelIfLi4EZNS0_9templates4cuda21uniform_and_transformIbfPNS_17CUDAGeneratorImplEZZZNS4_16bernoulli_kernelIS7_EEvRNS_18TensorIteratorBaseEdT_ENKUlvE_clEvENKUlvE8_clEvEUlfE_EEvSA_T1_T2_EUlP25hiprandStatePhilox4_32_10E0_ZNS1_27distribution_nullary_kernelIbf15HIP_vector_typeIfLj4EES7_SJ_SE_EEvSA_SG_RKT3_T4_EUlifE_EEvlNS_15PhiloxCudaStateESF_SG_
    .private_segment_fixed_size: 0
    .sgpr_count:     25
    .sgpr_spill_count: 0
    .symbol:         _ZN2at6native12_GLOBAL__N_143distribution_elementwise_grid_stride_kernelIfLi4EZNS0_9templates4cuda21uniform_and_transformIbfPNS_17CUDAGeneratorImplEZZZNS4_16bernoulli_kernelIS7_EEvRNS_18TensorIteratorBaseEdT_ENKUlvE_clEvENKUlvE8_clEvEUlfE_EEvSA_T1_T2_EUlP25hiprandStatePhilox4_32_10E0_ZNS1_27distribution_nullary_kernelIbf15HIP_vector_typeIfLj4EES7_SJ_SE_EEvSA_SG_RKT3_T4_EUlifE_EEvlNS_15PhiloxCudaStateESF_SG_.kd
    .uniform_work_group_size: 1
    .uses_dynamic_stack: false
    .vgpr_count:     45
    .vgpr_spill_count: 0
    .wavefront_size: 32
    .workgroup_processor_mode: 1
  - .args:
      - .offset:         0
        .size:           8
        .value_kind:     by_value
      - .offset:         8
        .size:           32
        .value_kind:     by_value
      - .offset:         40
        .size:           1
        .value_kind:     by_value
      - .offset:         48
        .size:           280
        .value_kind:     by_value
      - .offset:         328
        .size:           4
        .value_kind:     hidden_block_count_x
      - .offset:         332
        .size:           4
        .value_kind:     hidden_block_count_y
      - .offset:         336
        .size:           4
        .value_kind:     hidden_block_count_z
      - .offset:         340
        .size:           2
        .value_kind:     hidden_group_size_x
      - .offset:         342
        .size:           2
        .value_kind:     hidden_group_size_y
      - .offset:         344
        .size:           2
        .value_kind:     hidden_group_size_z
      - .offset:         346
        .size:           2
        .value_kind:     hidden_remainder_x
      - .offset:         348
        .size:           2
        .value_kind:     hidden_remainder_y
      - .offset:         350
        .size:           2
        .value_kind:     hidden_remainder_z
      - .offset:         368
        .size:           8
        .value_kind:     hidden_global_offset_x
      - .offset:         376
        .size:           8
        .value_kind:     hidden_global_offset_y
      - .offset:         384
        .size:           8
        .value_kind:     hidden_global_offset_z
      - .offset:         392
        .size:           2
        .value_kind:     hidden_grid_dims
    .group_segment_fixed_size: 0
    .kernarg_segment_align: 8
    .kernarg_segment_size: 584
    .language:       OpenCL C
    .language_version:
      - 2
      - 0
    .max_flat_workgroup_size: 256
    .name:           _ZN2at6native12_GLOBAL__N_143distribution_elementwise_grid_stride_kernelIfLi4EZNS0_9templates4cuda21uniform_and_transformIbfPNS_17CUDAGeneratorImplEZZZNS4_16bernoulli_kernelIS7_EEvRNS_18TensorIteratorBaseEdT_ENKUlvE_clEvENKUlvE8_clEvEUlfE_EEvSA_T1_T2_EUlP25hiprandStatePhilox4_32_10E0_ZNS1_27distribution_nullary_kernelIbf15HIP_vector_typeIfLj4EES7_SJ_SE_EEvSA_SG_RKT3_T4_EUlifE0_EEvlNS_15PhiloxCudaStateESF_SG_
    .private_segment_fixed_size: 0
    .sgpr_count:     58
    .sgpr_spill_count: 0
    .symbol:         _ZN2at6native12_GLOBAL__N_143distribution_elementwise_grid_stride_kernelIfLi4EZNS0_9templates4cuda21uniform_and_transformIbfPNS_17CUDAGeneratorImplEZZZNS4_16bernoulli_kernelIS7_EEvRNS_18TensorIteratorBaseEdT_ENKUlvE_clEvENKUlvE8_clEvEUlfE_EEvSA_T1_T2_EUlP25hiprandStatePhilox4_32_10E0_ZNS1_27distribution_nullary_kernelIbf15HIP_vector_typeIfLj4EES7_SJ_SE_EEvSA_SG_RKT3_T4_EUlifE0_EEvlNS_15PhiloxCudaStateESF_SG_.kd
    .uniform_work_group_size: 1
    .uses_dynamic_stack: false
    .vgpr_count:     45
    .vgpr_spill_count: 0
    .wavefront_size: 32
    .workgroup_processor_mode: 1
amdhsa.target:   amdgcn-amd-amdhsa--gfx1100
amdhsa.version:
  - 1
  - 2
...

	.end_amdgpu_metadata
